;; amdgpu-corpus repo=ROCm/hipCUB kind=compiled arch=gfx90a opt=O3
	.text
	.amdgcn_target "amdgcn-amd-amdhsa--gfx90a"
	.amdhsa_code_object_version 6
	.section	.text._Z11rank_kernelIiLj4ELb0EL18RadixRankAlgorithm0ELj128ELj1ELj10EEvPKT_Pi,"axG",@progbits,_Z11rank_kernelIiLj4ELb0EL18RadixRankAlgorithm0ELj128ELj1ELj10EEvPKT_Pi,comdat
	.protected	_Z11rank_kernelIiLj4ELb0EL18RadixRankAlgorithm0ELj128ELj1ELj10EEvPKT_Pi ; -- Begin function _Z11rank_kernelIiLj4ELb0EL18RadixRankAlgorithm0ELj128ELj1ELj10EEvPKT_Pi
	.globl	_Z11rank_kernelIiLj4ELb0EL18RadixRankAlgorithm0ELj128ELj1ELj10EEvPKT_Pi
	.p2align	8
	.type	_Z11rank_kernelIiLj4ELb0EL18RadixRankAlgorithm0ELj128ELj1ELj10EEvPKT_Pi,@function
_Z11rank_kernelIiLj4ELb0EL18RadixRankAlgorithm0ELj128ELj1ELj10EEvPKT_Pi: ; @_Z11rank_kernelIiLj4ELb0EL18RadixRankAlgorithm0ELj128ELj1ELj10EEvPKT_Pi
; %bb.0:
	s_load_dwordx4 s[20:23], s[4:5], 0x0
	s_lshl_b32 s26, s6, 7
	s_mov_b32 s27, 0
	s_lshl_b64 s[24:25], s[26:27], 2
	v_lshlrev_b32_e32 v4, 2, v0
	s_waitcnt lgkmcnt(0)
	s_add_u32 s0, s20, s24
	s_addc_u32 s1, s21, s25
	global_load_dword v2, v4, s[0:1]
	v_mbcnt_lo_u32_b32 v1, -1, 0
	v_mbcnt_hi_u32_b32 v3, -1, v1
	v_add_u32_e32 v11, -1, v3
	v_and_b32_e32 v12, 64, v3
	v_or_b32_e32 v7, 63, v0
	v_lshrrev_b32_e32 v8, 4, v0
	v_cmp_lt_i32_e64 s[18:19], v11, v12
	v_and_b32_e32 v9, 15, v3
	v_and_b32_e32 v10, 16, v3
	v_cmp_lt_u32_e64 s[2:3], 31, v3
	v_cmp_eq_u32_e64 s[4:5], v7, v0
	v_cmp_eq_u32_e64 s[6:7], 0, v3
	v_and_b32_e32 v7, 4, v8
	v_and_b32_e32 v8, 1, v3
	v_cndmask_b32_e64 v3, v11, v3, s[18:19]
	v_mov_b32_e32 v5, 0
	v_lshlrev_b32_e32 v6, 5, v0
	v_cmp_gt_u32_e32 vcc, 2, v0
	v_cmp_lt_u32_e64 s[0:1], 63, v0
	v_or_b32_e32 v1, 0x80, v0
	v_cmp_eq_u32_e64 s[8:9], 0, v9
	v_cmp_lt_u32_e64 s[10:11], 1, v9
	v_cmp_lt_u32_e64 s[12:13], 3, v9
	v_cmp_lt_u32_e64 s[14:15], 7, v9
	v_cmp_eq_u32_e64 s[16:17], 0, v10
	v_cmp_eq_u32_e64 s[18:19], 0, v8
	v_lshlrev_b32_e32 v8, 2, v3
	s_movk_i32 s26, 0x380
	s_waitcnt vmcnt(0)
	v_xor_b32_e32 v9, 0x80000000, v2
	s_branch .LBB0_2
.LBB0_1:                                ;   in Loop: Header=BB0_2 Depth=1
	s_add_i32 s27, s27, 1
	s_cmp_eq_u32 s27, 10
	s_cbranch_scc1 .LBB0_16
.LBB0_2:                                ; =>This Loop Header: Depth=1
                                        ;     Child Loop BB0_4 Depth 2
                                        ;       Child Loop BB0_6 Depth 3
	s_mov_b32 s33, 0
	s_branch .LBB0_4
.LBB0_3:                                ;   in Loop: Header=BB0_4 Depth=2
	s_or_b64 exec, exec, s[20:21]
	s_waitcnt lgkmcnt(0)
	v_add_u32_e32 v10, v11, v10
	ds_bpermute_b32 v10, v8, v10
	ds_read_b32 v12, v5 offset:4100
	s_add_i32 s20, s33, 4
	s_cmp_lt_u32 s33, 28
	s_mov_b32 s33, s20
	s_waitcnt lgkmcnt(1)
	v_cndmask_b32_e64 v13, v10, v11, s[6:7]
	ds_read2_b32 v[10:11], v6 offset1:1
	s_waitcnt lgkmcnt(1)
	v_lshl_add_u32 v16, v12, 16, v13
	ds_read2_b32 v[12:13], v6 offset0:2 offset1:3
	ds_read2_b32 v[14:15], v6 offset0:4 offset1:5
	ds_read_b32 v17, v6 offset:24
	s_waitcnt lgkmcnt(3)
	v_add_u32_e32 v10, v16, v10
	ds_write2_b32 v6, v16, v10 offset1:1
	v_add_u32_e32 v10, v11, v10
	s_waitcnt lgkmcnt(3)
	v_add_u32_e32 v11, v12, v10
	ds_write2_b32 v6, v10, v11 offset0:2 offset1:3
	v_add_u32_e32 v10, v13, v11
	s_waitcnt lgkmcnt(3)
	v_add_u32_e32 v11, v14, v10
	ds_write2_b32 v6, v10, v11 offset0:4 offset1:5
	;; [unrolled: 4-line block ×3, first 2 shown]
	s_waitcnt lgkmcnt(0)
	s_barrier
	s_cbranch_scc0 .LBB0_1
.LBB0_4:                                ;   Parent Loop BB0_2 Depth=1
                                        ; =>  This Loop Header: Depth=2
                                        ;       Child Loop BB0_6 Depth 3
	s_mov_b32 s34, 0
	s_mov_b64 s[20:21], 0
	v_pk_mov_b32 v[2:3], v[0:1], v[0:1] op_sel:[0,1]
	s_branch .LBB0_6
.LBB0_5:                                ;   in Loop: Header=BB0_6 Depth=3
	s_or_b64 exec, exec, s[30:31]
	s_add_i32 s34, s34, 2
	v_cmp_eq_u32_e64 s[28:29], 8, s34
	v_add_u32_e32 v3, 0x100, v3
	s_or_b64 s[20:21], s[28:29], s[20:21]
	v_add_u32_e32 v2, 0x100, v2
	s_andn2_b64 exec, exec, s[20:21]
	s_cbranch_execz .LBB0_10
.LBB0_6:                                ;   Parent Loop BB0_2 Depth=1
                                        ;     Parent Loop BB0_4 Depth=2
                                        ; =>    This Inner Loop Header: Depth=3
	s_or_b32 s28, s34, 1
	v_cmp_le_u32_e64 s[28:29], s28, 7
	v_cmp_le_u32_e64 s[36:37], s34, 7
	s_and_saveexec_b64 s[30:31], s[36:37]
	s_cbranch_execz .LBB0_8
; %bb.7:                                ;   in Loop: Header=BB0_6 Depth=3
	v_lshlrev_b32_e32 v10, 2, v2
	ds_write_b32 v10, v5
.LBB0_8:                                ;   in Loop: Header=BB0_6 Depth=3
	s_or_b64 exec, exec, s[30:31]
	s_and_saveexec_b64 s[30:31], s[28:29]
	s_cbranch_execz .LBB0_5
; %bb.9:                                ;   in Loop: Header=BB0_6 Depth=3
	v_lshlrev_b32_e32 v10, 2, v3
	ds_write_b32 v10, v5
	s_branch .LBB0_5
.LBB0_10:                               ;   in Loop: Header=BB0_4 Depth=2
	s_or_b64 exec, exec, s[20:21]
	s_sub_i32 s20, 28, s33
	v_lshlrev_b32_e32 v2, s20, v9
	v_lshrrev_b32_e32 v3, 21, v2
	v_and_or_b32 v3, v3, s26, v0
	v_alignbit_b32 v2, v3, v2, 31
	v_lshlrev_b32_e32 v3, 1, v2
	ds_read_u16 v2, v3
	s_waitcnt lgkmcnt(0)
	v_add_u16_e32 v10, 1, v2
	ds_write_b16 v3, v10
	s_waitcnt lgkmcnt(0)
	s_barrier
	ds_read2_b32 v[10:11], v6 offset1:1
	ds_read2_b32 v[12:13], v6 offset0:2 offset1:3
	ds_read2_b32 v[14:15], v6 offset0:4 offset1:5
	;; [unrolled: 1-line block ×3, first 2 shown]
	s_waitcnt lgkmcnt(3)
	v_add_u32_e32 v10, v11, v10
	s_waitcnt lgkmcnt(2)
	v_add3_u32 v10, v10, v12, v13
	s_waitcnt lgkmcnt(1)
	v_add3_u32 v10, v10, v14, v15
	;; [unrolled: 2-line block ×3, first 2 shown]
	s_nop 1
	v_mov_b32_dpp v11, v10 row_shr:1 row_mask:0xf bank_mask:0xf
	v_cndmask_b32_e64 v11, v11, 0, s[8:9]
	v_add_u32_e32 v10, v11, v10
	s_nop 1
	v_mov_b32_dpp v11, v10 row_shr:2 row_mask:0xf bank_mask:0xf
	v_cndmask_b32_e64 v11, 0, v11, s[10:11]
	v_add_u32_e32 v10, v10, v11
	;; [unrolled: 4-line block ×4, first 2 shown]
	s_nop 1
	v_mov_b32_dpp v11, v10 row_bcast:15 row_mask:0xf bank_mask:0xf
	v_cndmask_b32_e64 v11, v11, 0, s[16:17]
	v_add_u32_e32 v10, v10, v11
	s_nop 1
	v_mov_b32_dpp v11, v10 row_bcast:31 row_mask:0xf bank_mask:0xf
	v_cndmask_b32_e64 v11, 0, v11, s[2:3]
	v_add_u32_e32 v10, v10, v11
	s_and_saveexec_b64 s[20:21], s[4:5]
	s_cbranch_execz .LBB0_12
; %bb.11:                               ;   in Loop: Header=BB0_4 Depth=2
	ds_write_b32 v7, v10 offset:4096
.LBB0_12:                               ;   in Loop: Header=BB0_4 Depth=2
	s_or_b64 exec, exec, s[20:21]
	s_waitcnt lgkmcnt(0)
	s_barrier
	s_and_saveexec_b64 s[20:21], vcc
	s_cbranch_execz .LBB0_14
; %bb.13:                               ;   in Loop: Header=BB0_4 Depth=2
	ds_read_b32 v11, v4 offset:4096
	s_waitcnt lgkmcnt(0)
	s_nop 0
	v_mov_b32_dpp v12, v11 row_shr:1 row_mask:0xf bank_mask:0xf
	v_cndmask_b32_e64 v12, v12, 0, s[18:19]
	v_add_u32_e32 v11, v12, v11
	ds_write_b32 v4, v11 offset:4096
.LBB0_14:                               ;   in Loop: Header=BB0_4 Depth=2
	s_or_b64 exec, exec, s[20:21]
	v_mov_b32_e32 v11, 0
	s_waitcnt lgkmcnt(0)
	s_barrier
	s_and_saveexec_b64 s[20:21], s[0:1]
	s_cbranch_execz .LBB0_3
; %bb.15:                               ;   in Loop: Header=BB0_4 Depth=2
	ds_read_b32 v11, v7 offset:4092
	s_branch .LBB0_3
.LBB0_16:
	ds_read_u16 v1, v3
	s_add_u32 s0, s22, s24
	s_addc_u32 s1, s23, s25
	v_lshlrev_b32_e32 v0, 2, v0
	s_waitcnt lgkmcnt(0)
	v_add_u32_sdwa v1, v1, v2 dst_sel:DWORD dst_unused:UNUSED_PAD src0_sel:DWORD src1_sel:WORD_0
	global_store_dword v0, v1, s[0:1]
	s_endpgm
	.section	.rodata,"a",@progbits
	.p2align	6, 0x0
	.amdhsa_kernel _Z11rank_kernelIiLj4ELb0EL18RadixRankAlgorithm0ELj128ELj1ELj10EEvPKT_Pi
		.amdhsa_group_segment_fixed_size 4104
		.amdhsa_private_segment_fixed_size 0
		.amdhsa_kernarg_size 16
		.amdhsa_user_sgpr_count 6
		.amdhsa_user_sgpr_private_segment_buffer 1
		.amdhsa_user_sgpr_dispatch_ptr 0
		.amdhsa_user_sgpr_queue_ptr 0
		.amdhsa_user_sgpr_kernarg_segment_ptr 1
		.amdhsa_user_sgpr_dispatch_id 0
		.amdhsa_user_sgpr_flat_scratch_init 0
		.amdhsa_user_sgpr_kernarg_preload_length 0
		.amdhsa_user_sgpr_kernarg_preload_offset 0
		.amdhsa_user_sgpr_private_segment_size 0
		.amdhsa_uses_dynamic_stack 0
		.amdhsa_system_sgpr_private_segment_wavefront_offset 0
		.amdhsa_system_sgpr_workgroup_id_x 1
		.amdhsa_system_sgpr_workgroup_id_y 0
		.amdhsa_system_sgpr_workgroup_id_z 0
		.amdhsa_system_sgpr_workgroup_info 0
		.amdhsa_system_vgpr_workitem_id 0
		.amdhsa_next_free_vgpr 18
		.amdhsa_next_free_sgpr 38
		.amdhsa_accum_offset 20
		.amdhsa_reserve_vcc 1
		.amdhsa_reserve_flat_scratch 0
		.amdhsa_float_round_mode_32 0
		.amdhsa_float_round_mode_16_64 0
		.amdhsa_float_denorm_mode_32 3
		.amdhsa_float_denorm_mode_16_64 3
		.amdhsa_dx10_clamp 1
		.amdhsa_ieee_mode 1
		.amdhsa_fp16_overflow 0
		.amdhsa_tg_split 0
		.amdhsa_exception_fp_ieee_invalid_op 0
		.amdhsa_exception_fp_denorm_src 0
		.amdhsa_exception_fp_ieee_div_zero 0
		.amdhsa_exception_fp_ieee_overflow 0
		.amdhsa_exception_fp_ieee_underflow 0
		.amdhsa_exception_fp_ieee_inexact 0
		.amdhsa_exception_int_div_zero 0
	.end_amdhsa_kernel
	.section	.text._Z11rank_kernelIiLj4ELb0EL18RadixRankAlgorithm0ELj128ELj1ELj10EEvPKT_Pi,"axG",@progbits,_Z11rank_kernelIiLj4ELb0EL18RadixRankAlgorithm0ELj128ELj1ELj10EEvPKT_Pi,comdat
.Lfunc_end0:
	.size	_Z11rank_kernelIiLj4ELb0EL18RadixRankAlgorithm0ELj128ELj1ELj10EEvPKT_Pi, .Lfunc_end0-_Z11rank_kernelIiLj4ELb0EL18RadixRankAlgorithm0ELj128ELj1ELj10EEvPKT_Pi
                                        ; -- End function
	.section	.AMDGPU.csdata,"",@progbits
; Kernel info:
; codeLenInByte = 1016
; NumSgprs: 42
; NumVgprs: 18
; NumAgprs: 0
; TotalNumVgprs: 18
; ScratchSize: 0
; MemoryBound: 0
; FloatMode: 240
; IeeeMode: 1
; LDSByteSize: 4104 bytes/workgroup (compile time only)
; SGPRBlocks: 5
; VGPRBlocks: 2
; NumSGPRsForWavesPerEU: 42
; NumVGPRsForWavesPerEU: 18
; AccumOffset: 20
; Occupancy: 8
; WaveLimiterHint : 0
; COMPUTE_PGM_RSRC2:SCRATCH_EN: 0
; COMPUTE_PGM_RSRC2:USER_SGPR: 6
; COMPUTE_PGM_RSRC2:TRAP_HANDLER: 0
; COMPUTE_PGM_RSRC2:TGID_X_EN: 1
; COMPUTE_PGM_RSRC2:TGID_Y_EN: 0
; COMPUTE_PGM_RSRC2:TGID_Z_EN: 0
; COMPUTE_PGM_RSRC2:TIDIG_COMP_CNT: 0
; COMPUTE_PGM_RSRC3_GFX90A:ACCUM_OFFSET: 4
; COMPUTE_PGM_RSRC3_GFX90A:TG_SPLIT: 0
	.section	.text._Z11rank_kernelIiLj4ELb0EL18RadixRankAlgorithm1ELj128ELj1ELj10EEvPKT_Pi,"axG",@progbits,_Z11rank_kernelIiLj4ELb0EL18RadixRankAlgorithm1ELj128ELj1ELj10EEvPKT_Pi,comdat
	.protected	_Z11rank_kernelIiLj4ELb0EL18RadixRankAlgorithm1ELj128ELj1ELj10EEvPKT_Pi ; -- Begin function _Z11rank_kernelIiLj4ELb0EL18RadixRankAlgorithm1ELj128ELj1ELj10EEvPKT_Pi
	.globl	_Z11rank_kernelIiLj4ELb0EL18RadixRankAlgorithm1ELj128ELj1ELj10EEvPKT_Pi
	.p2align	8
	.type	_Z11rank_kernelIiLj4ELb0EL18RadixRankAlgorithm1ELj128ELj1ELj10EEvPKT_Pi,@function
_Z11rank_kernelIiLj4ELb0EL18RadixRankAlgorithm1ELj128ELj1ELj10EEvPKT_Pi: ; @_Z11rank_kernelIiLj4ELb0EL18RadixRankAlgorithm1ELj128ELj1ELj10EEvPKT_Pi
; %bb.0:
	s_load_dwordx4 s[20:23], s[4:5], 0x0
	s_lshl_b32 s26, s6, 7
	s_mov_b32 s27, 0
	s_lshl_b64 s[24:25], s[26:27], 2
	v_lshlrev_b32_e32 v10, 2, v0
	s_waitcnt lgkmcnt(0)
	s_add_u32 s0, s20, s24
	s_addc_u32 s1, s21, s25
	global_load_dword v2, v10, s[0:1]
	v_mbcnt_lo_u32_b32 v1, -1, 0
	v_mbcnt_hi_u32_b32 v3, -1, v1
	v_or_b32_e32 v4, 63, v0
	v_cmp_eq_u32_e64 s[4:5], v4, v0
	v_add_u32_e32 v4, -1, v3
	v_and_b32_e32 v8, 64, v3
	v_lshrrev_b32_e32 v5, 4, v0
	v_cmp_lt_i32_e64 s[18:19], v4, v8
	v_and_b32_e32 v6, 15, v3
	v_and_b32_e32 v7, 16, v3
	v_cmp_lt_u32_e64 s[2:3], 31, v3
	v_cmp_eq_u32_e64 s[6:7], 0, v3
	v_and_b32_e32 v13, 4, v5
	v_and_b32_e32 v5, 1, v3
	v_cndmask_b32_e64 v3, v4, v3, s[18:19]
	v_mov_b32_e32 v11, 0
	v_lshlrev_b32_e32 v12, 5, v0
	v_cmp_gt_u32_e32 vcc, 2, v0
	v_cmp_lt_u32_e64 s[0:1], 63, v0
	v_or_b32_e32 v1, 0x80, v0
	v_cmp_eq_u32_e64 s[8:9], 0, v6
	v_cmp_lt_u32_e64 s[10:11], 1, v6
	v_cmp_lt_u32_e64 s[12:13], 3, v6
	;; [unrolled: 1-line block ×3, first 2 shown]
	v_cmp_eq_u32_e64 s[16:17], 0, v7
	v_cmp_eq_u32_e64 s[18:19], 0, v5
	v_lshlrev_b32_e32 v14, 2, v3
	s_movk_i32 s26, 0x380
	s_waitcnt vmcnt(0)
	v_xor_b32_e32 v15, 0x80000000, v2
	s_branch .LBB1_2
.LBB1_1:                                ;   in Loop: Header=BB1_2 Depth=1
	s_add_i32 s27, s27, 1
	s_cmp_eq_u32 s27, 10
	s_cbranch_scc1 .LBB1_16
.LBB1_2:                                ; =>This Loop Header: Depth=1
                                        ;     Child Loop BB1_4 Depth 2
                                        ;       Child Loop BB1_6 Depth 3
	s_mov_b32 s33, 0
	s_branch .LBB1_4
.LBB1_3:                                ;   in Loop: Header=BB1_4 Depth=2
	s_or_b64 exec, exec, s[20:21]
	s_waitcnt lgkmcnt(0)
	v_add_u32_e32 v5, v18, v5
	ds_bpermute_b32 v5, v14, v5
	ds_read_b32 v19, v11 offset:4100
	s_add_i32 s20, s33, 4
	s_cmp_lt_u32 s33, 28
	s_mov_b32 s33, s20
	s_waitcnt lgkmcnt(1)
	v_cndmask_b32_e64 v5, v5, v18, s[6:7]
	s_waitcnt lgkmcnt(0)
	v_lshl_add_u32 v5, v19, 16, v5
	v_add_u32_e32 v8, v5, v8
	v_add_u32_e32 v9, v8, v9
	ds_write2_b32 v12, v5, v8 offset1:1
	v_add_u32_e32 v5, v9, v6
	v_add_u32_e32 v6, v5, v7
	;; [unrolled: 1-line block ×4, first 2 shown]
	ds_write2_b32 v12, v9, v5 offset0:2 offset1:3
	v_add_u32_e32 v4, v3, v4
	ds_write2_b32 v12, v6, v2 offset0:4 offset1:5
	ds_write2_b32 v12, v3, v4 offset0:6 offset1:7
	s_waitcnt lgkmcnt(0)
	s_barrier
	s_cbranch_scc0 .LBB1_1
.LBB1_4:                                ;   Parent Loop BB1_2 Depth=1
                                        ; =>  This Loop Header: Depth=2
                                        ;       Child Loop BB1_6 Depth 3
	s_mov_b32 s34, 0
	s_mov_b64 s[20:21], 0
	v_pk_mov_b32 v[2:3], v[0:1], v[0:1] op_sel:[0,1]
	s_branch .LBB1_6
.LBB1_5:                                ;   in Loop: Header=BB1_6 Depth=3
	s_or_b64 exec, exec, s[30:31]
	s_add_i32 s34, s34, 2
	v_cmp_eq_u32_e64 s[28:29], 8, s34
	v_add_u32_e32 v3, 0x100, v3
	s_or_b64 s[20:21], s[28:29], s[20:21]
	v_add_u32_e32 v2, 0x100, v2
	s_andn2_b64 exec, exec, s[20:21]
	s_cbranch_execz .LBB1_10
.LBB1_6:                                ;   Parent Loop BB1_2 Depth=1
                                        ;     Parent Loop BB1_4 Depth=2
                                        ; =>    This Inner Loop Header: Depth=3
	s_or_b32 s28, s34, 1
	v_cmp_le_u32_e64 s[28:29], s28, 7
	v_cmp_le_u32_e64 s[36:37], s34, 7
	s_and_saveexec_b64 s[30:31], s[36:37]
	s_cbranch_execz .LBB1_8
; %bb.7:                                ;   in Loop: Header=BB1_6 Depth=3
	v_lshlrev_b32_e32 v4, 2, v2
	ds_write_b32 v4, v11
.LBB1_8:                                ;   in Loop: Header=BB1_6 Depth=3
	s_or_b64 exec, exec, s[30:31]
	s_and_saveexec_b64 s[30:31], s[28:29]
	s_cbranch_execz .LBB1_5
; %bb.9:                                ;   in Loop: Header=BB1_6 Depth=3
	v_lshlrev_b32_e32 v4, 2, v3
	ds_write_b32 v4, v11
	s_branch .LBB1_5
.LBB1_10:                               ;   in Loop: Header=BB1_4 Depth=2
	s_or_b64 exec, exec, s[20:21]
	s_sub_i32 s20, 28, s33
	v_lshlrev_b32_e32 v2, s20, v15
	v_lshrrev_b32_e32 v3, 21, v2
	v_and_or_b32 v3, v3, s26, v0
	v_alignbit_b32 v2, v3, v2, 31
	v_lshlrev_b32_e32 v17, 1, v2
	ds_read_u16 v16, v17
	s_waitcnt lgkmcnt(0)
	v_add_u16_e32 v2, 1, v16
	ds_write_b16 v17, v2
	s_waitcnt lgkmcnt(0)
	s_barrier
	ds_read2_b32 v[8:9], v12 offset1:1
	ds_read2_b32 v[6:7], v12 offset0:2 offset1:3
	ds_read2_b32 v[2:3], v12 offset0:4 offset1:5
	;; [unrolled: 1-line block ×3, first 2 shown]
	s_waitcnt lgkmcnt(3)
	v_add_u32_e32 v18, v9, v8
	s_waitcnt lgkmcnt(2)
	v_add3_u32 v18, v18, v6, v7
	s_waitcnt lgkmcnt(1)
	v_add3_u32 v18, v18, v2, v3
	;; [unrolled: 2-line block ×3, first 2 shown]
	s_nop 1
	v_mov_b32_dpp v18, v5 row_shr:1 row_mask:0xf bank_mask:0xf
	v_cndmask_b32_e64 v18, v18, 0, s[8:9]
	v_add_u32_e32 v5, v18, v5
	s_nop 1
	v_mov_b32_dpp v18, v5 row_shr:2 row_mask:0xf bank_mask:0xf
	v_cndmask_b32_e64 v18, 0, v18, s[10:11]
	v_add_u32_e32 v5, v5, v18
	;; [unrolled: 4-line block ×4, first 2 shown]
	s_nop 1
	v_mov_b32_dpp v18, v5 row_bcast:15 row_mask:0xf bank_mask:0xf
	v_cndmask_b32_e64 v18, v18, 0, s[16:17]
	v_add_u32_e32 v5, v5, v18
	s_nop 1
	v_mov_b32_dpp v18, v5 row_bcast:31 row_mask:0xf bank_mask:0xf
	v_cndmask_b32_e64 v18, 0, v18, s[2:3]
	v_add_u32_e32 v5, v5, v18
	s_and_saveexec_b64 s[20:21], s[4:5]
	s_cbranch_execz .LBB1_12
; %bb.11:                               ;   in Loop: Header=BB1_4 Depth=2
	ds_write_b32 v13, v5 offset:4096
.LBB1_12:                               ;   in Loop: Header=BB1_4 Depth=2
	s_or_b64 exec, exec, s[20:21]
	s_waitcnt lgkmcnt(0)
	s_barrier
	s_and_saveexec_b64 s[20:21], vcc
	s_cbranch_execz .LBB1_14
; %bb.13:                               ;   in Loop: Header=BB1_4 Depth=2
	ds_read_b32 v18, v10 offset:4096
	s_waitcnt lgkmcnt(0)
	s_nop 0
	v_mov_b32_dpp v19, v18 row_shr:1 row_mask:0xf bank_mask:0xf
	v_cndmask_b32_e64 v19, v19, 0, s[18:19]
	v_add_u32_e32 v18, v19, v18
	ds_write_b32 v10, v18 offset:4096
.LBB1_14:                               ;   in Loop: Header=BB1_4 Depth=2
	s_or_b64 exec, exec, s[20:21]
	v_mov_b32_e32 v18, 0
	s_waitcnt lgkmcnt(0)
	s_barrier
	s_and_saveexec_b64 s[20:21], s[0:1]
	s_cbranch_execz .LBB1_3
; %bb.15:                               ;   in Loop: Header=BB1_4 Depth=2
	ds_read_b32 v18, v13 offset:4092
	s_branch .LBB1_3
.LBB1_16:
	ds_read_u16 v1, v17
	s_add_u32 s0, s22, s24
	s_addc_u32 s1, s23, s25
	v_lshlrev_b32_e32 v0, 2, v0
	s_waitcnt lgkmcnt(0)
	v_add_u32_sdwa v1, v1, v16 dst_sel:DWORD dst_unused:UNUSED_PAD src0_sel:DWORD src1_sel:WORD_0
	global_store_dword v0, v1, s[0:1]
	s_endpgm
	.section	.rodata,"a",@progbits
	.p2align	6, 0x0
	.amdhsa_kernel _Z11rank_kernelIiLj4ELb0EL18RadixRankAlgorithm1ELj128ELj1ELj10EEvPKT_Pi
		.amdhsa_group_segment_fixed_size 4104
		.amdhsa_private_segment_fixed_size 0
		.amdhsa_kernarg_size 16
		.amdhsa_user_sgpr_count 6
		.amdhsa_user_sgpr_private_segment_buffer 1
		.amdhsa_user_sgpr_dispatch_ptr 0
		.amdhsa_user_sgpr_queue_ptr 0
		.amdhsa_user_sgpr_kernarg_segment_ptr 1
		.amdhsa_user_sgpr_dispatch_id 0
		.amdhsa_user_sgpr_flat_scratch_init 0
		.amdhsa_user_sgpr_kernarg_preload_length 0
		.amdhsa_user_sgpr_kernarg_preload_offset 0
		.amdhsa_user_sgpr_private_segment_size 0
		.amdhsa_uses_dynamic_stack 0
		.amdhsa_system_sgpr_private_segment_wavefront_offset 0
		.amdhsa_system_sgpr_workgroup_id_x 1
		.amdhsa_system_sgpr_workgroup_id_y 0
		.amdhsa_system_sgpr_workgroup_id_z 0
		.amdhsa_system_sgpr_workgroup_info 0
		.amdhsa_system_vgpr_workitem_id 0
		.amdhsa_next_free_vgpr 20
		.amdhsa_next_free_sgpr 38
		.amdhsa_accum_offset 20
		.amdhsa_reserve_vcc 1
		.amdhsa_reserve_flat_scratch 0
		.amdhsa_float_round_mode_32 0
		.amdhsa_float_round_mode_16_64 0
		.amdhsa_float_denorm_mode_32 3
		.amdhsa_float_denorm_mode_16_64 3
		.amdhsa_dx10_clamp 1
		.amdhsa_ieee_mode 1
		.amdhsa_fp16_overflow 0
		.amdhsa_tg_split 0
		.amdhsa_exception_fp_ieee_invalid_op 0
		.amdhsa_exception_fp_denorm_src 0
		.amdhsa_exception_fp_ieee_div_zero 0
		.amdhsa_exception_fp_ieee_overflow 0
		.amdhsa_exception_fp_ieee_underflow 0
		.amdhsa_exception_fp_ieee_inexact 0
		.amdhsa_exception_int_div_zero 0
	.end_amdhsa_kernel
	.section	.text._Z11rank_kernelIiLj4ELb0EL18RadixRankAlgorithm1ELj128ELj1ELj10EEvPKT_Pi,"axG",@progbits,_Z11rank_kernelIiLj4ELb0EL18RadixRankAlgorithm1ELj128ELj1ELj10EEvPKT_Pi,comdat
.Lfunc_end1:
	.size	_Z11rank_kernelIiLj4ELb0EL18RadixRankAlgorithm1ELj128ELj1ELj10EEvPKT_Pi, .Lfunc_end1-_Z11rank_kernelIiLj4ELb0EL18RadixRankAlgorithm1ELj128ELj1ELj10EEvPKT_Pi
                                        ; -- End function
	.section	.AMDGPU.csdata,"",@progbits
; Kernel info:
; codeLenInByte = 968
; NumSgprs: 42
; NumVgprs: 20
; NumAgprs: 0
; TotalNumVgprs: 20
; ScratchSize: 0
; MemoryBound: 0
; FloatMode: 240
; IeeeMode: 1
; LDSByteSize: 4104 bytes/workgroup (compile time only)
; SGPRBlocks: 5
; VGPRBlocks: 2
; NumSGPRsForWavesPerEU: 42
; NumVGPRsForWavesPerEU: 20
; AccumOffset: 20
; Occupancy: 8
; WaveLimiterHint : 0
; COMPUTE_PGM_RSRC2:SCRATCH_EN: 0
; COMPUTE_PGM_RSRC2:USER_SGPR: 6
; COMPUTE_PGM_RSRC2:TRAP_HANDLER: 0
; COMPUTE_PGM_RSRC2:TGID_X_EN: 1
; COMPUTE_PGM_RSRC2:TGID_Y_EN: 0
; COMPUTE_PGM_RSRC2:TGID_Z_EN: 0
; COMPUTE_PGM_RSRC2:TIDIG_COMP_CNT: 0
; COMPUTE_PGM_RSRC3_GFX90A:ACCUM_OFFSET: 4
; COMPUTE_PGM_RSRC3_GFX90A:TG_SPLIT: 0
	.section	.text._Z11rank_kernelIiLj4ELb0EL18RadixRankAlgorithm2ELj128ELj1ELj10EEvPKT_Pi,"axG",@progbits,_Z11rank_kernelIiLj4ELb0EL18RadixRankAlgorithm2ELj128ELj1ELj10EEvPKT_Pi,comdat
	.protected	_Z11rank_kernelIiLj4ELb0EL18RadixRankAlgorithm2ELj128ELj1ELj10EEvPKT_Pi ; -- Begin function _Z11rank_kernelIiLj4ELb0EL18RadixRankAlgorithm2ELj128ELj1ELj10EEvPKT_Pi
	.globl	_Z11rank_kernelIiLj4ELb0EL18RadixRankAlgorithm2ELj128ELj1ELj10EEvPKT_Pi
	.p2align	8
	.type	_Z11rank_kernelIiLj4ELb0EL18RadixRankAlgorithm2ELj128ELj1ELj10EEvPKT_Pi,@function
_Z11rank_kernelIiLj4ELb0EL18RadixRankAlgorithm2ELj128ELj1ELj10EEvPKT_Pi: ; @_Z11rank_kernelIiLj4ELb0EL18RadixRankAlgorithm2ELj128ELj1ELj10EEvPKT_Pi
; %bb.0:
	s_load_dwordx4 s[24:27], s[4:5], 0x0
	s_load_dword s20, s[4:5], 0x1c
	s_lshl_b32 s30, s6, 7
	s_mov_b32 s31, 0
	s_lshl_b64 s[28:29], s[30:31], 2
	s_waitcnt lgkmcnt(0)
	s_add_u32 s0, s24, s28
	v_and_b32_e32 v2, 0x3ff, v0
	s_addc_u32 s1, s25, s29
	v_lshlrev_b32_e32 v3, 2, v2
	global_load_dword v5, v3, s[0:1]
	v_mbcnt_lo_u32_b32 v1, -1, 0
	v_mbcnt_hi_u32_b32 v1, -1, v1
	v_add_u32_e32 v10, -1, v1
	v_and_b32_e32 v11, 64, v1
	v_bfe_u32 v8, v0, 10, 10
	v_bfe_u32 v0, v0, 20, 10
	v_cmp_lt_i32_e64 s[18:19], v10, v11
	s_lshr_b32 s21, s20, 16
	v_and_b32_e32 v6, 15, v1
	v_and_b32_e32 v7, 16, v1
	v_cmp_lt_u32_e32 vcc, 31, v1
	v_cmp_eq_u32_e64 s[4:5], 0, v1
	v_lshrrev_b32_e32 v12, 4, v2
	v_and_b32_e32 v13, 1, v1
	v_cndmask_b32_e64 v1, v10, v1, s[18:19]
	s_and_b32 s20, s20, 0xffff
	v_mad_u32_u24 v0, v0, s21, v8
	v_or_b32_e32 v9, 63, v2
	v_cmp_eq_u32_e64 s[6:7], 0, v6
	v_cmp_lt_u32_e64 s[8:9], 1, v6
	v_cmp_lt_u32_e64 s[10:11], 3, v6
	;; [unrolled: 1-line block ×3, first 2 shown]
	v_cmp_eq_u32_e64 s[14:15], 0, v7
	v_and_b32_e32 v6, 4, v12
	v_lshlrev_b32_e32 v7, 2, v1
	v_mad_u64_u32 v[0:1], s[20:21], v0, s20, v[2:3]
	v_mov_b32_e32 v4, 0
	v_cmp_gt_u32_e64 s[0:1], 2, v2
	v_cmp_lt_u32_e64 s[2:3], 63, v2
	v_cmp_eq_u32_e64 s[16:17], v9, v2
	v_cmp_eq_u32_e64 s[18:19], 0, v13
	v_lshrrev_b32_e32 v8, 6, v0
	v_add_u32_e32 v10, -4, v6
	s_waitcnt vmcnt(0)
	v_xor_b32_e32 v9, 0x80000000, v5
	s_branch .LBB2_2
.LBB2_1:                                ;   in Loop: Header=BB2_2 Depth=1
	s_add_i32 s31, s31, 1
	s_cmp_eq_u32 s31, 10
	s_cbranch_scc1 .LBB2_12
.LBB2_2:                                ; =>This Loop Header: Depth=1
                                        ;     Child Loop BB2_4 Depth 2
	s_mov_b32 s24, -4
	s_mov_b32 s25, 28
	s_branch .LBB2_4
.LBB2_3:                                ;   in Loop: Header=BB2_4 Depth=2
	s_or_b64 exec, exec, s[20:21]
	s_waitcnt lgkmcnt(0)
	v_add_u32_e32 v0, v1, v0
	ds_bpermute_b32 v0, v7, v0
	s_add_i32 s25, s25, -4
	s_add_i32 s24, s24, 4
	s_cmp_lt_u32 s24, 28
	s_waitcnt lgkmcnt(0)
	v_cndmask_b32_e64 v0, v0, v1, s[4:5]
	ds_write_b32 v3, v0 offset:8
	s_waitcnt lgkmcnt(0)
	s_barrier
	s_cbranch_scc0 .LBB2_1
.LBB2_4:                                ;   Parent Loop BB2_2 Depth=1
                                        ; =>  This Inner Loop Header: Depth=2
	v_lshlrev_b32_e32 v0, s25, v9
	v_lshrrev_b32_e32 v1, 28, v0
	v_mad_u32_u24 v5, v1, 3, v8
	v_lshl_add_u32 v11, v5, 2, 8
	v_bfe_u32 v5, v0, 28, 1
	v_add_co_u32_e64 v12, s[20:21], -1, v5
	v_addc_co_u32_e64 v13, s[20:21], 0, -1, s[20:21]
	v_cmp_ne_u32_e64 s[20:21], 0, v5
	v_xor_b32_e32 v5, s21, v13
	v_and_b32_e32 v13, exec_hi, v5
	v_lshlrev_b32_e32 v5, 30, v1
	v_xor_b32_e32 v12, s20, v12
	v_cmp_gt_i64_e64 s[20:21], 0, v[4:5]
	v_not_b32_e32 v5, v5
	v_ashrrev_i32_e32 v5, 31, v5
	v_and_b32_e32 v12, exec_lo, v12
	v_xor_b32_e32 v14, s21, v5
	v_xor_b32_e32 v5, s20, v5
	v_and_b32_e32 v12, v12, v5
	v_lshlrev_b32_e32 v5, 29, v1
	v_not_b32_e32 v1, v5
	v_cmp_gt_i64_e64 s[20:21], 0, v[4:5]
	v_ashrrev_i32_e32 v1, 31, v1
	v_and_b32_e32 v13, v13, v14
	v_xor_b32_e32 v5, s21, v1
	v_and_b32_e32 v13, v13, v5
	v_and_b32_e32 v5, 0xf0000000, v0
	v_not_b32_e32 v0, v5
	v_xor_b32_e32 v1, s20, v1
	v_cmp_gt_i64_e64 s[20:21], 0, v[4:5]
	v_ashrrev_i32_e32 v0, 31, v0
	v_and_b32_e32 v12, v12, v1
	v_xor_b32_e32 v1, s21, v0
	v_xor_b32_e32 v0, s20, v0
	v_and_b32_e32 v0, v12, v0
	v_and_b32_e32 v1, v13, v1
	v_mbcnt_lo_u32_b32 v5, v0, 0
	v_mbcnt_hi_u32_b32 v5, v1, v5
	v_cmp_eq_u32_e64 s[20:21], 0, v5
	v_cmp_ne_u64_e64 s[22:23], 0, v[0:1]
	s_and_b64 s[22:23], s[22:23], s[20:21]
	ds_write_b32 v3, v4 offset:8
	s_waitcnt lgkmcnt(0)
	s_barrier
	s_waitcnt lgkmcnt(0)
	; wave barrier
	s_and_saveexec_b64 s[20:21], s[22:23]
	s_cbranch_execz .LBB2_6
; %bb.5:                                ;   in Loop: Header=BB2_4 Depth=2
	v_bcnt_u32_b32 v0, v0, 0
	v_bcnt_u32_b32 v0, v1, v0
	ds_write_b32 v11, v0
.LBB2_6:                                ;   in Loop: Header=BB2_4 Depth=2
	s_or_b64 exec, exec, s[20:21]
	; wave barrier
	s_waitcnt lgkmcnt(0)
	s_barrier
	ds_read_b32 v0, v3 offset:8
	s_waitcnt lgkmcnt(0)
	s_nop 0
	v_mov_b32_dpp v1, v0 row_shr:1 row_mask:0xf bank_mask:0xf
	v_cndmask_b32_e64 v1, v1, 0, s[6:7]
	v_add_u32_e32 v0, v1, v0
	s_nop 1
	v_mov_b32_dpp v1, v0 row_shr:2 row_mask:0xf bank_mask:0xf
	v_cndmask_b32_e64 v1, 0, v1, s[8:9]
	v_add_u32_e32 v0, v0, v1
	s_nop 1
	v_mov_b32_dpp v1, v0 row_shr:4 row_mask:0xf bank_mask:0xf
	v_cndmask_b32_e64 v1, 0, v1, s[10:11]
	v_add_u32_e32 v0, v0, v1
	s_nop 1
	v_mov_b32_dpp v1, v0 row_shr:8 row_mask:0xf bank_mask:0xf
	v_cndmask_b32_e64 v1, 0, v1, s[12:13]
	v_add_u32_e32 v0, v0, v1
	s_nop 1
	v_mov_b32_dpp v1, v0 row_bcast:15 row_mask:0xf bank_mask:0xf
	v_cndmask_b32_e64 v1, v1, 0, s[14:15]
	v_add_u32_e32 v0, v0, v1
	s_nop 1
	v_mov_b32_dpp v1, v0 row_bcast:31 row_mask:0xf bank_mask:0xf
	v_cndmask_b32_e32 v1, 0, v1, vcc
	v_add_u32_e32 v0, v0, v1
	s_and_saveexec_b64 s[20:21], s[16:17]
	s_cbranch_execz .LBB2_8
; %bb.7:                                ;   in Loop: Header=BB2_4 Depth=2
	ds_write_b32 v6, v0
.LBB2_8:                                ;   in Loop: Header=BB2_4 Depth=2
	s_or_b64 exec, exec, s[20:21]
	s_waitcnt lgkmcnt(0)
	s_barrier
	s_and_saveexec_b64 s[20:21], s[0:1]
	s_cbranch_execz .LBB2_10
; %bb.9:                                ;   in Loop: Header=BB2_4 Depth=2
	ds_read_b32 v1, v3
	s_waitcnt lgkmcnt(0)
	s_nop 0
	v_mov_b32_dpp v12, v1 row_shr:1 row_mask:0xf bank_mask:0xf
	v_cndmask_b32_e64 v12, v12, 0, s[18:19]
	v_add_u32_e32 v1, v12, v1
	ds_write_b32 v3, v1
.LBB2_10:                               ;   in Loop: Header=BB2_4 Depth=2
	s_or_b64 exec, exec, s[20:21]
	v_mov_b32_e32 v1, 0
	s_waitcnt lgkmcnt(0)
	s_barrier
	s_and_saveexec_b64 s[20:21], s[2:3]
	s_cbranch_execz .LBB2_3
; %bb.11:                               ;   in Loop: Header=BB2_4 Depth=2
	ds_read_b32 v1, v10
	s_branch .LBB2_3
.LBB2_12:
	ds_read_b32 v0, v11
	s_add_u32 s0, s26, s28
	s_addc_u32 s1, s27, s29
	v_lshlrev_b32_e32 v1, 2, v2
	s_waitcnt lgkmcnt(0)
	v_add_u32_e32 v0, v0, v5
	global_store_dword v1, v0, s[0:1]
	s_endpgm
	.section	.rodata,"a",@progbits
	.p2align	6, 0x0
	.amdhsa_kernel _Z11rank_kernelIiLj4ELb0EL18RadixRankAlgorithm2ELj128ELj1ELj10EEvPKT_Pi
		.amdhsa_group_segment_fixed_size 520
		.amdhsa_private_segment_fixed_size 0
		.amdhsa_kernarg_size 272
		.amdhsa_user_sgpr_count 6
		.amdhsa_user_sgpr_private_segment_buffer 1
		.amdhsa_user_sgpr_dispatch_ptr 0
		.amdhsa_user_sgpr_queue_ptr 0
		.amdhsa_user_sgpr_kernarg_segment_ptr 1
		.amdhsa_user_sgpr_dispatch_id 0
		.amdhsa_user_sgpr_flat_scratch_init 0
		.amdhsa_user_sgpr_kernarg_preload_length 0
		.amdhsa_user_sgpr_kernarg_preload_offset 0
		.amdhsa_user_sgpr_private_segment_size 0
		.amdhsa_uses_dynamic_stack 0
		.amdhsa_system_sgpr_private_segment_wavefront_offset 0
		.amdhsa_system_sgpr_workgroup_id_x 1
		.amdhsa_system_sgpr_workgroup_id_y 0
		.amdhsa_system_sgpr_workgroup_id_z 0
		.amdhsa_system_sgpr_workgroup_info 0
		.amdhsa_system_vgpr_workitem_id 2
		.amdhsa_next_free_vgpr 15
		.amdhsa_next_free_sgpr 32
		.amdhsa_accum_offset 16
		.amdhsa_reserve_vcc 1
		.amdhsa_reserve_flat_scratch 0
		.amdhsa_float_round_mode_32 0
		.amdhsa_float_round_mode_16_64 0
		.amdhsa_float_denorm_mode_32 3
		.amdhsa_float_denorm_mode_16_64 3
		.amdhsa_dx10_clamp 1
		.amdhsa_ieee_mode 1
		.amdhsa_fp16_overflow 0
		.amdhsa_tg_split 0
		.amdhsa_exception_fp_ieee_invalid_op 0
		.amdhsa_exception_fp_denorm_src 0
		.amdhsa_exception_fp_ieee_div_zero 0
		.amdhsa_exception_fp_ieee_overflow 0
		.amdhsa_exception_fp_ieee_underflow 0
		.amdhsa_exception_fp_ieee_inexact 0
		.amdhsa_exception_int_div_zero 0
	.end_amdhsa_kernel
	.section	.text._Z11rank_kernelIiLj4ELb0EL18RadixRankAlgorithm2ELj128ELj1ELj10EEvPKT_Pi,"axG",@progbits,_Z11rank_kernelIiLj4ELb0EL18RadixRankAlgorithm2ELj128ELj1ELj10EEvPKT_Pi,comdat
.Lfunc_end2:
	.size	_Z11rank_kernelIiLj4ELb0EL18RadixRankAlgorithm2ELj128ELj1ELj10EEvPKT_Pi, .Lfunc_end2-_Z11rank_kernelIiLj4ELb0EL18RadixRankAlgorithm2ELj128ELj1ELj10EEvPKT_Pi
                                        ; -- End function
	.section	.AMDGPU.csdata,"",@progbits
; Kernel info:
; codeLenInByte = 964
; NumSgprs: 36
; NumVgprs: 15
; NumAgprs: 0
; TotalNumVgprs: 15
; ScratchSize: 0
; MemoryBound: 0
; FloatMode: 240
; IeeeMode: 1
; LDSByteSize: 520 bytes/workgroup (compile time only)
; SGPRBlocks: 4
; VGPRBlocks: 1
; NumSGPRsForWavesPerEU: 36
; NumVGPRsForWavesPerEU: 15
; AccumOffset: 16
; Occupancy: 8
; WaveLimiterHint : 0
; COMPUTE_PGM_RSRC2:SCRATCH_EN: 0
; COMPUTE_PGM_RSRC2:USER_SGPR: 6
; COMPUTE_PGM_RSRC2:TRAP_HANDLER: 0
; COMPUTE_PGM_RSRC2:TGID_X_EN: 1
; COMPUTE_PGM_RSRC2:TGID_Y_EN: 0
; COMPUTE_PGM_RSRC2:TGID_Z_EN: 0
; COMPUTE_PGM_RSRC2:TIDIG_COMP_CNT: 2
; COMPUTE_PGM_RSRC3_GFX90A:ACCUM_OFFSET: 3
; COMPUTE_PGM_RSRC3_GFX90A:TG_SPLIT: 0
	.section	.text._Z11rank_kernelIiLj4ELb0EL18RadixRankAlgorithm0ELj128ELj4ELj10EEvPKT_Pi,"axG",@progbits,_Z11rank_kernelIiLj4ELb0EL18RadixRankAlgorithm0ELj128ELj4ELj10EEvPKT_Pi,comdat
	.protected	_Z11rank_kernelIiLj4ELb0EL18RadixRankAlgorithm0ELj128ELj4ELj10EEvPKT_Pi ; -- Begin function _Z11rank_kernelIiLj4ELb0EL18RadixRankAlgorithm0ELj128ELj4ELj10EEvPKT_Pi
	.globl	_Z11rank_kernelIiLj4ELb0EL18RadixRankAlgorithm0ELj128ELj4ELj10EEvPKT_Pi
	.p2align	8
	.type	_Z11rank_kernelIiLj4ELb0EL18RadixRankAlgorithm0ELj128ELj4ELj10EEvPKT_Pi,@function
_Z11rank_kernelIiLj4ELb0EL18RadixRankAlgorithm0ELj128ELj4ELj10EEvPKT_Pi: ; @_Z11rank_kernelIiLj4ELb0EL18RadixRankAlgorithm0ELj128ELj4ELj10EEvPKT_Pi
; %bb.0:
	s_load_dwordx4 s[20:23], s[4:5], 0x0
	s_lshl_b32 s26, s6, 9
	s_mov_b32 s27, 0
	s_lshl_b64 s[24:25], s[26:27], 2
	v_lshlrev_b32_e32 v1, 4, v0
	s_waitcnt lgkmcnt(0)
	s_add_u32 s0, s20, s24
	s_addc_u32 s1, s21, s25
	global_load_dwordx4 v[10:13], v1, s[0:1]
	v_mbcnt_lo_u32_b32 v1, -1, 0
	v_mbcnt_hi_u32_b32 v4, -1, v1
	v_or_b32_e32 v5, 63, v0
	v_cmp_eq_u32_e64 s[4:5], v5, v0
	v_add_u32_e32 v5, -1, v4
	v_and_b32_e32 v14, 64, v4
	v_cmp_lt_i32_e64 s[18:19], v5, v14
	v_lshrrev_b32_e32 v7, 4, v0
	v_and_b32_e32 v8, 15, v4
	v_and_b32_e32 v9, 16, v4
	v_cmp_lt_u32_e64 s[2:3], 31, v4
	v_cmp_eq_u32_e64 s[6:7], 0, v4
	v_and_b32_e32 v15, 1, v4
	v_cndmask_b32_e64 v4, v5, v4, s[18:19]
	v_mov_b32_e32 v3, 0
	v_lshlrev_b32_e32 v2, 2, v0
	v_lshlrev_b32_e32 v6, 5, v0
	v_cmp_gt_u32_e32 vcc, 2, v0
	v_cmp_lt_u32_e64 s[0:1], 63, v0
	v_or_b32_e32 v1, 0x80, v0
	v_and_b32_e32 v7, 4, v7
	v_cmp_eq_u32_e64 s[8:9], 0, v8
	v_cmp_lt_u32_e64 s[10:11], 1, v8
	v_cmp_lt_u32_e64 s[12:13], 3, v8
	v_cmp_lt_u32_e64 s[14:15], 7, v8
	v_cmp_eq_u32_e64 s[16:17], 0, v9
	v_cmp_eq_u32_e64 s[18:19], 0, v15
	v_lshlrev_b32_e32 v8, 2, v4
	s_movk_i32 s26, 0x380
	s_waitcnt vmcnt(0)
	v_xor_b32_e32 v9, 0x80000000, v10
	v_xor_b32_e32 v10, 0x80000000, v11
	;; [unrolled: 1-line block ×4, first 2 shown]
	s_branch .LBB3_2
.LBB3_1:                                ;   in Loop: Header=BB3_2 Depth=1
	s_add_i32 s27, s27, 1
	s_cmp_eq_u32 s27, 10
	s_cbranch_scc1 .LBB3_16
.LBB3_2:                                ; =>This Loop Header: Depth=1
                                        ;     Child Loop BB3_4 Depth 2
                                        ;       Child Loop BB3_6 Depth 3
	s_mov_b32 s33, 0
	s_branch .LBB3_4
.LBB3_3:                                ;   in Loop: Header=BB3_4 Depth=2
	s_or_b64 exec, exec, s[20:21]
	s_waitcnt lgkmcnt(0)
	v_add_u32_e32 v19, v20, v19
	ds_bpermute_b32 v19, v8, v19
	ds_read_b32 v22, v3 offset:4100
	s_add_i32 s20, s33, 4
	s_cmp_lt_u32 s33, 28
	s_mov_b32 s33, s20
	s_waitcnt lgkmcnt(1)
	v_cndmask_b32_e64 v19, v19, v20, s[6:7]
	ds_read2_b32 v[20:21], v6 offset1:1
	s_waitcnt lgkmcnt(1)
	v_lshl_add_u32 v19, v22, 16, v19
	ds_read2_b32 v[22:23], v6 offset0:2 offset1:3
	ds_read2_b32 v[24:25], v6 offset0:4 offset1:5
	ds_read_b32 v26, v6 offset:24
	s_waitcnt lgkmcnt(3)
	v_add_u32_e32 v20, v19, v20
	ds_write2_b32 v6, v19, v20 offset1:1
	v_add_u32_e32 v19, v21, v20
	s_waitcnt lgkmcnt(3)
	v_add_u32_e32 v20, v22, v19
	ds_write2_b32 v6, v19, v20 offset0:2 offset1:3
	v_add_u32_e32 v19, v23, v20
	s_waitcnt lgkmcnt(3)
	v_add_u32_e32 v20, v24, v19
	ds_write2_b32 v6, v19, v20 offset0:4 offset1:5
	;; [unrolled: 4-line block ×3, first 2 shown]
	s_waitcnt lgkmcnt(0)
	s_barrier
	s_cbranch_scc0 .LBB3_1
.LBB3_4:                                ;   Parent Loop BB3_2 Depth=1
                                        ; =>  This Loop Header: Depth=2
                                        ;       Child Loop BB3_6 Depth 3
	s_mov_b32 s34, 0
	s_mov_b64 s[20:21], 0
	v_pk_mov_b32 v[4:5], v[0:1], v[0:1] op_sel:[0,1]
	s_branch .LBB3_6
.LBB3_5:                                ;   in Loop: Header=BB3_6 Depth=3
	s_or_b64 exec, exec, s[30:31]
	s_add_i32 s34, s34, 2
	v_cmp_eq_u32_e64 s[28:29], 8, s34
	v_add_u32_e32 v5, 0x100, v5
	s_or_b64 s[20:21], s[28:29], s[20:21]
	v_add_u32_e32 v4, 0x100, v4
	s_andn2_b64 exec, exec, s[20:21]
	s_cbranch_execz .LBB3_10
.LBB3_6:                                ;   Parent Loop BB3_2 Depth=1
                                        ;     Parent Loop BB3_4 Depth=2
                                        ; =>    This Inner Loop Header: Depth=3
	s_or_b32 s28, s34, 1
	v_cmp_le_u32_e64 s[28:29], s28, 7
	v_cmp_le_u32_e64 s[36:37], s34, 7
	s_and_saveexec_b64 s[30:31], s[36:37]
	s_cbranch_execz .LBB3_8
; %bb.7:                                ;   in Loop: Header=BB3_6 Depth=3
	v_lshlrev_b32_e32 v13, 2, v4
	ds_write_b32 v13, v3
.LBB3_8:                                ;   in Loop: Header=BB3_6 Depth=3
	s_or_b64 exec, exec, s[30:31]
	s_and_saveexec_b64 s[30:31], s[28:29]
	s_cbranch_execz .LBB3_5
; %bb.9:                                ;   in Loop: Header=BB3_6 Depth=3
	v_lshlrev_b32_e32 v13, 2, v5
	ds_write_b32 v13, v3
	s_branch .LBB3_5
.LBB3_10:                               ;   in Loop: Header=BB3_4 Depth=2
	s_or_b64 exec, exec, s[20:21]
	s_sub_i32 s20, 28, s33
	v_lshlrev_b32_e32 v4, s20, v9
	v_lshrrev_b32_e32 v5, 21, v4
	v_and_or_b32 v5, v5, s26, v0
	v_alignbit_b32 v4, v5, v4, 31
	v_lshlrev_b32_e32 v5, 1, v4
	ds_read_u16 v4, v5
	v_lshlrev_b32_e32 v13, s20, v10
	v_lshrrev_b32_e32 v14, 21, v13
	v_and_or_b32 v14, v14, s26, v0
	v_alignbit_b32 v13, v14, v13, 31
	s_waitcnt lgkmcnt(0)
	v_add_u16_e32 v14, 1, v4
	ds_write_b16 v5, v14
	v_lshlrev_b32_e32 v14, 1, v13
	ds_read_u16 v13, v14
	v_lshlrev_b32_e32 v15, s20, v11
	v_lshrrev_b32_e32 v16, 21, v15
	v_and_or_b32 v16, v16, s26, v0
	v_alignbit_b32 v15, v16, v15, 31
	s_waitcnt lgkmcnt(0)
	v_add_u16_e32 v17, 1, v13
	ds_write_b16 v14, v17
	;; [unrolled: 9-line block ×3, first 2 shown]
	v_lshlrev_b32_e32 v18, 1, v17
	ds_read_u16 v17, v18
	s_waitcnt lgkmcnt(0)
	v_add_u16_e32 v19, 1, v17
	ds_write_b16 v18, v19
	s_waitcnt lgkmcnt(0)
	s_barrier
	ds_read2_b32 v[20:21], v6 offset1:1
	ds_read2_b32 v[22:23], v6 offset0:2 offset1:3
	ds_read2_b32 v[24:25], v6 offset0:4 offset1:5
	;; [unrolled: 1-line block ×3, first 2 shown]
	s_waitcnt lgkmcnt(3)
	v_add_u32_e32 v19, v21, v20
	s_waitcnt lgkmcnt(2)
	v_add3_u32 v19, v19, v22, v23
	s_waitcnt lgkmcnt(1)
	v_add3_u32 v19, v19, v24, v25
	;; [unrolled: 2-line block ×3, first 2 shown]
	s_nop 1
	v_mov_b32_dpp v20, v19 row_shr:1 row_mask:0xf bank_mask:0xf
	v_cndmask_b32_e64 v20, v20, 0, s[8:9]
	v_add_u32_e32 v19, v20, v19
	s_nop 1
	v_mov_b32_dpp v20, v19 row_shr:2 row_mask:0xf bank_mask:0xf
	v_cndmask_b32_e64 v20, 0, v20, s[10:11]
	v_add_u32_e32 v19, v19, v20
	;; [unrolled: 4-line block ×4, first 2 shown]
	s_nop 1
	v_mov_b32_dpp v20, v19 row_bcast:15 row_mask:0xf bank_mask:0xf
	v_cndmask_b32_e64 v20, v20, 0, s[16:17]
	v_add_u32_e32 v19, v19, v20
	s_nop 1
	v_mov_b32_dpp v20, v19 row_bcast:31 row_mask:0xf bank_mask:0xf
	v_cndmask_b32_e64 v20, 0, v20, s[2:3]
	v_add_u32_e32 v19, v19, v20
	s_and_saveexec_b64 s[20:21], s[4:5]
	s_cbranch_execz .LBB3_12
; %bb.11:                               ;   in Loop: Header=BB3_4 Depth=2
	ds_write_b32 v7, v19 offset:4096
.LBB3_12:                               ;   in Loop: Header=BB3_4 Depth=2
	s_or_b64 exec, exec, s[20:21]
	s_waitcnt lgkmcnt(0)
	s_barrier
	s_and_saveexec_b64 s[20:21], vcc
	s_cbranch_execz .LBB3_14
; %bb.13:                               ;   in Loop: Header=BB3_4 Depth=2
	ds_read_b32 v20, v2 offset:4096
	s_waitcnt lgkmcnt(0)
	s_nop 0
	v_mov_b32_dpp v21, v20 row_shr:1 row_mask:0xf bank_mask:0xf
	v_cndmask_b32_e64 v21, v21, 0, s[18:19]
	v_add_u32_e32 v20, v21, v20
	ds_write_b32 v2, v20 offset:4096
.LBB3_14:                               ;   in Loop: Header=BB3_4 Depth=2
	s_or_b64 exec, exec, s[20:21]
	v_mov_b32_e32 v20, 0
	s_waitcnt lgkmcnt(0)
	s_barrier
	s_and_saveexec_b64 s[20:21], s[0:1]
	s_cbranch_execz .LBB3_3
; %bb.15:                               ;   in Loop: Header=BB3_4 Depth=2
	ds_read_b32 v20, v7 offset:4092
	s_branch .LBB3_3
.LBB3_16:
	ds_read_u16 v0, v5
	ds_read_u16 v1, v14
	;; [unrolled: 1-line block ×4, first 2 shown]
	s_add_u32 s0, s22, s24
	s_waitcnt lgkmcnt(3)
	v_add_u32_sdwa v4, v0, v4 dst_sel:DWORD dst_unused:UNUSED_PAD src0_sel:DWORD src1_sel:WORD_0
	s_waitcnt lgkmcnt(2)
	v_add_u32_sdwa v5, v1, v13 dst_sel:DWORD dst_unused:UNUSED_PAD src0_sel:DWORD src1_sel:WORD_0
	;; [unrolled: 2-line block ×4, first 2 shown]
	s_addc_u32 s1, s23, s25
	v_lshlrev_b32_e32 v0, 2, v2
	global_store_dwordx4 v0, v[4:7], s[0:1]
	s_endpgm
	.section	.rodata,"a",@progbits
	.p2align	6, 0x0
	.amdhsa_kernel _Z11rank_kernelIiLj4ELb0EL18RadixRankAlgorithm0ELj128ELj4ELj10EEvPKT_Pi
		.amdhsa_group_segment_fixed_size 4104
		.amdhsa_private_segment_fixed_size 0
		.amdhsa_kernarg_size 16
		.amdhsa_user_sgpr_count 6
		.amdhsa_user_sgpr_private_segment_buffer 1
		.amdhsa_user_sgpr_dispatch_ptr 0
		.amdhsa_user_sgpr_queue_ptr 0
		.amdhsa_user_sgpr_kernarg_segment_ptr 1
		.amdhsa_user_sgpr_dispatch_id 0
		.amdhsa_user_sgpr_flat_scratch_init 0
		.amdhsa_user_sgpr_kernarg_preload_length 0
		.amdhsa_user_sgpr_kernarg_preload_offset 0
		.amdhsa_user_sgpr_private_segment_size 0
		.amdhsa_uses_dynamic_stack 0
		.amdhsa_system_sgpr_private_segment_wavefront_offset 0
		.amdhsa_system_sgpr_workgroup_id_x 1
		.amdhsa_system_sgpr_workgroup_id_y 0
		.amdhsa_system_sgpr_workgroup_id_z 0
		.amdhsa_system_sgpr_workgroup_info 0
		.amdhsa_system_vgpr_workitem_id 0
		.amdhsa_next_free_vgpr 28
		.amdhsa_next_free_sgpr 38
		.amdhsa_accum_offset 28
		.amdhsa_reserve_vcc 1
		.amdhsa_reserve_flat_scratch 0
		.amdhsa_float_round_mode_32 0
		.amdhsa_float_round_mode_16_64 0
		.amdhsa_float_denorm_mode_32 3
		.amdhsa_float_denorm_mode_16_64 3
		.amdhsa_dx10_clamp 1
		.amdhsa_ieee_mode 1
		.amdhsa_fp16_overflow 0
		.amdhsa_tg_split 0
		.amdhsa_exception_fp_ieee_invalid_op 0
		.amdhsa_exception_fp_denorm_src 0
		.amdhsa_exception_fp_ieee_div_zero 0
		.amdhsa_exception_fp_ieee_overflow 0
		.amdhsa_exception_fp_ieee_underflow 0
		.amdhsa_exception_fp_ieee_inexact 0
		.amdhsa_exception_int_div_zero 0
	.end_amdhsa_kernel
	.section	.text._Z11rank_kernelIiLj4ELb0EL18RadixRankAlgorithm0ELj128ELj4ELj10EEvPKT_Pi,"axG",@progbits,_Z11rank_kernelIiLj4ELb0EL18RadixRankAlgorithm0ELj128ELj4ELj10EEvPKT_Pi,comdat
.Lfunc_end3:
	.size	_Z11rank_kernelIiLj4ELb0EL18RadixRankAlgorithm0ELj128ELj4ELj10EEvPKT_Pi, .Lfunc_end3-_Z11rank_kernelIiLj4ELb0EL18RadixRankAlgorithm0ELj128ELj4ELj10EEvPKT_Pi
                                        ; -- End function
	.section	.AMDGPU.csdata,"",@progbits
; Kernel info:
; codeLenInByte = 1260
; NumSgprs: 42
; NumVgprs: 28
; NumAgprs: 0
; TotalNumVgprs: 28
; ScratchSize: 0
; MemoryBound: 0
; FloatMode: 240
; IeeeMode: 1
; LDSByteSize: 4104 bytes/workgroup (compile time only)
; SGPRBlocks: 5
; VGPRBlocks: 3
; NumSGPRsForWavesPerEU: 42
; NumVGPRsForWavesPerEU: 28
; AccumOffset: 28
; Occupancy: 8
; WaveLimiterHint : 0
; COMPUTE_PGM_RSRC2:SCRATCH_EN: 0
; COMPUTE_PGM_RSRC2:USER_SGPR: 6
; COMPUTE_PGM_RSRC2:TRAP_HANDLER: 0
; COMPUTE_PGM_RSRC2:TGID_X_EN: 1
; COMPUTE_PGM_RSRC2:TGID_Y_EN: 0
; COMPUTE_PGM_RSRC2:TGID_Z_EN: 0
; COMPUTE_PGM_RSRC2:TIDIG_COMP_CNT: 0
; COMPUTE_PGM_RSRC3_GFX90A:ACCUM_OFFSET: 6
; COMPUTE_PGM_RSRC3_GFX90A:TG_SPLIT: 0
	.section	.text._Z11rank_kernelIiLj4ELb0EL18RadixRankAlgorithm1ELj128ELj4ELj10EEvPKT_Pi,"axG",@progbits,_Z11rank_kernelIiLj4ELb0EL18RadixRankAlgorithm1ELj128ELj4ELj10EEvPKT_Pi,comdat
	.protected	_Z11rank_kernelIiLj4ELb0EL18RadixRankAlgorithm1ELj128ELj4ELj10EEvPKT_Pi ; -- Begin function _Z11rank_kernelIiLj4ELb0EL18RadixRankAlgorithm1ELj128ELj4ELj10EEvPKT_Pi
	.globl	_Z11rank_kernelIiLj4ELb0EL18RadixRankAlgorithm1ELj128ELj4ELj10EEvPKT_Pi
	.p2align	8
	.type	_Z11rank_kernelIiLj4ELb0EL18RadixRankAlgorithm1ELj128ELj4ELj10EEvPKT_Pi,@function
_Z11rank_kernelIiLj4ELb0EL18RadixRankAlgorithm1ELj128ELj4ELj10EEvPKT_Pi: ; @_Z11rank_kernelIiLj4ELb0EL18RadixRankAlgorithm1ELj128ELj4ELj10EEvPKT_Pi
; %bb.0:
	s_load_dwordx4 s[20:23], s[4:5], 0x0
	s_lshl_b32 s26, s6, 9
	s_mov_b32 s27, 0
	s_lshl_b64 s[24:25], s[26:27], 2
	v_lshlrev_b32_e32 v1, 4, v0
	s_waitcnt lgkmcnt(0)
	s_add_u32 s0, s20, s24
	s_addc_u32 s1, s21, s25
	global_load_dwordx4 v[4:7], v1, s[0:1]
	v_mbcnt_lo_u32_b32 v1, -1, 0
	v_mbcnt_hi_u32_b32 v8, -1, v1
	v_or_b32_e32 v9, 63, v0
	v_cmp_eq_u32_e64 s[4:5], v9, v0
	v_add_u32_e32 v9, -1, v8
	v_and_b32_e32 v15, 64, v8
	v_lshrrev_b32_e32 v10, 4, v0
	v_cmp_lt_i32_e64 s[18:19], v9, v15
	v_and_b32_e32 v11, 15, v8
	v_and_b32_e32 v14, 16, v8
	v_cmp_lt_u32_e64 s[2:3], 31, v8
	v_cmp_eq_u32_e64 s[6:7], 0, v8
	v_and_b32_e32 v13, 4, v10
	v_and_b32_e32 v10, 1, v8
	v_cndmask_b32_e64 v8, v9, v8, s[18:19]
	v_mov_b32_e32 v3, 0
	v_lshlrev_b32_e32 v2, 2, v0
	v_lshlrev_b32_e32 v12, 5, v0
	v_cmp_gt_u32_e32 vcc, 2, v0
	v_cmp_lt_u32_e64 s[0:1], 63, v0
	v_or_b32_e32 v1, 0x80, v0
	v_cmp_eq_u32_e64 s[8:9], 0, v11
	v_cmp_lt_u32_e64 s[10:11], 1, v11
	v_cmp_lt_u32_e64 s[12:13], 3, v11
	;; [unrolled: 1-line block ×3, first 2 shown]
	v_cmp_eq_u32_e64 s[16:17], 0, v14
	v_cmp_eq_u32_e64 s[18:19], 0, v10
	v_lshlrev_b32_e32 v14, 2, v8
	s_movk_i32 s26, 0x380
	s_waitcnt vmcnt(0)
	v_xor_b32_e32 v15, 0x80000000, v4
	v_xor_b32_e32 v16, 0x80000000, v5
	;; [unrolled: 1-line block ×4, first 2 shown]
	s_branch .LBB4_2
.LBB4_1:                                ;   in Loop: Header=BB4_2 Depth=1
	s_add_i32 s27, s27, 1
	s_cmp_eq_u32 s27, 10
	s_cbranch_scc1 .LBB4_16
.LBB4_2:                                ; =>This Loop Header: Depth=1
                                        ;     Child Loop BB4_4 Depth 2
                                        ;       Child Loop BB4_6 Depth 3
	s_mov_b32 s33, 0
	s_branch .LBB4_4
.LBB4_3:                                ;   in Loop: Header=BB4_4 Depth=2
	s_or_b64 exec, exec, s[20:21]
	s_waitcnt lgkmcnt(0)
	v_add_u32_e32 v7, v27, v7
	ds_bpermute_b32 v7, v14, v7
	ds_read_b32 v28, v3 offset:4100
	s_add_i32 s20, s33, 4
	s_cmp_lt_u32 s33, 28
	s_mov_b32 s33, s20
	s_waitcnt lgkmcnt(1)
	v_cndmask_b32_e64 v7, v7, v27, s[6:7]
	s_waitcnt lgkmcnt(0)
	v_lshl_add_u32 v7, v28, 16, v7
	v_add_u32_e32 v10, v7, v10
	v_add_u32_e32 v11, v10, v11
	ds_write2_b32 v12, v7, v10 offset1:1
	v_add_u32_e32 v7, v11, v8
	v_add_u32_e32 v8, v7, v9
	;; [unrolled: 1-line block ×4, first 2 shown]
	ds_write2_b32 v12, v11, v7 offset0:2 offset1:3
	v_add_u32_e32 v6, v5, v6
	ds_write2_b32 v12, v8, v4 offset0:4 offset1:5
	ds_write2_b32 v12, v5, v6 offset0:6 offset1:7
	s_waitcnt lgkmcnt(0)
	s_barrier
	s_cbranch_scc0 .LBB4_1
.LBB4_4:                                ;   Parent Loop BB4_2 Depth=1
                                        ; =>  This Loop Header: Depth=2
                                        ;       Child Loop BB4_6 Depth 3
	s_mov_b32 s34, 0
	s_mov_b64 s[20:21], 0
	v_pk_mov_b32 v[4:5], v[0:1], v[0:1] op_sel:[0,1]
	s_branch .LBB4_6
.LBB4_5:                                ;   in Loop: Header=BB4_6 Depth=3
	s_or_b64 exec, exec, s[30:31]
	s_add_i32 s34, s34, 2
	v_cmp_eq_u32_e64 s[28:29], 8, s34
	v_add_u32_e32 v5, 0x100, v5
	s_or_b64 s[20:21], s[28:29], s[20:21]
	v_add_u32_e32 v4, 0x100, v4
	s_andn2_b64 exec, exec, s[20:21]
	s_cbranch_execz .LBB4_10
.LBB4_6:                                ;   Parent Loop BB4_2 Depth=1
                                        ;     Parent Loop BB4_4 Depth=2
                                        ; =>    This Inner Loop Header: Depth=3
	s_or_b32 s28, s34, 1
	v_cmp_le_u32_e64 s[28:29], s28, 7
	v_cmp_le_u32_e64 s[36:37], s34, 7
	s_and_saveexec_b64 s[30:31], s[36:37]
	s_cbranch_execz .LBB4_8
; %bb.7:                                ;   in Loop: Header=BB4_6 Depth=3
	v_lshlrev_b32_e32 v6, 2, v4
	ds_write_b32 v6, v3
.LBB4_8:                                ;   in Loop: Header=BB4_6 Depth=3
	s_or_b64 exec, exec, s[30:31]
	s_and_saveexec_b64 s[30:31], s[28:29]
	s_cbranch_execz .LBB4_5
; %bb.9:                                ;   in Loop: Header=BB4_6 Depth=3
	v_lshlrev_b32_e32 v6, 2, v5
	ds_write_b32 v6, v3
	s_branch .LBB4_5
.LBB4_10:                               ;   in Loop: Header=BB4_4 Depth=2
	s_or_b64 exec, exec, s[20:21]
	s_sub_i32 s20, 28, s33
	v_lshlrev_b32_e32 v4, s20, v15
	v_lshrrev_b32_e32 v5, 21, v4
	v_and_or_b32 v5, v5, s26, v0
	v_alignbit_b32 v4, v5, v4, 31
	v_lshlrev_b32_e32 v20, 1, v4
	ds_read_u16 v19, v20
	v_lshlrev_b32_e32 v4, s20, v16
	v_lshrrev_b32_e32 v5, 21, v4
	v_and_or_b32 v5, v5, s26, v0
	v_alignbit_b32 v4, v5, v4, 31
	s_waitcnt lgkmcnt(0)
	v_add_u16_e32 v5, 1, v19
	ds_write_b16 v20, v5
	v_lshlrev_b32_e32 v22, 1, v4
	ds_read_u16 v21, v22
	v_lshlrev_b32_e32 v4, s20, v17
	v_lshrrev_b32_e32 v5, 21, v4
	v_and_or_b32 v5, v5, s26, v0
	v_alignbit_b32 v4, v5, v4, 31
	s_waitcnt lgkmcnt(0)
	v_add_u16_e32 v6, 1, v21
	ds_write_b16 v22, v6
	;; [unrolled: 9-line block ×3, first 2 shown]
	v_lshlrev_b32_e32 v26, 1, v4
	ds_read_u16 v25, v26
	s_waitcnt lgkmcnt(0)
	v_add_u16_e32 v4, 1, v25
	ds_write_b16 v26, v4
	s_waitcnt lgkmcnt(0)
	s_barrier
	ds_read2_b32 v[10:11], v12 offset1:1
	ds_read2_b32 v[8:9], v12 offset0:2 offset1:3
	ds_read2_b32 v[4:5], v12 offset0:4 offset1:5
	;; [unrolled: 1-line block ×3, first 2 shown]
	s_waitcnt lgkmcnt(3)
	v_add_u32_e32 v27, v11, v10
	s_waitcnt lgkmcnt(2)
	v_add3_u32 v27, v27, v8, v9
	s_waitcnt lgkmcnt(1)
	v_add3_u32 v27, v27, v4, v5
	;; [unrolled: 2-line block ×3, first 2 shown]
	s_nop 1
	v_mov_b32_dpp v27, v7 row_shr:1 row_mask:0xf bank_mask:0xf
	v_cndmask_b32_e64 v27, v27, 0, s[8:9]
	v_add_u32_e32 v7, v27, v7
	s_nop 1
	v_mov_b32_dpp v27, v7 row_shr:2 row_mask:0xf bank_mask:0xf
	v_cndmask_b32_e64 v27, 0, v27, s[10:11]
	v_add_u32_e32 v7, v7, v27
	;; [unrolled: 4-line block ×4, first 2 shown]
	s_nop 1
	v_mov_b32_dpp v27, v7 row_bcast:15 row_mask:0xf bank_mask:0xf
	v_cndmask_b32_e64 v27, v27, 0, s[16:17]
	v_add_u32_e32 v7, v7, v27
	s_nop 1
	v_mov_b32_dpp v27, v7 row_bcast:31 row_mask:0xf bank_mask:0xf
	v_cndmask_b32_e64 v27, 0, v27, s[2:3]
	v_add_u32_e32 v7, v7, v27
	s_and_saveexec_b64 s[20:21], s[4:5]
	s_cbranch_execz .LBB4_12
; %bb.11:                               ;   in Loop: Header=BB4_4 Depth=2
	ds_write_b32 v13, v7 offset:4096
.LBB4_12:                               ;   in Loop: Header=BB4_4 Depth=2
	s_or_b64 exec, exec, s[20:21]
	s_waitcnt lgkmcnt(0)
	s_barrier
	s_and_saveexec_b64 s[20:21], vcc
	s_cbranch_execz .LBB4_14
; %bb.13:                               ;   in Loop: Header=BB4_4 Depth=2
	ds_read_b32 v27, v2 offset:4096
	s_waitcnt lgkmcnt(0)
	s_nop 0
	v_mov_b32_dpp v28, v27 row_shr:1 row_mask:0xf bank_mask:0xf
	v_cndmask_b32_e64 v28, v28, 0, s[18:19]
	v_add_u32_e32 v27, v28, v27
	ds_write_b32 v2, v27 offset:4096
.LBB4_14:                               ;   in Loop: Header=BB4_4 Depth=2
	s_or_b64 exec, exec, s[20:21]
	v_mov_b32_e32 v27, 0
	s_waitcnt lgkmcnt(0)
	s_barrier
	s_and_saveexec_b64 s[20:21], s[0:1]
	s_cbranch_execz .LBB4_3
; %bb.15:                               ;   in Loop: Header=BB4_4 Depth=2
	ds_read_b32 v27, v13 offset:4092
	s_branch .LBB4_3
.LBB4_16:
	ds_read_u16 v0, v20
	ds_read_u16 v1, v22
	;; [unrolled: 1-line block ×4, first 2 shown]
	s_add_u32 s0, s22, s24
	s_waitcnt lgkmcnt(3)
	v_add_u32_sdwa v4, v0, v19 dst_sel:DWORD dst_unused:UNUSED_PAD src0_sel:DWORD src1_sel:WORD_0
	s_waitcnt lgkmcnt(2)
	v_add_u32_sdwa v5, v1, v21 dst_sel:DWORD dst_unused:UNUSED_PAD src0_sel:DWORD src1_sel:WORD_0
	;; [unrolled: 2-line block ×4, first 2 shown]
	s_addc_u32 s1, s23, s25
	v_lshlrev_b32_e32 v0, 2, v2
	global_store_dwordx4 v0, v[4:7], s[0:1]
	s_endpgm
	.section	.rodata,"a",@progbits
	.p2align	6, 0x0
	.amdhsa_kernel _Z11rank_kernelIiLj4ELb0EL18RadixRankAlgorithm1ELj128ELj4ELj10EEvPKT_Pi
		.amdhsa_group_segment_fixed_size 4104
		.amdhsa_private_segment_fixed_size 0
		.amdhsa_kernarg_size 16
		.amdhsa_user_sgpr_count 6
		.amdhsa_user_sgpr_private_segment_buffer 1
		.amdhsa_user_sgpr_dispatch_ptr 0
		.amdhsa_user_sgpr_queue_ptr 0
		.amdhsa_user_sgpr_kernarg_segment_ptr 1
		.amdhsa_user_sgpr_dispatch_id 0
		.amdhsa_user_sgpr_flat_scratch_init 0
		.amdhsa_user_sgpr_kernarg_preload_length 0
		.amdhsa_user_sgpr_kernarg_preload_offset 0
		.amdhsa_user_sgpr_private_segment_size 0
		.amdhsa_uses_dynamic_stack 0
		.amdhsa_system_sgpr_private_segment_wavefront_offset 0
		.amdhsa_system_sgpr_workgroup_id_x 1
		.amdhsa_system_sgpr_workgroup_id_y 0
		.amdhsa_system_sgpr_workgroup_id_z 0
		.amdhsa_system_sgpr_workgroup_info 0
		.amdhsa_system_vgpr_workitem_id 0
		.amdhsa_next_free_vgpr 29
		.amdhsa_next_free_sgpr 38
		.amdhsa_accum_offset 32
		.amdhsa_reserve_vcc 1
		.amdhsa_reserve_flat_scratch 0
		.amdhsa_float_round_mode_32 0
		.amdhsa_float_round_mode_16_64 0
		.amdhsa_float_denorm_mode_32 3
		.amdhsa_float_denorm_mode_16_64 3
		.amdhsa_dx10_clamp 1
		.amdhsa_ieee_mode 1
		.amdhsa_fp16_overflow 0
		.amdhsa_tg_split 0
		.amdhsa_exception_fp_ieee_invalid_op 0
		.amdhsa_exception_fp_denorm_src 0
		.amdhsa_exception_fp_ieee_div_zero 0
		.amdhsa_exception_fp_ieee_overflow 0
		.amdhsa_exception_fp_ieee_underflow 0
		.amdhsa_exception_fp_ieee_inexact 0
		.amdhsa_exception_int_div_zero 0
	.end_amdhsa_kernel
	.section	.text._Z11rank_kernelIiLj4ELb0EL18RadixRankAlgorithm1ELj128ELj4ELj10EEvPKT_Pi,"axG",@progbits,_Z11rank_kernelIiLj4ELb0EL18RadixRankAlgorithm1ELj128ELj4ELj10EEvPKT_Pi,comdat
.Lfunc_end4:
	.size	_Z11rank_kernelIiLj4ELb0EL18RadixRankAlgorithm1ELj128ELj4ELj10EEvPKT_Pi, .Lfunc_end4-_Z11rank_kernelIiLj4ELb0EL18RadixRankAlgorithm1ELj128ELj4ELj10EEvPKT_Pi
                                        ; -- End function
	.section	.AMDGPU.csdata,"",@progbits
; Kernel info:
; codeLenInByte = 1212
; NumSgprs: 42
; NumVgprs: 29
; NumAgprs: 0
; TotalNumVgprs: 29
; ScratchSize: 0
; MemoryBound: 0
; FloatMode: 240
; IeeeMode: 1
; LDSByteSize: 4104 bytes/workgroup (compile time only)
; SGPRBlocks: 5
; VGPRBlocks: 3
; NumSGPRsForWavesPerEU: 42
; NumVGPRsForWavesPerEU: 29
; AccumOffset: 32
; Occupancy: 8
; WaveLimiterHint : 0
; COMPUTE_PGM_RSRC2:SCRATCH_EN: 0
; COMPUTE_PGM_RSRC2:USER_SGPR: 6
; COMPUTE_PGM_RSRC2:TRAP_HANDLER: 0
; COMPUTE_PGM_RSRC2:TGID_X_EN: 1
; COMPUTE_PGM_RSRC2:TGID_Y_EN: 0
; COMPUTE_PGM_RSRC2:TGID_Z_EN: 0
; COMPUTE_PGM_RSRC2:TIDIG_COMP_CNT: 0
; COMPUTE_PGM_RSRC3_GFX90A:ACCUM_OFFSET: 7
; COMPUTE_PGM_RSRC3_GFX90A:TG_SPLIT: 0
	.section	.text._Z11rank_kernelIiLj4ELb0EL18RadixRankAlgorithm2ELj128ELj4ELj10EEvPKT_Pi,"axG",@progbits,_Z11rank_kernelIiLj4ELb0EL18RadixRankAlgorithm2ELj128ELj4ELj10EEvPKT_Pi,comdat
	.protected	_Z11rank_kernelIiLj4ELb0EL18RadixRankAlgorithm2ELj128ELj4ELj10EEvPKT_Pi ; -- Begin function _Z11rank_kernelIiLj4ELb0EL18RadixRankAlgorithm2ELj128ELj4ELj10EEvPKT_Pi
	.globl	_Z11rank_kernelIiLj4ELb0EL18RadixRankAlgorithm2ELj128ELj4ELj10EEvPKT_Pi
	.p2align	8
	.type	_Z11rank_kernelIiLj4ELb0EL18RadixRankAlgorithm2ELj128ELj4ELj10EEvPKT_Pi,@function
_Z11rank_kernelIiLj4ELb0EL18RadixRankAlgorithm2ELj128ELj4ELj10EEvPKT_Pi: ; @_Z11rank_kernelIiLj4ELb0EL18RadixRankAlgorithm2ELj128ELj4ELj10EEvPKT_Pi
; %bb.0:
	s_load_dwordx4 s[24:27], s[4:5], 0x0
	s_load_dword s20, s[4:5], 0x1c
	s_lshl_b32 s30, s6, 9
	s_mov_b32 s31, 0
	s_lshl_b64 s[28:29], s[30:31], 2
	s_waitcnt lgkmcnt(0)
	s_add_u32 s0, s24, s28
	v_and_b32_e32 v4, 0x3ff, v0
	s_addc_u32 s1, s25, s29
	v_lshlrev_b32_e32 v1, 4, v4
	global_load_dwordx4 v[8:11], v1, s[0:1]
	v_mbcnt_lo_u32_b32 v1, -1, 0
	v_mbcnt_hi_u32_b32 v1, -1, v1
	v_bfe_u32 v3, v0, 10, 10
	v_bfe_u32 v5, v0, 20, 10
	v_add_u32_e32 v13, -1, v1
	v_and_b32_e32 v14, 64, v1
	s_lshr_b32 s21, s20, 16
	v_and_b32_e32 v6, 15, v1
	v_or_b32_e32 v12, 63, v4
	v_lshrrev_b32_e32 v15, 4, v4
	v_cmp_lt_i32_e64 s[18:19], v13, v14
	s_and_b32 s20, s20, 0xffff
	v_mad_u32_u24 v3, v5, s21, v3
	v_lshlrev_b32_e32 v0, 2, v4
	v_and_b32_e32 v7, 16, v1
	v_cmp_lt_u32_e32 vcc, 31, v1
	v_cmp_gt_u32_e64 s[0:1], 2, v4
	v_cmp_lt_u32_e64 s[2:3], 63, v4
	v_cmp_eq_u32_e64 s[4:5], 0, v1
	v_and_b32_e32 v16, 1, v1
	v_cmp_eq_u32_e64 s[6:7], 0, v6
	v_cmp_lt_u32_e64 s[8:9], 1, v6
	v_cmp_lt_u32_e64 s[10:11], 3, v6
	;; [unrolled: 1-line block ×3, first 2 shown]
	v_cmp_eq_u32_e64 s[16:17], v12, v4
	v_cndmask_b32_e64 v6, v13, v1, s[18:19]
	v_and_b32_e32 v1, 4, v15
	v_mad_u64_u32 v[4:5], s[20:21], v3, s20, v[4:5]
	v_mov_b32_e32 v2, 0
	v_cmp_eq_u32_e64 s[14:15], 0, v7
	v_cmp_eq_u32_e64 s[18:19], 0, v16
	v_lshlrev_b32_e32 v6, 2, v6
	v_lshrrev_b32_e32 v7, 6, v4
	v_add_u32_e32 v12, -4, v1
	s_waitcnt vmcnt(0)
	v_xor_b32_e32 v8, 0x80000000, v8
	v_xor_b32_e32 v9, 0x80000000, v9
	;; [unrolled: 1-line block ×4, first 2 shown]
	s_branch .LBB5_2
.LBB5_1:                                ;   in Loop: Header=BB5_2 Depth=1
	s_add_i32 s31, s31, 1
	s_cmp_eq_u32 s31, 10
	s_cbranch_scc1 .LBB5_18
.LBB5_2:                                ; =>This Loop Header: Depth=1
                                        ;     Child Loop BB5_4 Depth 2
	s_mov_b32 s24, -4
	s_mov_b32 s25, 28
	s_branch .LBB5_4
.LBB5_3:                                ;   in Loop: Header=BB5_4 Depth=2
	s_or_b64 exec, exec, s[20:21]
	s_waitcnt lgkmcnt(0)
	v_add_u32_e32 v4, v5, v4
	ds_bpermute_b32 v4, v6, v4
	s_add_i32 s25, s25, -4
	s_add_i32 s24, s24, 4
	s_cmp_lt_u32 s24, 28
	s_waitcnt lgkmcnt(0)
	v_cndmask_b32_e64 v4, v4, v5, s[4:5]
	ds_write_b32 v0, v4 offset:8
	s_waitcnt lgkmcnt(0)
	s_barrier
	s_cbranch_scc0 .LBB5_1
.LBB5_4:                                ;   Parent Loop BB5_2 Depth=1
                                        ; =>  This Inner Loop Header: Depth=2
	v_lshlrev_b32_e32 v4, s25, v8
	v_lshrrev_b32_e32 v5, 28, v4
	v_mad_u32_u24 v3, v5, 3, v7
	v_lshl_add_u32 v13, v3, 2, 8
	v_bfe_u32 v3, v4, 28, 1
	v_add_co_u32_e64 v14, s[20:21], -1, v3
	v_addc_co_u32_e64 v15, s[20:21], 0, -1, s[20:21]
	v_cmp_ne_u32_e64 s[20:21], 0, v3
	v_xor_b32_e32 v3, s21, v15
	v_and_b32_e32 v15, exec_hi, v3
	v_lshlrev_b32_e32 v3, 30, v5
	v_xor_b32_e32 v14, s20, v14
	v_cmp_gt_i64_e64 s[20:21], 0, v[2:3]
	v_not_b32_e32 v3, v3
	v_ashrrev_i32_e32 v3, 31, v3
	v_and_b32_e32 v14, exec_lo, v14
	v_xor_b32_e32 v16, s21, v3
	v_xor_b32_e32 v3, s20, v3
	v_and_b32_e32 v14, v14, v3
	v_lshlrev_b32_e32 v3, 29, v5
	v_cmp_gt_i64_e64 s[20:21], 0, v[2:3]
	v_not_b32_e32 v3, v3
	v_ashrrev_i32_e32 v3, 31, v3
	v_xor_b32_e32 v5, s21, v3
	v_xor_b32_e32 v3, s20, v3
	v_and_b32_e32 v14, v14, v3
	v_and_b32_e32 v3, 0xf0000000, v4
	v_cmp_gt_i64_e64 s[20:21], 0, v[2:3]
	v_not_b32_e32 v3, v3
	v_and_b32_e32 v15, v15, v16
	v_ashrrev_i32_e32 v3, 31, v3
	v_and_b32_e32 v5, v15, v5
	v_xor_b32_e32 v4, s21, v3
	v_xor_b32_e32 v3, s20, v3
	v_and_b32_e32 v5, v5, v4
	v_and_b32_e32 v4, v14, v3
	v_mbcnt_lo_u32_b32 v3, v4, 0
	v_mbcnt_hi_u32_b32 v14, v5, v3
	v_cmp_eq_u32_e64 s[20:21], 0, v14
	v_cmp_ne_u64_e64 s[22:23], 0, v[4:5]
	s_and_b64 s[22:23], s[22:23], s[20:21]
	ds_write_b32 v0, v2 offset:8
	s_waitcnt lgkmcnt(0)
	s_barrier
	s_waitcnt lgkmcnt(0)
	; wave barrier
	s_and_saveexec_b64 s[20:21], s[22:23]
	s_cbranch_execz .LBB5_6
; %bb.5:                                ;   in Loop: Header=BB5_4 Depth=2
	v_bcnt_u32_b32 v3, v4, 0
	v_bcnt_u32_b32 v3, v5, v3
	ds_write_b32 v13, v3
.LBB5_6:                                ;   in Loop: Header=BB5_4 Depth=2
	s_or_b64 exec, exec, s[20:21]
	v_lshlrev_b32_e32 v4, s25, v9
	v_lshrrev_b32_e32 v5, 28, v4
	v_mul_u32_u24_e32 v3, 3, v5
	v_add_lshl_u32 v3, v7, v3, 2
	; wave barrier
	v_add_u32_e32 v16, 8, v3
	ds_read_b32 v15, v3 offset:8
	v_bfe_u32 v3, v4, 28, 1
	v_add_co_u32_e64 v17, s[20:21], -1, v3
	v_addc_co_u32_e64 v18, s[20:21], 0, -1, s[20:21]
	v_cmp_ne_u32_e64 s[20:21], 0, v3
	v_xor_b32_e32 v3, s21, v18
	v_and_b32_e32 v18, exec_hi, v3
	v_lshlrev_b32_e32 v3, 30, v5
	v_xor_b32_e32 v17, s20, v17
	v_cmp_gt_i64_e64 s[20:21], 0, v[2:3]
	v_not_b32_e32 v3, v3
	v_ashrrev_i32_e32 v3, 31, v3
	v_and_b32_e32 v17, exec_lo, v17
	v_xor_b32_e32 v19, s21, v3
	v_xor_b32_e32 v3, s20, v3
	v_and_b32_e32 v17, v17, v3
	v_lshlrev_b32_e32 v3, 29, v5
	v_cmp_gt_i64_e64 s[20:21], 0, v[2:3]
	v_not_b32_e32 v3, v3
	v_ashrrev_i32_e32 v3, 31, v3
	v_xor_b32_e32 v5, s21, v3
	v_xor_b32_e32 v3, s20, v3
	v_and_b32_e32 v17, v17, v3
	v_and_b32_e32 v3, 0xf0000000, v4
	v_cmp_gt_i64_e64 s[20:21], 0, v[2:3]
	v_not_b32_e32 v3, v3
	v_and_b32_e32 v18, v18, v19
	v_ashrrev_i32_e32 v3, 31, v3
	v_and_b32_e32 v5, v18, v5
	v_xor_b32_e32 v4, s21, v3
	v_xor_b32_e32 v3, s20, v3
	v_and_b32_e32 v5, v5, v4
	v_and_b32_e32 v4, v17, v3
	v_mbcnt_lo_u32_b32 v3, v4, 0
	v_mbcnt_hi_u32_b32 v17, v5, v3
	v_cmp_eq_u32_e64 s[20:21], 0, v17
	v_cmp_ne_u64_e64 s[22:23], 0, v[4:5]
	s_and_b64 s[22:23], s[22:23], s[20:21]
	; wave barrier
	s_and_saveexec_b64 s[20:21], s[22:23]
	s_cbranch_execz .LBB5_8
; %bb.7:                                ;   in Loop: Header=BB5_4 Depth=2
	v_bcnt_u32_b32 v3, v4, 0
	v_bcnt_u32_b32 v3, v5, v3
	s_waitcnt lgkmcnt(0)
	v_add_u32_e32 v3, v15, v3
	ds_write_b32 v16, v3
.LBB5_8:                                ;   in Loop: Header=BB5_4 Depth=2
	s_or_b64 exec, exec, s[20:21]
	v_lshlrev_b32_e32 v4, s25, v10
	v_lshrrev_b32_e32 v5, 28, v4
	v_mul_u32_u24_e32 v3, 3, v5
	v_add_lshl_u32 v3, v7, v3, 2
	; wave barrier
	v_add_u32_e32 v19, 8, v3
	ds_read_b32 v18, v3 offset:8
	v_bfe_u32 v3, v4, 28, 1
	v_add_co_u32_e64 v20, s[20:21], -1, v3
	v_addc_co_u32_e64 v21, s[20:21], 0, -1, s[20:21]
	v_cmp_ne_u32_e64 s[20:21], 0, v3
	v_xor_b32_e32 v3, s21, v21
	v_and_b32_e32 v21, exec_hi, v3
	v_lshlrev_b32_e32 v3, 30, v5
	v_xor_b32_e32 v20, s20, v20
	v_cmp_gt_i64_e64 s[20:21], 0, v[2:3]
	v_not_b32_e32 v3, v3
	v_ashrrev_i32_e32 v3, 31, v3
	v_and_b32_e32 v20, exec_lo, v20
	v_xor_b32_e32 v22, s21, v3
	v_xor_b32_e32 v3, s20, v3
	v_and_b32_e32 v20, v20, v3
	v_lshlrev_b32_e32 v3, 29, v5
	v_cmp_gt_i64_e64 s[20:21], 0, v[2:3]
	v_not_b32_e32 v3, v3
	v_ashrrev_i32_e32 v3, 31, v3
	v_xor_b32_e32 v5, s21, v3
	v_xor_b32_e32 v3, s20, v3
	v_and_b32_e32 v20, v20, v3
	v_and_b32_e32 v3, 0xf0000000, v4
	v_cmp_gt_i64_e64 s[20:21], 0, v[2:3]
	v_not_b32_e32 v3, v3
	v_and_b32_e32 v21, v21, v22
	v_ashrrev_i32_e32 v3, 31, v3
	v_and_b32_e32 v5, v21, v5
	v_xor_b32_e32 v4, s21, v3
	v_xor_b32_e32 v3, s20, v3
	v_and_b32_e32 v5, v5, v4
	v_and_b32_e32 v4, v20, v3
	v_mbcnt_lo_u32_b32 v3, v4, 0
	v_mbcnt_hi_u32_b32 v20, v5, v3
	v_cmp_eq_u32_e64 s[20:21], 0, v20
	v_cmp_ne_u64_e64 s[22:23], 0, v[4:5]
	s_and_b64 s[22:23], s[22:23], s[20:21]
	; wave barrier
	s_and_saveexec_b64 s[20:21], s[22:23]
	s_cbranch_execz .LBB5_10
; %bb.9:                                ;   in Loop: Header=BB5_4 Depth=2
	v_bcnt_u32_b32 v3, v4, 0
	v_bcnt_u32_b32 v3, v5, v3
	s_waitcnt lgkmcnt(0)
	v_add_u32_e32 v3, v18, v3
	ds_write_b32 v19, v3
.LBB5_10:                               ;   in Loop: Header=BB5_4 Depth=2
	s_or_b64 exec, exec, s[20:21]
	v_lshlrev_b32_e32 v4, s25, v11
	v_lshrrev_b32_e32 v5, 28, v4
	v_mul_u32_u24_e32 v3, 3, v5
	v_add_lshl_u32 v3, v7, v3, 2
	; wave barrier
	v_add_u32_e32 v22, 8, v3
	ds_read_b32 v21, v3 offset:8
	v_bfe_u32 v3, v4, 28, 1
	v_add_co_u32_e64 v23, s[20:21], -1, v3
	v_addc_co_u32_e64 v24, s[20:21], 0, -1, s[20:21]
	v_cmp_ne_u32_e64 s[20:21], 0, v3
	v_xor_b32_e32 v3, s21, v24
	v_and_b32_e32 v24, exec_hi, v3
	v_lshlrev_b32_e32 v3, 30, v5
	v_xor_b32_e32 v23, s20, v23
	v_cmp_gt_i64_e64 s[20:21], 0, v[2:3]
	v_not_b32_e32 v3, v3
	v_ashrrev_i32_e32 v3, 31, v3
	v_and_b32_e32 v23, exec_lo, v23
	v_xor_b32_e32 v25, s21, v3
	v_xor_b32_e32 v3, s20, v3
	v_and_b32_e32 v23, v23, v3
	v_lshlrev_b32_e32 v3, 29, v5
	v_cmp_gt_i64_e64 s[20:21], 0, v[2:3]
	v_not_b32_e32 v3, v3
	v_ashrrev_i32_e32 v3, 31, v3
	v_xor_b32_e32 v5, s21, v3
	v_xor_b32_e32 v3, s20, v3
	v_and_b32_e32 v23, v23, v3
	v_and_b32_e32 v3, 0xf0000000, v4
	v_cmp_gt_i64_e64 s[20:21], 0, v[2:3]
	v_not_b32_e32 v3, v3
	v_and_b32_e32 v24, v24, v25
	v_ashrrev_i32_e32 v3, 31, v3
	v_and_b32_e32 v5, v24, v5
	v_xor_b32_e32 v4, s21, v3
	v_xor_b32_e32 v3, s20, v3
	v_and_b32_e32 v5, v5, v4
	v_and_b32_e32 v4, v23, v3
	v_mbcnt_lo_u32_b32 v3, v4, 0
	v_mbcnt_hi_u32_b32 v3, v5, v3
	v_cmp_eq_u32_e64 s[20:21], 0, v3
	v_cmp_ne_u64_e64 s[22:23], 0, v[4:5]
	s_and_b64 s[22:23], s[22:23], s[20:21]
	; wave barrier
	s_and_saveexec_b64 s[20:21], s[22:23]
	s_cbranch_execz .LBB5_12
; %bb.11:                               ;   in Loop: Header=BB5_4 Depth=2
	v_bcnt_u32_b32 v4, v4, 0
	v_bcnt_u32_b32 v4, v5, v4
	s_waitcnt lgkmcnt(0)
	v_add_u32_e32 v4, v21, v4
	ds_write_b32 v22, v4
.LBB5_12:                               ;   in Loop: Header=BB5_4 Depth=2
	s_or_b64 exec, exec, s[20:21]
	; wave barrier
	s_waitcnt lgkmcnt(0)
	s_barrier
	ds_read_b32 v4, v0 offset:8
	s_waitcnt lgkmcnt(0)
	s_nop 0
	v_mov_b32_dpp v5, v4 row_shr:1 row_mask:0xf bank_mask:0xf
	v_cndmask_b32_e64 v5, v5, 0, s[6:7]
	v_add_u32_e32 v4, v5, v4
	s_nop 1
	v_mov_b32_dpp v5, v4 row_shr:2 row_mask:0xf bank_mask:0xf
	v_cndmask_b32_e64 v5, 0, v5, s[8:9]
	v_add_u32_e32 v4, v4, v5
	;; [unrolled: 4-line block ×4, first 2 shown]
	s_nop 1
	v_mov_b32_dpp v5, v4 row_bcast:15 row_mask:0xf bank_mask:0xf
	v_cndmask_b32_e64 v5, v5, 0, s[14:15]
	v_add_u32_e32 v4, v4, v5
	s_nop 1
	v_mov_b32_dpp v5, v4 row_bcast:31 row_mask:0xf bank_mask:0xf
	v_cndmask_b32_e32 v5, 0, v5, vcc
	v_add_u32_e32 v4, v4, v5
	s_and_saveexec_b64 s[20:21], s[16:17]
	s_xor_b64 s[20:21], exec, s[20:21]
	s_cbranch_execz .LBB5_14
; %bb.13:                               ;   in Loop: Header=BB5_4 Depth=2
	ds_write_b32 v1, v4
.LBB5_14:                               ;   in Loop: Header=BB5_4 Depth=2
	s_or_b64 exec, exec, s[20:21]
	s_waitcnt lgkmcnt(0)
	s_barrier
	s_and_saveexec_b64 s[20:21], s[0:1]
	s_cbranch_execz .LBB5_16
; %bb.15:                               ;   in Loop: Header=BB5_4 Depth=2
	ds_read_b32 v5, v0
	s_waitcnt lgkmcnt(0)
	s_nop 0
	v_mov_b32_dpp v23, v5 row_shr:1 row_mask:0xf bank_mask:0xf
	v_cndmask_b32_e64 v23, v23, 0, s[18:19]
	v_add_u32_e32 v5, v23, v5
	ds_write_b32 v0, v5
.LBB5_16:                               ;   in Loop: Header=BB5_4 Depth=2
	s_or_b64 exec, exec, s[20:21]
	v_mov_b32_e32 v5, 0
	s_waitcnt lgkmcnt(0)
	s_barrier
	s_and_saveexec_b64 s[20:21], s[2:3]
	s_cbranch_execz .LBB5_3
; %bb.17:                               ;   in Loop: Header=BB5_4 Depth=2
	ds_read_b32 v5, v12
	s_branch .LBB5_3
.LBB5_18:
	ds_read_b32 v2, v22
	ds_read_b32 v4, v19
	;; [unrolled: 1-line block ×4, first 2 shown]
	s_add_u32 s0, s26, s28
	s_addc_u32 s1, s27, s29
	v_lshlrev_b32_e32 v6, 2, v0
	s_waitcnt lgkmcnt(1)
	v_add3_u32 v1, v17, v15, v1
	s_waitcnt lgkmcnt(0)
	v_add_u32_e32 v0, v5, v14
	v_add3_u32 v3, v3, v21, v2
	v_add3_u32 v2, v20, v18, v4
	global_store_dwordx4 v6, v[0:3], s[0:1]
	s_endpgm
	.section	.rodata,"a",@progbits
	.p2align	6, 0x0
	.amdhsa_kernel _Z11rank_kernelIiLj4ELb0EL18RadixRankAlgorithm2ELj128ELj4ELj10EEvPKT_Pi
		.amdhsa_group_segment_fixed_size 520
		.amdhsa_private_segment_fixed_size 0
		.amdhsa_kernarg_size 272
		.amdhsa_user_sgpr_count 6
		.amdhsa_user_sgpr_private_segment_buffer 1
		.amdhsa_user_sgpr_dispatch_ptr 0
		.amdhsa_user_sgpr_queue_ptr 0
		.amdhsa_user_sgpr_kernarg_segment_ptr 1
		.amdhsa_user_sgpr_dispatch_id 0
		.amdhsa_user_sgpr_flat_scratch_init 0
		.amdhsa_user_sgpr_kernarg_preload_length 0
		.amdhsa_user_sgpr_kernarg_preload_offset 0
		.amdhsa_user_sgpr_private_segment_size 0
		.amdhsa_uses_dynamic_stack 0
		.amdhsa_system_sgpr_private_segment_wavefront_offset 0
		.amdhsa_system_sgpr_workgroup_id_x 1
		.amdhsa_system_sgpr_workgroup_id_y 0
		.amdhsa_system_sgpr_workgroup_id_z 0
		.amdhsa_system_sgpr_workgroup_info 0
		.amdhsa_system_vgpr_workitem_id 2
		.amdhsa_next_free_vgpr 26
		.amdhsa_next_free_sgpr 32
		.amdhsa_accum_offset 28
		.amdhsa_reserve_vcc 1
		.amdhsa_reserve_flat_scratch 0
		.amdhsa_float_round_mode_32 0
		.amdhsa_float_round_mode_16_64 0
		.amdhsa_float_denorm_mode_32 3
		.amdhsa_float_denorm_mode_16_64 3
		.amdhsa_dx10_clamp 1
		.amdhsa_ieee_mode 1
		.amdhsa_fp16_overflow 0
		.amdhsa_tg_split 0
		.amdhsa_exception_fp_ieee_invalid_op 0
		.amdhsa_exception_fp_denorm_src 0
		.amdhsa_exception_fp_ieee_div_zero 0
		.amdhsa_exception_fp_ieee_overflow 0
		.amdhsa_exception_fp_ieee_underflow 0
		.amdhsa_exception_fp_ieee_inexact 0
		.amdhsa_exception_int_div_zero 0
	.end_amdhsa_kernel
	.section	.text._Z11rank_kernelIiLj4ELb0EL18RadixRankAlgorithm2ELj128ELj4ELj10EEvPKT_Pi,"axG",@progbits,_Z11rank_kernelIiLj4ELb0EL18RadixRankAlgorithm2ELj128ELj4ELj10EEvPKT_Pi,comdat
.Lfunc_end5:
	.size	_Z11rank_kernelIiLj4ELb0EL18RadixRankAlgorithm2ELj128ELj4ELj10EEvPKT_Pi, .Lfunc_end5-_Z11rank_kernelIiLj4ELb0EL18RadixRankAlgorithm2ELj128ELj4ELj10EEvPKT_Pi
                                        ; -- End function
	.section	.AMDGPU.csdata,"",@progbits
; Kernel info:
; codeLenInByte = 1864
; NumSgprs: 36
; NumVgprs: 26
; NumAgprs: 0
; TotalNumVgprs: 26
; ScratchSize: 0
; MemoryBound: 0
; FloatMode: 240
; IeeeMode: 1
; LDSByteSize: 520 bytes/workgroup (compile time only)
; SGPRBlocks: 4
; VGPRBlocks: 3
; NumSGPRsForWavesPerEU: 36
; NumVGPRsForWavesPerEU: 26
; AccumOffset: 28
; Occupancy: 8
; WaveLimiterHint : 0
; COMPUTE_PGM_RSRC2:SCRATCH_EN: 0
; COMPUTE_PGM_RSRC2:USER_SGPR: 6
; COMPUTE_PGM_RSRC2:TRAP_HANDLER: 0
; COMPUTE_PGM_RSRC2:TGID_X_EN: 1
; COMPUTE_PGM_RSRC2:TGID_Y_EN: 0
; COMPUTE_PGM_RSRC2:TGID_Z_EN: 0
; COMPUTE_PGM_RSRC2:TIDIG_COMP_CNT: 2
; COMPUTE_PGM_RSRC3_GFX90A:ACCUM_OFFSET: 6
; COMPUTE_PGM_RSRC3_GFX90A:TG_SPLIT: 0
	.section	.text._Z11rank_kernelIiLj4ELb0EL18RadixRankAlgorithm0ELj128ELj8ELj10EEvPKT_Pi,"axG",@progbits,_Z11rank_kernelIiLj4ELb0EL18RadixRankAlgorithm0ELj128ELj8ELj10EEvPKT_Pi,comdat
	.protected	_Z11rank_kernelIiLj4ELb0EL18RadixRankAlgorithm0ELj128ELj8ELj10EEvPKT_Pi ; -- Begin function _Z11rank_kernelIiLj4ELb0EL18RadixRankAlgorithm0ELj128ELj8ELj10EEvPKT_Pi
	.globl	_Z11rank_kernelIiLj4ELb0EL18RadixRankAlgorithm0ELj128ELj8ELj10EEvPKT_Pi
	.p2align	8
	.type	_Z11rank_kernelIiLj4ELb0EL18RadixRankAlgorithm0ELj128ELj8ELj10EEvPKT_Pi,@function
_Z11rank_kernelIiLj4ELb0EL18RadixRankAlgorithm0ELj128ELj8ELj10EEvPKT_Pi: ; @_Z11rank_kernelIiLj4ELb0EL18RadixRankAlgorithm0ELj128ELj8ELj10EEvPKT_Pi
; %bb.0:
	s_load_dwordx4 s[20:23], s[4:5], 0x0
	s_lshl_b32 s26, s6, 10
	s_mov_b32 s27, 0
	s_lshl_b64 s[24:25], s[26:27], 2
	v_lshlrev_b32_e32 v3, 5, v0
	s_waitcnt lgkmcnt(0)
	s_add_u32 s0, s20, s24
	s_addc_u32 s1, s21, s25
	global_load_dwordx4 v[10:13], v3, s[0:1]
	global_load_dwordx4 v[14:17], v3, s[0:1] offset:16
	v_mbcnt_lo_u32_b32 v1, -1, 0
	v_mbcnt_hi_u32_b32 v4, -1, v1
	v_or_b32_e32 v5, 63, v0
	v_cmp_eq_u32_e64 s[4:5], v5, v0
	v_add_u32_e32 v5, -1, v4
	v_and_b32_e32 v19, 64, v4
	v_cmp_lt_i32_e64 s[18:19], v5, v19
	v_lshrrev_b32_e32 v8, 4, v0
	v_and_b32_e32 v9, 15, v4
	v_and_b32_e32 v18, 16, v4
	v_cmp_lt_u32_e64 s[2:3], 31, v4
	v_cmp_eq_u32_e64 s[6:7], 0, v4
	v_and_b32_e32 v20, 1, v4
	v_cndmask_b32_e64 v4, v5, v4, s[18:19]
	v_mov_b32_e32 v6, 0
	v_lshlrev_b32_e32 v2, 3, v0
	v_cmp_gt_u32_e32 vcc, 2, v0
	v_cmp_lt_u32_e64 s[0:1], 63, v0
	v_lshlrev_b32_e32 v7, 2, v0
	v_or_b32_e32 v1, 0x80, v0
	v_and_b32_e32 v8, 4, v8
	v_cmp_eq_u32_e64 s[8:9], 0, v9
	v_cmp_lt_u32_e64 s[10:11], 1, v9
	v_cmp_lt_u32_e64 s[12:13], 3, v9
	;; [unrolled: 1-line block ×3, first 2 shown]
	v_cmp_eq_u32_e64 s[16:17], 0, v18
	v_cmp_eq_u32_e64 s[18:19], 0, v20
	v_lshlrev_b32_e32 v9, 2, v4
	s_movk_i32 s26, 0x380
	s_waitcnt vmcnt(1)
	v_xor_b32_e32 v10, 0x80000000, v10
	v_xor_b32_e32 v11, 0x80000000, v11
	;; [unrolled: 1-line block ×4, first 2 shown]
	s_waitcnt vmcnt(0)
	v_xor_b32_e32 v14, 0x80000000, v14
	v_xor_b32_e32 v15, 0x80000000, v15
	;; [unrolled: 1-line block ×4, first 2 shown]
	s_branch .LBB6_2
.LBB6_1:                                ;   in Loop: Header=BB6_2 Depth=1
	s_add_i32 s27, s27, 1
	s_cmp_eq_u32 s27, 10
	s_cbranch_scc1 .LBB6_16
.LBB6_2:                                ; =>This Loop Header: Depth=1
                                        ;     Child Loop BB6_4 Depth 2
                                        ;       Child Loop BB6_6 Depth 3
	s_mov_b32 s33, 0
	s_branch .LBB6_4
.LBB6_3:                                ;   in Loop: Header=BB6_4 Depth=2
	s_or_b64 exec, exec, s[20:21]
	s_waitcnt lgkmcnt(0)
	v_add_u32_e32 v32, v33, v32
	ds_bpermute_b32 v32, v9, v32
	ds_read_b32 v34, v6 offset:4100
	s_add_i32 s20, s33, 4
	s_cmp_lt_u32 s33, 28
	s_mov_b32 s33, s20
	s_waitcnt lgkmcnt(1)
	v_cndmask_b32_e64 v35, v32, v33, s[6:7]
	ds_read2_b32 v[32:33], v3 offset1:1
	s_waitcnt lgkmcnt(1)
	v_lshl_add_u32 v38, v34, 16, v35
	ds_read2_b32 v[34:35], v3 offset0:2 offset1:3
	ds_read2_b32 v[36:37], v3 offset0:4 offset1:5
	ds_read_b32 v39, v3 offset:24
	s_waitcnt lgkmcnt(3)
	v_add_u32_e32 v32, v38, v32
	ds_write2_b32 v3, v38, v32 offset1:1
	v_add_u32_e32 v32, v33, v32
	s_waitcnt lgkmcnt(3)
	v_add_u32_e32 v33, v34, v32
	ds_write2_b32 v3, v32, v33 offset0:2 offset1:3
	v_add_u32_e32 v32, v35, v33
	s_waitcnt lgkmcnt(3)
	v_add_u32_e32 v33, v36, v32
	ds_write2_b32 v3, v32, v33 offset0:4 offset1:5
	;; [unrolled: 4-line block ×3, first 2 shown]
	s_waitcnt lgkmcnt(0)
	s_barrier
	s_cbranch_scc0 .LBB6_1
.LBB6_4:                                ;   Parent Loop BB6_2 Depth=1
                                        ; =>  This Loop Header: Depth=2
                                        ;       Child Loop BB6_6 Depth 3
	s_mov_b32 s34, 0
	s_mov_b64 s[20:21], 0
	v_pk_mov_b32 v[4:5], v[0:1], v[0:1] op_sel:[0,1]
	s_branch .LBB6_6
.LBB6_5:                                ;   in Loop: Header=BB6_6 Depth=3
	s_or_b64 exec, exec, s[30:31]
	s_add_i32 s34, s34, 2
	v_cmp_eq_u32_e64 s[28:29], 8, s34
	v_add_u32_e32 v5, 0x100, v5
	s_or_b64 s[20:21], s[28:29], s[20:21]
	v_add_u32_e32 v4, 0x100, v4
	s_andn2_b64 exec, exec, s[20:21]
	s_cbranch_execz .LBB6_10
.LBB6_6:                                ;   Parent Loop BB6_2 Depth=1
                                        ;     Parent Loop BB6_4 Depth=2
                                        ; =>    This Inner Loop Header: Depth=3
	s_or_b32 s28, s34, 1
	v_cmp_le_u32_e64 s[28:29], s28, 7
	v_cmp_le_u32_e64 s[36:37], s34, 7
	s_and_saveexec_b64 s[30:31], s[36:37]
	s_cbranch_execz .LBB6_8
; %bb.7:                                ;   in Loop: Header=BB6_6 Depth=3
	v_lshlrev_b32_e32 v18, 2, v4
	ds_write_b32 v18, v6
.LBB6_8:                                ;   in Loop: Header=BB6_6 Depth=3
	s_or_b64 exec, exec, s[30:31]
	s_and_saveexec_b64 s[30:31], s[28:29]
	s_cbranch_execz .LBB6_5
; %bb.9:                                ;   in Loop: Header=BB6_6 Depth=3
	v_lshlrev_b32_e32 v18, 2, v5
	ds_write_b32 v18, v6
	s_branch .LBB6_5
.LBB6_10:                               ;   in Loop: Header=BB6_4 Depth=2
	s_or_b64 exec, exec, s[20:21]
	s_sub_i32 s20, 28, s33
	v_lshlrev_b32_e32 v4, s20, v10
	v_lshrrev_b32_e32 v5, 21, v4
	v_and_or_b32 v5, v5, s26, v0
	v_alignbit_b32 v4, v5, v4, 31
	v_lshlrev_b32_e32 v5, 1, v4
	ds_read_u16 v4, v5
	v_lshlrev_b32_e32 v18, s20, v11
	v_lshrrev_b32_e32 v19, 21, v18
	v_and_or_b32 v19, v19, s26, v0
	v_alignbit_b32 v18, v19, v18, 31
	s_waitcnt lgkmcnt(0)
	v_add_u16_e32 v19, 1, v4
	ds_write_b16 v5, v19
	v_lshlrev_b32_e32 v19, 1, v18
	ds_read_u16 v18, v19
	v_lshlrev_b32_e32 v20, s20, v12
	v_lshrrev_b32_e32 v21, 21, v20
	v_and_or_b32 v21, v21, s26, v0
	v_alignbit_b32 v20, v21, v20, 31
	s_waitcnt lgkmcnt(0)
	v_add_u16_e32 v22, 1, v18
	ds_write_b16 v19, v22
	;; [unrolled: 9-line block ×3, first 2 shown]
	v_lshlrev_b32_e32 v24, 1, v22
	ds_read_u16 v22, v24
	v_lshlrev_b32_e32 v23, s20, v14
	s_waitcnt lgkmcnt(0)
	v_add_u16_e32 v25, 1, v22
	ds_write_b16 v24, v25
	v_lshrrev_b32_e32 v25, 21, v23
	v_and_or_b32 v25, v25, s26, v0
	v_alignbit_b32 v23, v25, v23, 31
	v_lshlrev_b32_e32 v25, 1, v23
	ds_read_u16 v23, v25
	s_waitcnt lgkmcnt(0)
	v_add_u16_e32 v26, 1, v23
	ds_write_b16 v25, v26
	v_lshlrev_b32_e32 v26, s20, v15
	v_lshrrev_b32_e32 v27, 21, v26
	v_and_or_b32 v27, v27, s26, v0
	v_alignbit_b32 v26, v27, v26, 31
	v_lshlrev_b32_e32 v27, 1, v26
	ds_read_u16 v26, v27
	s_waitcnt lgkmcnt(0)
	v_add_u16_e32 v28, 1, v26
	ds_write_b16 v27, v28
	v_lshlrev_b32_e32 v28, s20, v16
	;; [unrolled: 9-line block ×3, first 2 shown]
	v_lshrrev_b32_e32 v31, 21, v29
	v_and_or_b32 v31, v31, s26, v0
	v_alignbit_b32 v29, v31, v29, 31
	v_lshlrev_b32_e32 v31, 1, v29
	ds_read_u16 v29, v31
	s_waitcnt lgkmcnt(0)
	v_add_u16_e32 v32, 1, v29
	ds_write_b16 v31, v32
	s_waitcnt lgkmcnt(0)
	s_barrier
	ds_read2_b32 v[32:33], v3 offset1:1
	ds_read2_b32 v[34:35], v3 offset0:2 offset1:3
	ds_read2_b32 v[36:37], v3 offset0:4 offset1:5
	;; [unrolled: 1-line block ×3, first 2 shown]
	s_waitcnt lgkmcnt(3)
	v_add_u32_e32 v32, v33, v32
	s_waitcnt lgkmcnt(2)
	v_add3_u32 v32, v32, v34, v35
	s_waitcnt lgkmcnt(1)
	v_add3_u32 v32, v32, v36, v37
	;; [unrolled: 2-line block ×3, first 2 shown]
	s_nop 1
	v_mov_b32_dpp v33, v32 row_shr:1 row_mask:0xf bank_mask:0xf
	v_cndmask_b32_e64 v33, v33, 0, s[8:9]
	v_add_u32_e32 v32, v33, v32
	s_nop 1
	v_mov_b32_dpp v33, v32 row_shr:2 row_mask:0xf bank_mask:0xf
	v_cndmask_b32_e64 v33, 0, v33, s[10:11]
	v_add_u32_e32 v32, v32, v33
	;; [unrolled: 4-line block ×4, first 2 shown]
	s_nop 1
	v_mov_b32_dpp v33, v32 row_bcast:15 row_mask:0xf bank_mask:0xf
	v_cndmask_b32_e64 v33, v33, 0, s[16:17]
	v_add_u32_e32 v32, v32, v33
	s_nop 1
	v_mov_b32_dpp v33, v32 row_bcast:31 row_mask:0xf bank_mask:0xf
	v_cndmask_b32_e64 v33, 0, v33, s[2:3]
	v_add_u32_e32 v32, v32, v33
	s_and_saveexec_b64 s[20:21], s[4:5]
	s_cbranch_execz .LBB6_12
; %bb.11:                               ;   in Loop: Header=BB6_4 Depth=2
	ds_write_b32 v8, v32 offset:4096
.LBB6_12:                               ;   in Loop: Header=BB6_4 Depth=2
	s_or_b64 exec, exec, s[20:21]
	s_waitcnt lgkmcnt(0)
	s_barrier
	s_and_saveexec_b64 s[20:21], vcc
	s_cbranch_execz .LBB6_14
; %bb.13:                               ;   in Loop: Header=BB6_4 Depth=2
	ds_read_b32 v33, v7 offset:4096
	s_waitcnt lgkmcnt(0)
	s_nop 0
	v_mov_b32_dpp v34, v33 row_shr:1 row_mask:0xf bank_mask:0xf
	v_cndmask_b32_e64 v34, v34, 0, s[18:19]
	v_add_u32_e32 v33, v34, v33
	ds_write_b32 v7, v33 offset:4096
.LBB6_14:                               ;   in Loop: Header=BB6_4 Depth=2
	s_or_b64 exec, exec, s[20:21]
	v_mov_b32_e32 v33, 0
	s_waitcnt lgkmcnt(0)
	s_barrier
	s_and_saveexec_b64 s[20:21], s[0:1]
	s_cbranch_execz .LBB6_3
; %bb.15:                               ;   in Loop: Header=BB6_4 Depth=2
	ds_read_b32 v33, v8 offset:4092
	s_branch .LBB6_3
.LBB6_16:
	ds_read_u16 v0, v24
	ds_read_u16 v1, v21
	;; [unrolled: 1-line block ×8, first 2 shown]
	s_add_u32 s0, s22, s24
	s_waitcnt lgkmcnt(4)
	v_add_u32_sdwa v4, v5, v4 dst_sel:DWORD dst_unused:UNUSED_PAD src0_sel:DWORD src1_sel:WORD_0
	v_add_u32_sdwa v5, v3, v18 dst_sel:DWORD dst_unused:UNUSED_PAD src0_sel:DWORD src1_sel:WORD_0
	v_add_u32_sdwa v6, v1, v20 dst_sel:DWORD dst_unused:UNUSED_PAD src0_sel:DWORD src1_sel:WORD_0
	v_add_u32_sdwa v7, v0, v22 dst_sel:DWORD dst_unused:UNUSED_PAD src0_sel:DWORD src1_sel:WORD_0
	s_addc_u32 s1, s23, s25
	v_lshlrev_b32_e32 v0, 2, v2
	s_waitcnt lgkmcnt(0)
	v_add_u32_sdwa v8, v8, v23 dst_sel:DWORD dst_unused:UNUSED_PAD src0_sel:DWORD src1_sel:WORD_0
	v_add_u32_sdwa v9, v9, v26 dst_sel:DWORD dst_unused:UNUSED_PAD src0_sel:DWORD src1_sel:WORD_0
	;; [unrolled: 1-line block ×4, first 2 shown]
	global_store_dwordx4 v0, v[4:7], s[0:1]
	global_store_dwordx4 v0, v[8:11], s[0:1] offset:16
	s_endpgm
	.section	.rodata,"a",@progbits
	.p2align	6, 0x0
	.amdhsa_kernel _Z11rank_kernelIiLj4ELb0EL18RadixRankAlgorithm0ELj128ELj8ELj10EEvPKT_Pi
		.amdhsa_group_segment_fixed_size 4104
		.amdhsa_private_segment_fixed_size 0
		.amdhsa_kernarg_size 16
		.amdhsa_user_sgpr_count 6
		.amdhsa_user_sgpr_private_segment_buffer 1
		.amdhsa_user_sgpr_dispatch_ptr 0
		.amdhsa_user_sgpr_queue_ptr 0
		.amdhsa_user_sgpr_kernarg_segment_ptr 1
		.amdhsa_user_sgpr_dispatch_id 0
		.amdhsa_user_sgpr_flat_scratch_init 0
		.amdhsa_user_sgpr_kernarg_preload_length 0
		.amdhsa_user_sgpr_kernarg_preload_offset 0
		.amdhsa_user_sgpr_private_segment_size 0
		.amdhsa_uses_dynamic_stack 0
		.amdhsa_system_sgpr_private_segment_wavefront_offset 0
		.amdhsa_system_sgpr_workgroup_id_x 1
		.amdhsa_system_sgpr_workgroup_id_y 0
		.amdhsa_system_sgpr_workgroup_id_z 0
		.amdhsa_system_sgpr_workgroup_info 0
		.amdhsa_system_vgpr_workitem_id 0
		.amdhsa_next_free_vgpr 40
		.amdhsa_next_free_sgpr 38
		.amdhsa_accum_offset 40
		.amdhsa_reserve_vcc 1
		.amdhsa_reserve_flat_scratch 0
		.amdhsa_float_round_mode_32 0
		.amdhsa_float_round_mode_16_64 0
		.amdhsa_float_denorm_mode_32 3
		.amdhsa_float_denorm_mode_16_64 3
		.amdhsa_dx10_clamp 1
		.amdhsa_ieee_mode 1
		.amdhsa_fp16_overflow 0
		.amdhsa_tg_split 0
		.amdhsa_exception_fp_ieee_invalid_op 0
		.amdhsa_exception_fp_denorm_src 0
		.amdhsa_exception_fp_ieee_div_zero 0
		.amdhsa_exception_fp_ieee_overflow 0
		.amdhsa_exception_fp_ieee_underflow 0
		.amdhsa_exception_fp_ieee_inexact 0
		.amdhsa_exception_int_div_zero 0
	.end_amdhsa_kernel
	.section	.text._Z11rank_kernelIiLj4ELb0EL18RadixRankAlgorithm0ELj128ELj8ELj10EEvPKT_Pi,"axG",@progbits,_Z11rank_kernelIiLj4ELb0EL18RadixRankAlgorithm0ELj128ELj8ELj10EEvPKT_Pi,comdat
.Lfunc_end6:
	.size	_Z11rank_kernelIiLj4ELb0EL18RadixRankAlgorithm0ELj128ELj8ELj10EEvPKT_Pi, .Lfunc_end6-_Z11rank_kernelIiLj4ELb0EL18RadixRankAlgorithm0ELj128ELj8ELj10EEvPKT_Pi
                                        ; -- End function
	.section	.AMDGPU.csdata,"",@progbits
; Kernel info:
; codeLenInByte = 1576
; NumSgprs: 42
; NumVgprs: 40
; NumAgprs: 0
; TotalNumVgprs: 40
; ScratchSize: 0
; MemoryBound: 0
; FloatMode: 240
; IeeeMode: 1
; LDSByteSize: 4104 bytes/workgroup (compile time only)
; SGPRBlocks: 5
; VGPRBlocks: 4
; NumSGPRsForWavesPerEU: 42
; NumVGPRsForWavesPerEU: 40
; AccumOffset: 40
; Occupancy: 8
; WaveLimiterHint : 0
; COMPUTE_PGM_RSRC2:SCRATCH_EN: 0
; COMPUTE_PGM_RSRC2:USER_SGPR: 6
; COMPUTE_PGM_RSRC2:TRAP_HANDLER: 0
; COMPUTE_PGM_RSRC2:TGID_X_EN: 1
; COMPUTE_PGM_RSRC2:TGID_Y_EN: 0
; COMPUTE_PGM_RSRC2:TGID_Z_EN: 0
; COMPUTE_PGM_RSRC2:TIDIG_COMP_CNT: 0
; COMPUTE_PGM_RSRC3_GFX90A:ACCUM_OFFSET: 9
; COMPUTE_PGM_RSRC3_GFX90A:TG_SPLIT: 0
	.section	.text._Z11rank_kernelIiLj4ELb0EL18RadixRankAlgorithm1ELj128ELj8ELj10EEvPKT_Pi,"axG",@progbits,_Z11rank_kernelIiLj4ELb0EL18RadixRankAlgorithm1ELj128ELj8ELj10EEvPKT_Pi,comdat
	.protected	_Z11rank_kernelIiLj4ELb0EL18RadixRankAlgorithm1ELj128ELj8ELj10EEvPKT_Pi ; -- Begin function _Z11rank_kernelIiLj4ELb0EL18RadixRankAlgorithm1ELj128ELj8ELj10EEvPKT_Pi
	.globl	_Z11rank_kernelIiLj4ELb0EL18RadixRankAlgorithm1ELj128ELj8ELj10EEvPKT_Pi
	.p2align	8
	.type	_Z11rank_kernelIiLj4ELb0EL18RadixRankAlgorithm1ELj128ELj8ELj10EEvPKT_Pi,@function
_Z11rank_kernelIiLj4ELb0EL18RadixRankAlgorithm1ELj128ELj8ELj10EEvPKT_Pi: ; @_Z11rank_kernelIiLj4ELb0EL18RadixRankAlgorithm1ELj128ELj8ELj10EEvPKT_Pi
; %bb.0:
	s_load_dwordx4 s[20:23], s[4:5], 0x0
	s_lshl_b32 s26, s6, 10
	s_mov_b32 s27, 0
	s_lshl_b64 s[24:25], s[26:27], 2
	v_lshlrev_b32_e32 v3, 5, v0
	s_waitcnt lgkmcnt(0)
	s_add_u32 s0, s20, s24
	s_addc_u32 s1, s21, s25
	global_load_dwordx4 v[4:7], v3, s[0:1]
	global_load_dwordx4 v[8:11], v3, s[0:1] offset:16
	v_mbcnt_lo_u32_b32 v1, -1, 0
	v_mbcnt_hi_u32_b32 v15, -1, v1
	v_add_u32_e32 v19, -1, v15
	v_and_b32_e32 v20, 64, v15
	v_or_b32_e32 v14, 63, v0
	v_lshrrev_b32_e32 v16, 4, v0
	v_cmp_lt_i32_e64 s[18:19], v19, v20
	v_and_b32_e32 v17, 15, v15
	v_and_b32_e32 v18, 16, v15
	v_cmp_lt_u32_e64 s[2:3], 31, v15
	v_cmp_eq_u32_e64 s[4:5], v14, v0
	v_cmp_eq_u32_e64 s[6:7], 0, v15
	v_and_b32_e32 v14, 4, v16
	v_and_b32_e32 v16, 1, v15
	v_cndmask_b32_e64 v15, v19, v15, s[18:19]
	v_mov_b32_e32 v12, 0
	v_lshlrev_b32_e32 v2, 3, v0
	v_cmp_gt_u32_e32 vcc, 2, v0
	v_cmp_lt_u32_e64 s[0:1], 63, v0
	v_lshlrev_b32_e32 v13, 2, v0
	v_or_b32_e32 v1, 0x80, v0
	v_cmp_eq_u32_e64 s[8:9], 0, v17
	v_cmp_lt_u32_e64 s[10:11], 1, v17
	v_cmp_lt_u32_e64 s[12:13], 3, v17
	;; [unrolled: 1-line block ×3, first 2 shown]
	v_cmp_eq_u32_e64 s[16:17], 0, v18
	v_cmp_eq_u32_e64 s[18:19], 0, v16
	v_lshlrev_b32_e32 v15, 2, v15
	s_movk_i32 s26, 0x380
	s_waitcnt vmcnt(1)
	v_xor_b32_e32 v16, 0x80000000, v4
	v_xor_b32_e32 v17, 0x80000000, v5
	;; [unrolled: 1-line block ×4, first 2 shown]
	s_waitcnt vmcnt(0)
	v_xor_b32_e32 v20, 0x80000000, v8
	v_xor_b32_e32 v21, 0x80000000, v9
	;; [unrolled: 1-line block ×4, first 2 shown]
	s_branch .LBB7_2
.LBB7_1:                                ;   in Loop: Header=BB7_2 Depth=1
	s_add_i32 s27, s27, 1
	s_cmp_eq_u32 s27, 10
	s_cbranch_scc1 .LBB7_16
.LBB7_2:                                ; =>This Loop Header: Depth=1
                                        ;     Child Loop BB7_4 Depth 2
                                        ;       Child Loop BB7_6 Depth 3
	s_mov_b32 s33, 0
	s_branch .LBB7_4
.LBB7_3:                                ;   in Loop: Header=BB7_4 Depth=2
	s_or_b64 exec, exec, s[20:21]
	s_waitcnt lgkmcnt(0)
	v_add_u32_e32 v7, v40, v7
	ds_bpermute_b32 v7, v15, v7
	ds_read_b32 v41, v12 offset:4100
	s_add_i32 s20, s33, 4
	s_cmp_lt_u32 s33, 28
	s_mov_b32 s33, s20
	s_waitcnt lgkmcnt(1)
	v_cndmask_b32_e64 v7, v7, v40, s[6:7]
	s_waitcnt lgkmcnt(0)
	v_lshl_add_u32 v7, v41, 16, v7
	v_add_u32_e32 v10, v7, v10
	v_add_u32_e32 v11, v10, v11
	ds_write2_b32 v3, v7, v10 offset1:1
	v_add_u32_e32 v7, v11, v8
	v_add_u32_e32 v8, v7, v9
	;; [unrolled: 1-line block ×4, first 2 shown]
	ds_write2_b32 v3, v11, v7 offset0:2 offset1:3
	v_add_u32_e32 v6, v5, v6
	ds_write2_b32 v3, v8, v4 offset0:4 offset1:5
	ds_write2_b32 v3, v5, v6 offset0:6 offset1:7
	s_waitcnt lgkmcnt(0)
	s_barrier
	s_cbranch_scc0 .LBB7_1
.LBB7_4:                                ;   Parent Loop BB7_2 Depth=1
                                        ; =>  This Loop Header: Depth=2
                                        ;       Child Loop BB7_6 Depth 3
	s_mov_b32 s34, 0
	s_mov_b64 s[20:21], 0
	v_pk_mov_b32 v[4:5], v[0:1], v[0:1] op_sel:[0,1]
	s_branch .LBB7_6
.LBB7_5:                                ;   in Loop: Header=BB7_6 Depth=3
	s_or_b64 exec, exec, s[30:31]
	s_add_i32 s34, s34, 2
	v_cmp_eq_u32_e64 s[28:29], 8, s34
	v_add_u32_e32 v5, 0x100, v5
	s_or_b64 s[20:21], s[28:29], s[20:21]
	v_add_u32_e32 v4, 0x100, v4
	s_andn2_b64 exec, exec, s[20:21]
	s_cbranch_execz .LBB7_10
.LBB7_6:                                ;   Parent Loop BB7_2 Depth=1
                                        ;     Parent Loop BB7_4 Depth=2
                                        ; =>    This Inner Loop Header: Depth=3
	s_or_b32 s28, s34, 1
	v_cmp_le_u32_e64 s[28:29], s28, 7
	v_cmp_le_u32_e64 s[36:37], s34, 7
	s_and_saveexec_b64 s[30:31], s[36:37]
	s_cbranch_execz .LBB7_8
; %bb.7:                                ;   in Loop: Header=BB7_6 Depth=3
	v_lshlrev_b32_e32 v6, 2, v4
	ds_write_b32 v6, v12
.LBB7_8:                                ;   in Loop: Header=BB7_6 Depth=3
	s_or_b64 exec, exec, s[30:31]
	s_and_saveexec_b64 s[30:31], s[28:29]
	s_cbranch_execz .LBB7_5
; %bb.9:                                ;   in Loop: Header=BB7_6 Depth=3
	v_lshlrev_b32_e32 v6, 2, v5
	ds_write_b32 v6, v12
	s_branch .LBB7_5
.LBB7_10:                               ;   in Loop: Header=BB7_4 Depth=2
	s_or_b64 exec, exec, s[20:21]
	s_sub_i32 s20, 28, s33
	v_lshlrev_b32_e32 v4, s20, v16
	v_lshrrev_b32_e32 v5, 21, v4
	v_and_or_b32 v5, v5, s26, v0
	v_alignbit_b32 v4, v5, v4, 31
	v_lshlrev_b32_e32 v25, 1, v4
	ds_read_u16 v24, v25
	v_lshlrev_b32_e32 v4, s20, v17
	v_lshrrev_b32_e32 v5, 21, v4
	v_and_or_b32 v5, v5, s26, v0
	v_alignbit_b32 v4, v5, v4, 31
	s_waitcnt lgkmcnt(0)
	v_add_u16_e32 v5, 1, v24
	ds_write_b16 v25, v5
	v_lshlrev_b32_e32 v27, 1, v4
	ds_read_u16 v26, v27
	v_lshlrev_b32_e32 v4, s20, v18
	v_lshrrev_b32_e32 v5, 21, v4
	v_and_or_b32 v5, v5, s26, v0
	v_alignbit_b32 v4, v5, v4, 31
	s_waitcnt lgkmcnt(0)
	v_add_u16_e32 v6, 1, v26
	ds_write_b16 v27, v6
	;; [unrolled: 9-line block ×3, first 2 shown]
	v_lshlrev_b32_e32 v32, 1, v4
	ds_read_u16 v30, v32
	v_lshlrev_b32_e32 v4, s20, v20
	s_waitcnt lgkmcnt(0)
	v_add_u16_e32 v5, 1, v30
	ds_write_b16 v32, v5
	v_lshrrev_b32_e32 v5, 21, v4
	v_and_or_b32 v5, v5, s26, v0
	v_alignbit_b32 v4, v5, v4, 31
	v_lshlrev_b32_e32 v33, 1, v4
	ds_read_u16 v31, v33
	s_waitcnt lgkmcnt(0)
	v_add_u16_e32 v4, 1, v31
	ds_write_b16 v33, v4
	v_lshlrev_b32_e32 v4, s20, v21
	v_lshrrev_b32_e32 v5, 21, v4
	v_and_or_b32 v5, v5, s26, v0
	v_alignbit_b32 v4, v5, v4, 31
	v_lshlrev_b32_e32 v35, 1, v4
	ds_read_u16 v34, v35
	s_waitcnt lgkmcnt(0)
	v_add_u16_e32 v4, 1, v34
	ds_write_b16 v35, v4
	v_lshlrev_b32_e32 v4, s20, v22
	v_lshrrev_b32_e32 v5, 21, v4
	v_and_or_b32 v5, v5, s26, v0
	v_alignbit_b32 v4, v5, v4, 31
	v_lshlrev_b32_e32 v38, 1, v4
	ds_read_u16 v36, v38
	s_waitcnt lgkmcnt(0)
	v_add_u16_e32 v4, 1, v36
	ds_write_b16 v38, v4
	v_lshlrev_b32_e32 v4, s20, v23
	v_lshrrev_b32_e32 v5, 21, v4
	v_and_or_b32 v5, v5, s26, v0
	v_alignbit_b32 v4, v5, v4, 31
	v_lshlrev_b32_e32 v39, 1, v4
	ds_read_u16 v37, v39
	s_waitcnt lgkmcnt(0)
	v_add_u16_e32 v4, 1, v37
	ds_write_b16 v39, v4
	s_waitcnt lgkmcnt(0)
	s_barrier
	ds_read2_b32 v[10:11], v3 offset1:1
	ds_read2_b32 v[8:9], v3 offset0:2 offset1:3
	ds_read2_b32 v[4:5], v3 offset0:4 offset1:5
	;; [unrolled: 1-line block ×3, first 2 shown]
	s_waitcnt lgkmcnt(3)
	v_add_u32_e32 v40, v11, v10
	s_waitcnt lgkmcnt(2)
	v_add3_u32 v40, v40, v8, v9
	s_waitcnt lgkmcnt(1)
	v_add3_u32 v40, v40, v4, v5
	;; [unrolled: 2-line block ×3, first 2 shown]
	s_nop 1
	v_mov_b32_dpp v40, v7 row_shr:1 row_mask:0xf bank_mask:0xf
	v_cndmask_b32_e64 v40, v40, 0, s[8:9]
	v_add_u32_e32 v7, v40, v7
	s_nop 1
	v_mov_b32_dpp v40, v7 row_shr:2 row_mask:0xf bank_mask:0xf
	v_cndmask_b32_e64 v40, 0, v40, s[10:11]
	v_add_u32_e32 v7, v7, v40
	;; [unrolled: 4-line block ×4, first 2 shown]
	s_nop 1
	v_mov_b32_dpp v40, v7 row_bcast:15 row_mask:0xf bank_mask:0xf
	v_cndmask_b32_e64 v40, v40, 0, s[16:17]
	v_add_u32_e32 v7, v7, v40
	s_nop 1
	v_mov_b32_dpp v40, v7 row_bcast:31 row_mask:0xf bank_mask:0xf
	v_cndmask_b32_e64 v40, 0, v40, s[2:3]
	v_add_u32_e32 v7, v7, v40
	s_and_saveexec_b64 s[20:21], s[4:5]
	s_cbranch_execz .LBB7_12
; %bb.11:                               ;   in Loop: Header=BB7_4 Depth=2
	ds_write_b32 v14, v7 offset:4096
.LBB7_12:                               ;   in Loop: Header=BB7_4 Depth=2
	s_or_b64 exec, exec, s[20:21]
	s_waitcnt lgkmcnt(0)
	s_barrier
	s_and_saveexec_b64 s[20:21], vcc
	s_cbranch_execz .LBB7_14
; %bb.13:                               ;   in Loop: Header=BB7_4 Depth=2
	ds_read_b32 v40, v13 offset:4096
	s_waitcnt lgkmcnt(0)
	s_nop 0
	v_mov_b32_dpp v41, v40 row_shr:1 row_mask:0xf bank_mask:0xf
	v_cndmask_b32_e64 v41, v41, 0, s[18:19]
	v_add_u32_e32 v40, v41, v40
	ds_write_b32 v13, v40 offset:4096
.LBB7_14:                               ;   in Loop: Header=BB7_4 Depth=2
	s_or_b64 exec, exec, s[20:21]
	v_mov_b32_e32 v40, 0
	s_waitcnt lgkmcnt(0)
	s_barrier
	s_and_saveexec_b64 s[20:21], s[0:1]
	s_cbranch_execz .LBB7_3
; %bb.15:                               ;   in Loop: Header=BB7_4 Depth=2
	ds_read_b32 v40, v14 offset:4092
	s_branch .LBB7_3
.LBB7_16:
	ds_read_u16 v0, v32
	ds_read_u16 v1, v29
	;; [unrolled: 1-line block ×8, first 2 shown]
	s_add_u32 s0, s22, s24
	s_waitcnt lgkmcnt(4)
	v_add_u32_sdwa v4, v4, v24 dst_sel:DWORD dst_unused:UNUSED_PAD src0_sel:DWORD src1_sel:WORD_0
	v_add_u32_sdwa v5, v3, v26 dst_sel:DWORD dst_unused:UNUSED_PAD src0_sel:DWORD src1_sel:WORD_0
	;; [unrolled: 1-line block ×4, first 2 shown]
	s_addc_u32 s1, s23, s25
	v_lshlrev_b32_e32 v0, 2, v2
	s_waitcnt lgkmcnt(0)
	v_add_u32_sdwa v8, v8, v31 dst_sel:DWORD dst_unused:UNUSED_PAD src0_sel:DWORD src1_sel:WORD_0
	v_add_u32_sdwa v9, v9, v34 dst_sel:DWORD dst_unused:UNUSED_PAD src0_sel:DWORD src1_sel:WORD_0
	;; [unrolled: 1-line block ×4, first 2 shown]
	global_store_dwordx4 v0, v[4:7], s[0:1]
	global_store_dwordx4 v0, v[8:11], s[0:1] offset:16
	s_endpgm
	.section	.rodata,"a",@progbits
	.p2align	6, 0x0
	.amdhsa_kernel _Z11rank_kernelIiLj4ELb0EL18RadixRankAlgorithm1ELj128ELj8ELj10EEvPKT_Pi
		.amdhsa_group_segment_fixed_size 4104
		.amdhsa_private_segment_fixed_size 0
		.amdhsa_kernarg_size 16
		.amdhsa_user_sgpr_count 6
		.amdhsa_user_sgpr_private_segment_buffer 1
		.amdhsa_user_sgpr_dispatch_ptr 0
		.amdhsa_user_sgpr_queue_ptr 0
		.amdhsa_user_sgpr_kernarg_segment_ptr 1
		.amdhsa_user_sgpr_dispatch_id 0
		.amdhsa_user_sgpr_flat_scratch_init 0
		.amdhsa_user_sgpr_kernarg_preload_length 0
		.amdhsa_user_sgpr_kernarg_preload_offset 0
		.amdhsa_user_sgpr_private_segment_size 0
		.amdhsa_uses_dynamic_stack 0
		.amdhsa_system_sgpr_private_segment_wavefront_offset 0
		.amdhsa_system_sgpr_workgroup_id_x 1
		.amdhsa_system_sgpr_workgroup_id_y 0
		.amdhsa_system_sgpr_workgroup_id_z 0
		.amdhsa_system_sgpr_workgroup_info 0
		.amdhsa_system_vgpr_workitem_id 0
		.amdhsa_next_free_vgpr 42
		.amdhsa_next_free_sgpr 38
		.amdhsa_accum_offset 44
		.amdhsa_reserve_vcc 1
		.amdhsa_reserve_flat_scratch 0
		.amdhsa_float_round_mode_32 0
		.amdhsa_float_round_mode_16_64 0
		.amdhsa_float_denorm_mode_32 3
		.amdhsa_float_denorm_mode_16_64 3
		.amdhsa_dx10_clamp 1
		.amdhsa_ieee_mode 1
		.amdhsa_fp16_overflow 0
		.amdhsa_tg_split 0
		.amdhsa_exception_fp_ieee_invalid_op 0
		.amdhsa_exception_fp_denorm_src 0
		.amdhsa_exception_fp_ieee_div_zero 0
		.amdhsa_exception_fp_ieee_overflow 0
		.amdhsa_exception_fp_ieee_underflow 0
		.amdhsa_exception_fp_ieee_inexact 0
		.amdhsa_exception_int_div_zero 0
	.end_amdhsa_kernel
	.section	.text._Z11rank_kernelIiLj4ELb0EL18RadixRankAlgorithm1ELj128ELj8ELj10EEvPKT_Pi,"axG",@progbits,_Z11rank_kernelIiLj4ELb0EL18RadixRankAlgorithm1ELj128ELj8ELj10EEvPKT_Pi,comdat
.Lfunc_end7:
	.size	_Z11rank_kernelIiLj4ELb0EL18RadixRankAlgorithm1ELj128ELj8ELj10EEvPKT_Pi, .Lfunc_end7-_Z11rank_kernelIiLj4ELb0EL18RadixRankAlgorithm1ELj128ELj8ELj10EEvPKT_Pi
                                        ; -- End function
	.section	.AMDGPU.csdata,"",@progbits
; Kernel info:
; codeLenInByte = 1528
; NumSgprs: 42
; NumVgprs: 42
; NumAgprs: 0
; TotalNumVgprs: 42
; ScratchSize: 0
; MemoryBound: 0
; FloatMode: 240
; IeeeMode: 1
; LDSByteSize: 4104 bytes/workgroup (compile time only)
; SGPRBlocks: 5
; VGPRBlocks: 5
; NumSGPRsForWavesPerEU: 42
; NumVGPRsForWavesPerEU: 42
; AccumOffset: 44
; Occupancy: 8
; WaveLimiterHint : 0
; COMPUTE_PGM_RSRC2:SCRATCH_EN: 0
; COMPUTE_PGM_RSRC2:USER_SGPR: 6
; COMPUTE_PGM_RSRC2:TRAP_HANDLER: 0
; COMPUTE_PGM_RSRC2:TGID_X_EN: 1
; COMPUTE_PGM_RSRC2:TGID_Y_EN: 0
; COMPUTE_PGM_RSRC2:TGID_Z_EN: 0
; COMPUTE_PGM_RSRC2:TIDIG_COMP_CNT: 0
; COMPUTE_PGM_RSRC3_GFX90A:ACCUM_OFFSET: 10
; COMPUTE_PGM_RSRC3_GFX90A:TG_SPLIT: 0
	.section	.text._Z11rank_kernelIiLj4ELb0EL18RadixRankAlgorithm2ELj128ELj8ELj10EEvPKT_Pi,"axG",@progbits,_Z11rank_kernelIiLj4ELb0EL18RadixRankAlgorithm2ELj128ELj8ELj10EEvPKT_Pi,comdat
	.protected	_Z11rank_kernelIiLj4ELb0EL18RadixRankAlgorithm2ELj128ELj8ELj10EEvPKT_Pi ; -- Begin function _Z11rank_kernelIiLj4ELb0EL18RadixRankAlgorithm2ELj128ELj8ELj10EEvPKT_Pi
	.globl	_Z11rank_kernelIiLj4ELb0EL18RadixRankAlgorithm2ELj128ELj8ELj10EEvPKT_Pi
	.p2align	8
	.type	_Z11rank_kernelIiLj4ELb0EL18RadixRankAlgorithm2ELj128ELj8ELj10EEvPKT_Pi,@function
_Z11rank_kernelIiLj4ELb0EL18RadixRankAlgorithm2ELj128ELj8ELj10EEvPKT_Pi: ; @_Z11rank_kernelIiLj4ELb0EL18RadixRankAlgorithm2ELj128ELj8ELj10EEvPKT_Pi
; %bb.0:
	s_load_dwordx4 s[24:27], s[4:5], 0x0
	s_load_dword s20, s[4:5], 0x1c
	s_lshl_b32 s30, s6, 10
	s_mov_b32 s31, 0
	s_lshl_b64 s[28:29], s[30:31], 2
	s_waitcnt lgkmcnt(0)
	s_add_u32 s0, s24, s28
	v_and_b32_e32 v4, 0x3ff, v0
	s_addc_u32 s1, s25, s29
	v_lshlrev_b32_e32 v1, 5, v4
	global_load_dwordx4 v[10:13], v1, s[0:1]
	global_load_dwordx4 v[14:17], v1, s[0:1] offset:16
	v_mbcnt_lo_u32_b32 v1, -1, 0
	v_mbcnt_hi_u32_b32 v6, -1, v1
	v_bfe_u32 v3, v0, 10, 10
	v_bfe_u32 v5, v0, 20, 10
	v_add_u32_e32 v18, -1, v6
	v_and_b32_e32 v19, 64, v6
	s_lshr_b32 s21, s20, 16
	v_and_b32_e32 v7, 15, v6
	v_or_b32_e32 v9, 63, v4
	v_lshrrev_b32_e32 v20, 4, v4
	v_cmp_lt_i32_e64 s[18:19], v18, v19
	s_and_b32 s20, s20, 0xffff
	v_mad_u32_u24 v3, v5, s21, v3
	v_lshlrev_b32_e32 v0, 3, v4
	v_lshlrev_b32_e32 v1, 2, v4
	v_and_b32_e32 v8, 16, v6
	v_cmp_lt_u32_e32 vcc, 31, v6
	v_cmp_gt_u32_e64 s[0:1], 2, v4
	v_cmp_lt_u32_e64 s[2:3], 63, v4
	v_cmp_eq_u32_e64 s[4:5], 0, v6
	v_and_b32_e32 v21, 1, v6
	v_cmp_eq_u32_e64 s[6:7], 0, v7
	v_cmp_lt_u32_e64 s[8:9], 1, v7
	v_cmp_lt_u32_e64 s[10:11], 3, v7
	;; [unrolled: 1-line block ×3, first 2 shown]
	v_cmp_eq_u32_e64 s[16:17], v9, v4
	v_cndmask_b32_e64 v7, v18, v6, s[18:19]
	v_and_b32_e32 v6, 4, v20
	v_mad_u64_u32 v[4:5], s[20:21], v3, s20, v[4:5]
	v_mov_b32_e32 v2, 0
	v_cmp_eq_u32_e64 s[14:15], 0, v8
	v_cmp_eq_u32_e64 s[18:19], 0, v21
	v_lshlrev_b32_e32 v7, 2, v7
	v_lshrrev_b32_e32 v8, 6, v4
	s_waitcnt vmcnt(1)
	v_xor_b32_e32 v9, 0x80000000, v10
	v_xor_b32_e32 v10, 0x80000000, v11
	;; [unrolled: 1-line block ×4, first 2 shown]
	s_waitcnt vmcnt(0)
	v_xor_b32_e32 v13, 0x80000000, v14
	v_xor_b32_e32 v14, 0x80000000, v15
	;; [unrolled: 1-line block ×4, first 2 shown]
	v_add_u32_e32 v17, -4, v6
	s_branch .LBB8_2
.LBB8_1:                                ;   in Loop: Header=BB8_2 Depth=1
	s_add_i32 s31, s31, 1
	s_cmp_eq_u32 s31, 10
	s_cbranch_scc1 .LBB8_26
.LBB8_2:                                ; =>This Loop Header: Depth=1
                                        ;     Child Loop BB8_4 Depth 2
	s_mov_b32 s24, -4
	s_mov_b32 s25, 28
	s_branch .LBB8_4
.LBB8_3:                                ;   in Loop: Header=BB8_4 Depth=2
	s_or_b64 exec, exec, s[20:21]
	s_waitcnt lgkmcnt(0)
	v_add_u32_e32 v4, v5, v4
	ds_bpermute_b32 v4, v7, v4
	s_add_i32 s25, s25, -4
	s_add_i32 s24, s24, 4
	s_cmp_lt_u32 s24, 28
	s_waitcnt lgkmcnt(0)
	v_cndmask_b32_e64 v4, v4, v5, s[4:5]
	ds_write_b32 v1, v4 offset:8
	s_waitcnt lgkmcnt(0)
	s_barrier
	s_cbranch_scc0 .LBB8_1
.LBB8_4:                                ;   Parent Loop BB8_2 Depth=1
                                        ; =>  This Inner Loop Header: Depth=2
	v_lshlrev_b32_e32 v4, s25, v9
	v_lshrrev_b32_e32 v5, 28, v4
	v_mad_u32_u24 v3, v5, 3, v8
	v_lshl_add_u32 v18, v3, 2, 8
	v_bfe_u32 v3, v4, 28, 1
	v_add_co_u32_e64 v19, s[20:21], -1, v3
	v_addc_co_u32_e64 v20, s[20:21], 0, -1, s[20:21]
	v_cmp_ne_u32_e64 s[20:21], 0, v3
	v_xor_b32_e32 v3, s21, v20
	v_and_b32_e32 v20, exec_hi, v3
	v_lshlrev_b32_e32 v3, 30, v5
	v_xor_b32_e32 v19, s20, v19
	v_cmp_gt_i64_e64 s[20:21], 0, v[2:3]
	v_not_b32_e32 v3, v3
	v_ashrrev_i32_e32 v3, 31, v3
	v_and_b32_e32 v19, exec_lo, v19
	v_xor_b32_e32 v21, s21, v3
	v_xor_b32_e32 v3, s20, v3
	v_and_b32_e32 v19, v19, v3
	v_lshlrev_b32_e32 v3, 29, v5
	v_cmp_gt_i64_e64 s[20:21], 0, v[2:3]
	v_not_b32_e32 v3, v3
	v_ashrrev_i32_e32 v3, 31, v3
	v_xor_b32_e32 v5, s21, v3
	v_xor_b32_e32 v3, s20, v3
	v_and_b32_e32 v19, v19, v3
	v_and_b32_e32 v3, 0xf0000000, v4
	v_cmp_gt_i64_e64 s[20:21], 0, v[2:3]
	v_not_b32_e32 v3, v3
	v_and_b32_e32 v20, v20, v21
	v_ashrrev_i32_e32 v3, 31, v3
	v_and_b32_e32 v5, v20, v5
	v_xor_b32_e32 v4, s21, v3
	v_xor_b32_e32 v3, s20, v3
	v_and_b32_e32 v5, v5, v4
	v_and_b32_e32 v4, v19, v3
	v_mbcnt_lo_u32_b32 v3, v4, 0
	v_mbcnt_hi_u32_b32 v19, v5, v3
	v_cmp_eq_u32_e64 s[20:21], 0, v19
	v_cmp_ne_u64_e64 s[22:23], 0, v[4:5]
	s_and_b64 s[22:23], s[22:23], s[20:21]
	ds_write_b32 v1, v2 offset:8
	s_waitcnt lgkmcnt(0)
	s_barrier
	s_waitcnt lgkmcnt(0)
	; wave barrier
	s_and_saveexec_b64 s[20:21], s[22:23]
	s_cbranch_execz .LBB8_6
; %bb.5:                                ;   in Loop: Header=BB8_4 Depth=2
	v_bcnt_u32_b32 v3, v4, 0
	v_bcnt_u32_b32 v3, v5, v3
	ds_write_b32 v18, v3
.LBB8_6:                                ;   in Loop: Header=BB8_4 Depth=2
	s_or_b64 exec, exec, s[20:21]
	v_lshlrev_b32_e32 v4, s25, v10
	v_lshrrev_b32_e32 v5, 28, v4
	v_mul_u32_u24_e32 v3, 3, v5
	v_add_lshl_u32 v3, v8, v3, 2
	; wave barrier
	v_add_u32_e32 v21, 8, v3
	ds_read_b32 v20, v3 offset:8
	v_bfe_u32 v3, v4, 28, 1
	v_add_co_u32_e64 v22, s[20:21], -1, v3
	v_addc_co_u32_e64 v23, s[20:21], 0, -1, s[20:21]
	v_cmp_ne_u32_e64 s[20:21], 0, v3
	v_xor_b32_e32 v3, s21, v23
	v_and_b32_e32 v23, exec_hi, v3
	v_lshlrev_b32_e32 v3, 30, v5
	v_xor_b32_e32 v22, s20, v22
	v_cmp_gt_i64_e64 s[20:21], 0, v[2:3]
	v_not_b32_e32 v3, v3
	v_ashrrev_i32_e32 v3, 31, v3
	v_and_b32_e32 v22, exec_lo, v22
	v_xor_b32_e32 v24, s21, v3
	v_xor_b32_e32 v3, s20, v3
	v_and_b32_e32 v22, v22, v3
	v_lshlrev_b32_e32 v3, 29, v5
	v_cmp_gt_i64_e64 s[20:21], 0, v[2:3]
	v_not_b32_e32 v3, v3
	v_ashrrev_i32_e32 v3, 31, v3
	v_xor_b32_e32 v5, s21, v3
	v_xor_b32_e32 v3, s20, v3
	v_and_b32_e32 v22, v22, v3
	v_and_b32_e32 v3, 0xf0000000, v4
	v_cmp_gt_i64_e64 s[20:21], 0, v[2:3]
	v_not_b32_e32 v3, v3
	v_and_b32_e32 v23, v23, v24
	v_ashrrev_i32_e32 v3, 31, v3
	v_and_b32_e32 v5, v23, v5
	v_xor_b32_e32 v4, s21, v3
	v_xor_b32_e32 v3, s20, v3
	v_and_b32_e32 v5, v5, v4
	v_and_b32_e32 v4, v22, v3
	v_mbcnt_lo_u32_b32 v3, v4, 0
	v_mbcnt_hi_u32_b32 v22, v5, v3
	v_cmp_eq_u32_e64 s[20:21], 0, v22
	v_cmp_ne_u64_e64 s[22:23], 0, v[4:5]
	s_and_b64 s[22:23], s[22:23], s[20:21]
	; wave barrier
	s_and_saveexec_b64 s[20:21], s[22:23]
	s_cbranch_execz .LBB8_8
; %bb.7:                                ;   in Loop: Header=BB8_4 Depth=2
	v_bcnt_u32_b32 v3, v4, 0
	v_bcnt_u32_b32 v3, v5, v3
	s_waitcnt lgkmcnt(0)
	v_add_u32_e32 v3, v20, v3
	ds_write_b32 v21, v3
.LBB8_8:                                ;   in Loop: Header=BB8_4 Depth=2
	s_or_b64 exec, exec, s[20:21]
	v_lshlrev_b32_e32 v4, s25, v11
	v_lshrrev_b32_e32 v5, 28, v4
	v_mul_u32_u24_e32 v3, 3, v5
	v_add_lshl_u32 v3, v8, v3, 2
	; wave barrier
	v_add_u32_e32 v24, 8, v3
	ds_read_b32 v23, v3 offset:8
	v_bfe_u32 v3, v4, 28, 1
	v_add_co_u32_e64 v25, s[20:21], -1, v3
	v_addc_co_u32_e64 v26, s[20:21], 0, -1, s[20:21]
	v_cmp_ne_u32_e64 s[20:21], 0, v3
	v_xor_b32_e32 v3, s21, v26
	v_and_b32_e32 v26, exec_hi, v3
	v_lshlrev_b32_e32 v3, 30, v5
	v_xor_b32_e32 v25, s20, v25
	v_cmp_gt_i64_e64 s[20:21], 0, v[2:3]
	v_not_b32_e32 v3, v3
	v_ashrrev_i32_e32 v3, 31, v3
	v_and_b32_e32 v25, exec_lo, v25
	v_xor_b32_e32 v27, s21, v3
	v_xor_b32_e32 v3, s20, v3
	v_and_b32_e32 v25, v25, v3
	v_lshlrev_b32_e32 v3, 29, v5
	v_cmp_gt_i64_e64 s[20:21], 0, v[2:3]
	v_not_b32_e32 v3, v3
	v_ashrrev_i32_e32 v3, 31, v3
	v_xor_b32_e32 v5, s21, v3
	v_xor_b32_e32 v3, s20, v3
	v_and_b32_e32 v25, v25, v3
	v_and_b32_e32 v3, 0xf0000000, v4
	v_cmp_gt_i64_e64 s[20:21], 0, v[2:3]
	v_not_b32_e32 v3, v3
	v_and_b32_e32 v26, v26, v27
	v_ashrrev_i32_e32 v3, 31, v3
	v_and_b32_e32 v5, v26, v5
	v_xor_b32_e32 v4, s21, v3
	v_xor_b32_e32 v3, s20, v3
	v_and_b32_e32 v5, v5, v4
	v_and_b32_e32 v4, v25, v3
	v_mbcnt_lo_u32_b32 v3, v4, 0
	v_mbcnt_hi_u32_b32 v25, v5, v3
	v_cmp_eq_u32_e64 s[20:21], 0, v25
	v_cmp_ne_u64_e64 s[22:23], 0, v[4:5]
	s_and_b64 s[22:23], s[22:23], s[20:21]
	; wave barrier
	s_and_saveexec_b64 s[20:21], s[22:23]
	s_cbranch_execz .LBB8_10
; %bb.9:                                ;   in Loop: Header=BB8_4 Depth=2
	v_bcnt_u32_b32 v3, v4, 0
	v_bcnt_u32_b32 v3, v5, v3
	s_waitcnt lgkmcnt(0)
	v_add_u32_e32 v3, v23, v3
	ds_write_b32 v24, v3
.LBB8_10:                               ;   in Loop: Header=BB8_4 Depth=2
	s_or_b64 exec, exec, s[20:21]
	v_lshlrev_b32_e32 v4, s25, v12
	v_lshrrev_b32_e32 v5, 28, v4
	v_mul_u32_u24_e32 v3, 3, v5
	v_add_lshl_u32 v3, v8, v3, 2
	; wave barrier
	v_add_u32_e32 v27, 8, v3
	ds_read_b32 v26, v3 offset:8
	v_bfe_u32 v3, v4, 28, 1
	v_add_co_u32_e64 v28, s[20:21], -1, v3
	v_addc_co_u32_e64 v29, s[20:21], 0, -1, s[20:21]
	v_cmp_ne_u32_e64 s[20:21], 0, v3
	v_xor_b32_e32 v3, s21, v29
	v_and_b32_e32 v29, exec_hi, v3
	v_lshlrev_b32_e32 v3, 30, v5
	v_xor_b32_e32 v28, s20, v28
	v_cmp_gt_i64_e64 s[20:21], 0, v[2:3]
	v_not_b32_e32 v3, v3
	v_ashrrev_i32_e32 v3, 31, v3
	v_and_b32_e32 v28, exec_lo, v28
	v_xor_b32_e32 v30, s21, v3
	v_xor_b32_e32 v3, s20, v3
	v_and_b32_e32 v28, v28, v3
	v_lshlrev_b32_e32 v3, 29, v5
	v_cmp_gt_i64_e64 s[20:21], 0, v[2:3]
	v_not_b32_e32 v3, v3
	v_ashrrev_i32_e32 v3, 31, v3
	v_xor_b32_e32 v5, s21, v3
	v_xor_b32_e32 v3, s20, v3
	v_and_b32_e32 v28, v28, v3
	v_and_b32_e32 v3, 0xf0000000, v4
	v_cmp_gt_i64_e64 s[20:21], 0, v[2:3]
	v_not_b32_e32 v3, v3
	v_and_b32_e32 v29, v29, v30
	v_ashrrev_i32_e32 v3, 31, v3
	v_and_b32_e32 v5, v29, v5
	v_xor_b32_e32 v4, s21, v3
	v_xor_b32_e32 v3, s20, v3
	v_and_b32_e32 v5, v5, v4
	v_and_b32_e32 v4, v28, v3
	v_mbcnt_lo_u32_b32 v3, v4, 0
	v_mbcnt_hi_u32_b32 v28, v5, v3
	v_cmp_eq_u32_e64 s[20:21], 0, v28
	v_cmp_ne_u64_e64 s[22:23], 0, v[4:5]
	s_and_b64 s[22:23], s[22:23], s[20:21]
	; wave barrier
	s_and_saveexec_b64 s[20:21], s[22:23]
	s_cbranch_execz .LBB8_12
; %bb.11:                               ;   in Loop: Header=BB8_4 Depth=2
	v_bcnt_u32_b32 v3, v4, 0
	v_bcnt_u32_b32 v3, v5, v3
	s_waitcnt lgkmcnt(0)
	v_add_u32_e32 v3, v26, v3
	ds_write_b32 v27, v3
.LBB8_12:                               ;   in Loop: Header=BB8_4 Depth=2
	s_or_b64 exec, exec, s[20:21]
	v_lshlrev_b32_e32 v4, s25, v13
	v_lshrrev_b32_e32 v5, 28, v4
	v_mul_u32_u24_e32 v3, 3, v5
	v_add_lshl_u32 v3, v8, v3, 2
	; wave barrier
	v_add_u32_e32 v30, 8, v3
	ds_read_b32 v29, v3 offset:8
	v_bfe_u32 v3, v4, 28, 1
	v_add_co_u32_e64 v31, s[20:21], -1, v3
	v_addc_co_u32_e64 v32, s[20:21], 0, -1, s[20:21]
	v_cmp_ne_u32_e64 s[20:21], 0, v3
	v_xor_b32_e32 v3, s21, v32
	v_and_b32_e32 v32, exec_hi, v3
	v_lshlrev_b32_e32 v3, 30, v5
	v_xor_b32_e32 v31, s20, v31
	v_cmp_gt_i64_e64 s[20:21], 0, v[2:3]
	v_not_b32_e32 v3, v3
	v_ashrrev_i32_e32 v3, 31, v3
	v_and_b32_e32 v31, exec_lo, v31
	v_xor_b32_e32 v33, s21, v3
	v_xor_b32_e32 v3, s20, v3
	v_and_b32_e32 v31, v31, v3
	v_lshlrev_b32_e32 v3, 29, v5
	v_cmp_gt_i64_e64 s[20:21], 0, v[2:3]
	v_not_b32_e32 v3, v3
	v_ashrrev_i32_e32 v3, 31, v3
	v_xor_b32_e32 v5, s21, v3
	v_xor_b32_e32 v3, s20, v3
	v_and_b32_e32 v31, v31, v3
	v_and_b32_e32 v3, 0xf0000000, v4
	v_cmp_gt_i64_e64 s[20:21], 0, v[2:3]
	v_not_b32_e32 v3, v3
	v_and_b32_e32 v32, v32, v33
	v_ashrrev_i32_e32 v3, 31, v3
	v_and_b32_e32 v5, v32, v5
	v_xor_b32_e32 v4, s21, v3
	v_xor_b32_e32 v3, s20, v3
	v_and_b32_e32 v5, v5, v4
	v_and_b32_e32 v4, v31, v3
	v_mbcnt_lo_u32_b32 v3, v4, 0
	v_mbcnt_hi_u32_b32 v31, v5, v3
	v_cmp_eq_u32_e64 s[20:21], 0, v31
	v_cmp_ne_u64_e64 s[22:23], 0, v[4:5]
	s_and_b64 s[22:23], s[22:23], s[20:21]
	; wave barrier
	s_and_saveexec_b64 s[20:21], s[22:23]
	s_cbranch_execz .LBB8_14
; %bb.13:                               ;   in Loop: Header=BB8_4 Depth=2
	v_bcnt_u32_b32 v3, v4, 0
	v_bcnt_u32_b32 v3, v5, v3
	s_waitcnt lgkmcnt(0)
	v_add_u32_e32 v3, v29, v3
	ds_write_b32 v30, v3
.LBB8_14:                               ;   in Loop: Header=BB8_4 Depth=2
	;; [unrolled: 55-line block ×5, first 2 shown]
	s_or_b64 exec, exec, s[20:21]
	; wave barrier
	s_waitcnt lgkmcnt(0)
	s_barrier
	ds_read_b32 v4, v1 offset:8
	s_waitcnt lgkmcnt(0)
	s_nop 0
	v_mov_b32_dpp v5, v4 row_shr:1 row_mask:0xf bank_mask:0xf
	v_cndmask_b32_e64 v5, v5, 0, s[6:7]
	v_add_u32_e32 v4, v5, v4
	s_nop 1
	v_mov_b32_dpp v5, v4 row_shr:2 row_mask:0xf bank_mask:0xf
	v_cndmask_b32_e64 v5, 0, v5, s[8:9]
	v_add_u32_e32 v4, v4, v5
	;; [unrolled: 4-line block ×4, first 2 shown]
	s_nop 1
	v_mov_b32_dpp v5, v4 row_bcast:15 row_mask:0xf bank_mask:0xf
	v_cndmask_b32_e64 v5, v5, 0, s[14:15]
	v_add_u32_e32 v4, v4, v5
	s_nop 1
	v_mov_b32_dpp v5, v4 row_bcast:31 row_mask:0xf bank_mask:0xf
	v_cndmask_b32_e32 v5, 0, v5, vcc
	v_add_u32_e32 v4, v4, v5
	s_and_saveexec_b64 s[20:21], s[16:17]
	s_xor_b64 s[20:21], exec, s[20:21]
	s_cbranch_execz .LBB8_22
; %bb.21:                               ;   in Loop: Header=BB8_4 Depth=2
	ds_write_b32 v6, v4
.LBB8_22:                               ;   in Loop: Header=BB8_4 Depth=2
	s_or_b64 exec, exec, s[20:21]
	s_waitcnt lgkmcnt(0)
	s_barrier
	s_and_saveexec_b64 s[20:21], s[0:1]
	s_cbranch_execz .LBB8_24
; %bb.23:                               ;   in Loop: Header=BB8_4 Depth=2
	ds_read_b32 v5, v1
	s_waitcnt lgkmcnt(0)
	s_nop 0
	v_mov_b32_dpp v40, v5 row_shr:1 row_mask:0xf bank_mask:0xf
	v_cndmask_b32_e64 v40, v40, 0, s[18:19]
	v_add_u32_e32 v5, v40, v5
	ds_write_b32 v1, v5
.LBB8_24:                               ;   in Loop: Header=BB8_4 Depth=2
	s_or_b64 exec, exec, s[20:21]
	v_mov_b32_e32 v5, 0
	s_waitcnt lgkmcnt(0)
	s_barrier
	s_and_saveexec_b64 s[20:21], s[2:3]
	s_cbranch_execz .LBB8_3
; %bb.25:                               ;   in Loop: Header=BB8_4 Depth=2
	ds_read_b32 v5, v17
	s_branch .LBB8_3
.LBB8_26:
	ds_read_b32 v2, v39
	ds_read_b32 v8, v36
	;; [unrolled: 1-line block ×8, first 2 shown]
	s_add_u32 s0, s26, s28
	s_addc_u32 s1, s27, s29
	v_lshlrev_b32_e32 v11, 2, v0
	s_waitcnt lgkmcnt(1)
	v_add3_u32 v5, v22, v20, v4
	s_waitcnt lgkmcnt(0)
	v_add_u32_e32 v4, v7, v19
	v_add3_u32 v7, v28, v26, v6
	v_add3_u32 v6, v25, v23, v10
	;; [unrolled: 1-line block ×6, first 2 shown]
	global_store_dwordx4 v11, v[4:7], s[0:1]
	global_store_dwordx4 v11, v[0:3], s[0:1] offset:16
	s_endpgm
	.section	.rodata,"a",@progbits
	.p2align	6, 0x0
	.amdhsa_kernel _Z11rank_kernelIiLj4ELb0EL18RadixRankAlgorithm2ELj128ELj8ELj10EEvPKT_Pi
		.amdhsa_group_segment_fixed_size 520
		.amdhsa_private_segment_fixed_size 0
		.amdhsa_kernarg_size 272
		.amdhsa_user_sgpr_count 6
		.amdhsa_user_sgpr_private_segment_buffer 1
		.amdhsa_user_sgpr_dispatch_ptr 0
		.amdhsa_user_sgpr_queue_ptr 0
		.amdhsa_user_sgpr_kernarg_segment_ptr 1
		.amdhsa_user_sgpr_dispatch_id 0
		.amdhsa_user_sgpr_flat_scratch_init 0
		.amdhsa_user_sgpr_kernarg_preload_length 0
		.amdhsa_user_sgpr_kernarg_preload_offset 0
		.amdhsa_user_sgpr_private_segment_size 0
		.amdhsa_uses_dynamic_stack 0
		.amdhsa_system_sgpr_private_segment_wavefront_offset 0
		.amdhsa_system_sgpr_workgroup_id_x 1
		.amdhsa_system_sgpr_workgroup_id_y 0
		.amdhsa_system_sgpr_workgroup_id_z 0
		.amdhsa_system_sgpr_workgroup_info 0
		.amdhsa_system_vgpr_workitem_id 2
		.amdhsa_next_free_vgpr 43
		.amdhsa_next_free_sgpr 32
		.amdhsa_accum_offset 44
		.amdhsa_reserve_vcc 1
		.amdhsa_reserve_flat_scratch 0
		.amdhsa_float_round_mode_32 0
		.amdhsa_float_round_mode_16_64 0
		.amdhsa_float_denorm_mode_32 3
		.amdhsa_float_denorm_mode_16_64 3
		.amdhsa_dx10_clamp 1
		.amdhsa_ieee_mode 1
		.amdhsa_fp16_overflow 0
		.amdhsa_tg_split 0
		.amdhsa_exception_fp_ieee_invalid_op 0
		.amdhsa_exception_fp_denorm_src 0
		.amdhsa_exception_fp_ieee_div_zero 0
		.amdhsa_exception_fp_ieee_overflow 0
		.amdhsa_exception_fp_ieee_underflow 0
		.amdhsa_exception_fp_ieee_inexact 0
		.amdhsa_exception_int_div_zero 0
	.end_amdhsa_kernel
	.section	.text._Z11rank_kernelIiLj4ELb0EL18RadixRankAlgorithm2ELj128ELj8ELj10EEvPKT_Pi,"axG",@progbits,_Z11rank_kernelIiLj4ELb0EL18RadixRankAlgorithm2ELj128ELj8ELj10EEvPKT_Pi,comdat
.Lfunc_end8:
	.size	_Z11rank_kernelIiLj4ELb0EL18RadixRankAlgorithm2ELj128ELj8ELj10EEvPKT_Pi, .Lfunc_end8-_Z11rank_kernelIiLj4ELb0EL18RadixRankAlgorithm2ELj128ELj8ELj10EEvPKT_Pi
                                        ; -- End function
	.section	.AMDGPU.csdata,"",@progbits
; Kernel info:
; codeLenInByte = 3072
; NumSgprs: 36
; NumVgprs: 43
; NumAgprs: 0
; TotalNumVgprs: 43
; ScratchSize: 0
; MemoryBound: 0
; FloatMode: 240
; IeeeMode: 1
; LDSByteSize: 520 bytes/workgroup (compile time only)
; SGPRBlocks: 4
; VGPRBlocks: 5
; NumSGPRsForWavesPerEU: 36
; NumVGPRsForWavesPerEU: 43
; AccumOffset: 44
; Occupancy: 8
; WaveLimiterHint : 0
; COMPUTE_PGM_RSRC2:SCRATCH_EN: 0
; COMPUTE_PGM_RSRC2:USER_SGPR: 6
; COMPUTE_PGM_RSRC2:TRAP_HANDLER: 0
; COMPUTE_PGM_RSRC2:TGID_X_EN: 1
; COMPUTE_PGM_RSRC2:TGID_Y_EN: 0
; COMPUTE_PGM_RSRC2:TGID_Z_EN: 0
; COMPUTE_PGM_RSRC2:TIDIG_COMP_CNT: 2
; COMPUTE_PGM_RSRC3_GFX90A:ACCUM_OFFSET: 10
; COMPUTE_PGM_RSRC3_GFX90A:TG_SPLIT: 0
	.section	.text._Z11rank_kernelIiLj4ELb0EL18RadixRankAlgorithm0ELj128ELj16ELj10EEvPKT_Pi,"axG",@progbits,_Z11rank_kernelIiLj4ELb0EL18RadixRankAlgorithm0ELj128ELj16ELj10EEvPKT_Pi,comdat
	.protected	_Z11rank_kernelIiLj4ELb0EL18RadixRankAlgorithm0ELj128ELj16ELj10EEvPKT_Pi ; -- Begin function _Z11rank_kernelIiLj4ELb0EL18RadixRankAlgorithm0ELj128ELj16ELj10EEvPKT_Pi
	.globl	_Z11rank_kernelIiLj4ELb0EL18RadixRankAlgorithm0ELj128ELj16ELj10EEvPKT_Pi
	.p2align	8
	.type	_Z11rank_kernelIiLj4ELb0EL18RadixRankAlgorithm0ELj128ELj16ELj10EEvPKT_Pi,@function
_Z11rank_kernelIiLj4ELb0EL18RadixRankAlgorithm0ELj128ELj16ELj10EEvPKT_Pi: ; @_Z11rank_kernelIiLj4ELb0EL18RadixRankAlgorithm0ELj128ELj16ELj10EEvPKT_Pi
; %bb.0:
	s_load_dwordx4 s[20:23], s[4:5], 0x0
	s_lshl_b32 s26, s6, 11
	s_mov_b32 s27, 0
	s_lshl_b64 s[24:25], s[26:27], 2
	v_lshlrev_b32_e32 v1, 6, v0
	s_waitcnt lgkmcnt(0)
	s_add_u32 s0, s20, s24
	s_addc_u32 s1, s21, s25
	global_load_dwordx4 v[10:13], v1, s[0:1]
	global_load_dwordx4 v[14:17], v1, s[0:1] offset:16
	global_load_dwordx4 v[18:21], v1, s[0:1] offset:32
	;; [unrolled: 1-line block ×3, first 2 shown]
	v_mbcnt_lo_u32_b32 v1, -1, 0
	v_mbcnt_hi_u32_b32 v4, -1, v1
	v_or_b32_e32 v5, 63, v0
	v_cmp_eq_u32_e64 s[4:5], v5, v0
	v_add_u32_e32 v5, -1, v4
	v_and_b32_e32 v27, 64, v4
	v_cmp_lt_i32_e64 s[18:19], v5, v27
	v_lshrrev_b32_e32 v8, 4, v0
	v_and_b32_e32 v9, 15, v4
	v_and_b32_e32 v26, 16, v4
	v_cmp_lt_u32_e64 s[2:3], 31, v4
	v_cmp_eq_u32_e64 s[6:7], 0, v4
	v_and_b32_e32 v28, 1, v4
	v_cndmask_b32_e64 v4, v5, v4, s[18:19]
	v_mov_b32_e32 v3, 0
	v_lshlrev_b32_e32 v2, 4, v0
	v_lshlrev_b32_e32 v6, 5, v0
	v_cmp_gt_u32_e32 vcc, 2, v0
	v_cmp_lt_u32_e64 s[0:1], 63, v0
	v_lshlrev_b32_e32 v7, 2, v0
	v_or_b32_e32 v1, 0x80, v0
	v_and_b32_e32 v8, 4, v8
	v_cmp_eq_u32_e64 s[8:9], 0, v9
	v_cmp_lt_u32_e64 s[10:11], 1, v9
	v_cmp_lt_u32_e64 s[12:13], 3, v9
	;; [unrolled: 1-line block ×3, first 2 shown]
	v_cmp_eq_u32_e64 s[16:17], 0, v26
	v_cmp_eq_u32_e64 s[18:19], 0, v28
	v_lshlrev_b32_e32 v9, 2, v4
	s_movk_i32 s26, 0x380
	s_waitcnt vmcnt(3)
	v_xor_b32_e32 v10, 0x80000000, v10
	v_xor_b32_e32 v11, 0x80000000, v11
	v_xor_b32_e32 v12, 0x80000000, v12
	v_xor_b32_e32 v13, 0x80000000, v13
	s_waitcnt vmcnt(2)
	v_xor_b32_e32 v14, 0x80000000, v14
	v_xor_b32_e32 v15, 0x80000000, v15
	v_xor_b32_e32 v16, 0x80000000, v16
	v_xor_b32_e32 v17, 0x80000000, v17
	;; [unrolled: 5-line block ×4, first 2 shown]
	s_branch .LBB9_2
.LBB9_1:                                ;   in Loop: Header=BB9_2 Depth=1
	s_add_i32 s27, s27, 1
	s_cmp_eq_u32 s27, 10
	s_cbranch_scc1 .LBB9_16
.LBB9_2:                                ; =>This Loop Header: Depth=1
                                        ;     Child Loop BB9_4 Depth 2
                                        ;       Child Loop BB9_6 Depth 3
	s_mov_b32 s33, 0
	s_branch .LBB9_4
.LBB9_3:                                ;   in Loop: Header=BB9_4 Depth=2
	s_or_b64 exec, exec, s[20:21]
	s_waitcnt lgkmcnt(0)
	v_add_u32_e32 v56, v57, v56
	ds_bpermute_b32 v56, v9, v56
	s_add_i32 s20, s33, 4
	s_cmp_lt_u32 s33, 28
	s_mov_b32 s33, s20
	s_waitcnt lgkmcnt(0)
	v_cndmask_b32_e64 v56, v56, v57, s[6:7]
	ds_read_b32 v57, v3 offset:4100
	s_waitcnt lgkmcnt(0)
	v_lshl_add_u32 v58, v57, 16, v56
	ds_read2_b32 v[56:57], v6 offset1:1
	s_waitcnt lgkmcnt(0)
	v_add_u32_e32 v56, v58, v56
	ds_write2_b32 v6, v58, v56 offset1:1
	v_add_u32_e32 v58, v57, v56
	ds_read2_b32 v[56:57], v6 offset0:2 offset1:3
	s_waitcnt lgkmcnt(0)
	v_add_u32_e32 v56, v56, v58
	ds_write2_b32 v6, v58, v56 offset0:2 offset1:3
	v_add_u32_e32 v58, v57, v56
	ds_read2_b32 v[56:57], v6 offset0:4 offset1:5
	s_waitcnt lgkmcnt(0)
	v_add_u32_e32 v56, v56, v58
	ds_write2_b32 v6, v58, v56 offset0:4 offset1:5
	v_add_u32_e32 v56, v57, v56
	ds_read_b32 v57, v6 offset:24
	s_waitcnt lgkmcnt(0)
	v_add_u32_e32 v57, v57, v56
	ds_write2_b32 v6, v56, v57 offset0:6 offset1:7
	s_waitcnt lgkmcnt(0)
	s_barrier
	s_cbranch_scc0 .LBB9_1
.LBB9_4:                                ;   Parent Loop BB9_2 Depth=1
                                        ; =>  This Loop Header: Depth=2
                                        ;       Child Loop BB9_6 Depth 3
	s_mov_b32 s34, 0
	s_mov_b64 s[20:21], 0
	v_pk_mov_b32 v[4:5], v[0:1], v[0:1] op_sel:[0,1]
	s_branch .LBB9_6
.LBB9_5:                                ;   in Loop: Header=BB9_6 Depth=3
	s_or_b64 exec, exec, s[30:31]
	s_add_i32 s34, s34, 2
	v_cmp_eq_u32_e64 s[28:29], 8, s34
	v_add_u32_e32 v5, 0x100, v5
	s_or_b64 s[20:21], s[28:29], s[20:21]
	v_add_u32_e32 v4, 0x100, v4
	s_andn2_b64 exec, exec, s[20:21]
	s_cbranch_execz .LBB9_10
.LBB9_6:                                ;   Parent Loop BB9_2 Depth=1
                                        ;     Parent Loop BB9_4 Depth=2
                                        ; =>    This Inner Loop Header: Depth=3
	s_or_b32 s28, s34, 1
	v_cmp_le_u32_e64 s[28:29], s28, 7
	v_cmp_le_u32_e64 s[36:37], s34, 7
	s_and_saveexec_b64 s[30:31], s[36:37]
	s_cbranch_execz .LBB9_8
; %bb.7:                                ;   in Loop: Header=BB9_6 Depth=3
	v_lshlrev_b32_e32 v26, 2, v4
	ds_write_b32 v26, v3
.LBB9_8:                                ;   in Loop: Header=BB9_6 Depth=3
	s_or_b64 exec, exec, s[30:31]
	s_and_saveexec_b64 s[30:31], s[28:29]
	s_cbranch_execz .LBB9_5
; %bb.9:                                ;   in Loop: Header=BB9_6 Depth=3
	v_lshlrev_b32_e32 v26, 2, v5
	ds_write_b32 v26, v3
	s_branch .LBB9_5
.LBB9_10:                               ;   in Loop: Header=BB9_4 Depth=2
	s_or_b64 exec, exec, s[20:21]
	s_sub_i32 s20, 28, s33
	v_lshlrev_b32_e32 v4, s20, v10
	v_lshrrev_b32_e32 v5, 21, v4
	v_and_or_b32 v5, v5, s26, v0
	v_alignbit_b32 v4, v5, v4, 31
	v_lshlrev_b32_e32 v26, 1, v4
	ds_read_u16 v4, v26
	s_waitcnt lgkmcnt(0)
	v_add_u16_e32 v5, 1, v4
	ds_write_b16 v26, v5
	v_lshlrev_b32_e32 v5, s20, v11
	v_lshrrev_b32_e32 v27, 21, v5
	v_and_or_b32 v27, v27, s26, v0
	v_alignbit_b32 v5, v27, v5, 31
	v_lshlrev_b32_e32 v28, 1, v5
	ds_read_u16 v5, v28
	s_waitcnt lgkmcnt(0)
	v_add_u16_e32 v27, 1, v5
	ds_write_b16 v28, v27
	;; [unrolled: 9-line block ×16, first 2 shown]
	s_waitcnt lgkmcnt(0)
	s_barrier
	ds_read2_b32 v[56:57], v6 offset1:1
	s_waitcnt lgkmcnt(0)
	v_add_u32_e32 v58, v57, v56
	ds_read2_b32 v[56:57], v6 offset0:2 offset1:3
	s_waitcnt lgkmcnt(0)
	v_add3_u32 v58, v58, v56, v57
	ds_read2_b32 v[56:57], v6 offset0:4 offset1:5
	s_waitcnt lgkmcnt(0)
	v_add3_u32 v58, v58, v56, v57
	;; [unrolled: 3-line block ×3, first 2 shown]
	s_nop 1
	v_mov_b32_dpp v57, v56 row_shr:1 row_mask:0xf bank_mask:0xf
	v_cndmask_b32_e64 v57, v57, 0, s[8:9]
	v_add_u32_e32 v56, v57, v56
	s_nop 1
	v_mov_b32_dpp v57, v56 row_shr:2 row_mask:0xf bank_mask:0xf
	v_cndmask_b32_e64 v57, 0, v57, s[10:11]
	v_add_u32_e32 v56, v56, v57
	;; [unrolled: 4-line block ×4, first 2 shown]
	s_nop 1
	v_mov_b32_dpp v57, v56 row_bcast:15 row_mask:0xf bank_mask:0xf
	v_cndmask_b32_e64 v57, v57, 0, s[16:17]
	v_add_u32_e32 v56, v56, v57
	s_nop 1
	v_mov_b32_dpp v57, v56 row_bcast:31 row_mask:0xf bank_mask:0xf
	v_cndmask_b32_e64 v57, 0, v57, s[2:3]
	v_add_u32_e32 v56, v56, v57
	s_and_saveexec_b64 s[20:21], s[4:5]
	s_cbranch_execz .LBB9_12
; %bb.11:                               ;   in Loop: Header=BB9_4 Depth=2
	ds_write_b32 v8, v56 offset:4096
.LBB9_12:                               ;   in Loop: Header=BB9_4 Depth=2
	s_or_b64 exec, exec, s[20:21]
	s_waitcnt lgkmcnt(0)
	s_barrier
	s_and_saveexec_b64 s[20:21], vcc
	s_cbranch_execz .LBB9_14
; %bb.13:                               ;   in Loop: Header=BB9_4 Depth=2
	ds_read_b32 v57, v7 offset:4096
	s_waitcnt lgkmcnt(0)
	s_nop 0
	v_mov_b32_dpp v58, v57 row_shr:1 row_mask:0xf bank_mask:0xf
	v_cndmask_b32_e64 v58, v58, 0, s[18:19]
	v_add_u32_e32 v57, v58, v57
	ds_write_b32 v7, v57 offset:4096
.LBB9_14:                               ;   in Loop: Header=BB9_4 Depth=2
	s_or_b64 exec, exec, s[20:21]
	v_mov_b32_e32 v57, 0
	s_waitcnt lgkmcnt(0)
	s_barrier
	s_and_saveexec_b64 s[20:21], s[0:1]
	s_cbranch_execz .LBB9_3
; %bb.15:                               ;   in Loop: Header=BB9_4 Depth=2
	ds_read_b32 v57, v8 offset:4092
	s_branch .LBB9_3
.LBB9_16:
	ds_read_u16 v0, v55
	ds_read_u16 v1, v54
	;; [unrolled: 1-line block ×16, first 2 shown]
	s_add_u32 s0, s22, s24
	s_waitcnt lgkmcnt(14)
	v_add_u32_sdwa v9, v0, v53 dst_sel:DWORD dst_unused:UNUSED_PAD src0_sel:DWORD src1_sel:WORD_0
	s_waitcnt lgkmcnt(11)
	v_add_u32_sdwa v13, v10, v45 dst_sel:DWORD dst_unused:UNUSED_PAD src0_sel:DWORD src1_sel:WORD_0
	;; [unrolled: 2-line block ×13, first 2 shown]
	s_addc_u32 s1, s23, s25
	v_lshlrev_b32_e32 v0, 2, v2
	v_add_u32_sdwa v8, v1, v51 dst_sel:DWORD dst_unused:UNUSED_PAD src0_sel:DWORD src1_sel:WORD_0
	v_add_u32_sdwa v7, v3, v49 dst_sel:DWORD dst_unused:UNUSED_PAD src0_sel:DWORD src1_sel:WORD_0
	;; [unrolled: 1-line block ×3, first 2 shown]
	global_store_dwordx4 v0, v[18:21], s[0:1]
	global_store_dwordx4 v0, v[14:17], s[0:1] offset:16
	global_store_dwordx4 v0, v[10:13], s[0:1] offset:32
	;; [unrolled: 1-line block ×3, first 2 shown]
	s_endpgm
	.section	.rodata,"a",@progbits
	.p2align	6, 0x0
	.amdhsa_kernel _Z11rank_kernelIiLj4ELb0EL18RadixRankAlgorithm0ELj128ELj16ELj10EEvPKT_Pi
		.amdhsa_group_segment_fixed_size 4104
		.amdhsa_private_segment_fixed_size 0
		.amdhsa_kernarg_size 16
		.amdhsa_user_sgpr_count 6
		.amdhsa_user_sgpr_private_segment_buffer 1
		.amdhsa_user_sgpr_dispatch_ptr 0
		.amdhsa_user_sgpr_queue_ptr 0
		.amdhsa_user_sgpr_kernarg_segment_ptr 1
		.amdhsa_user_sgpr_dispatch_id 0
		.amdhsa_user_sgpr_flat_scratch_init 0
		.amdhsa_user_sgpr_kernarg_preload_length 0
		.amdhsa_user_sgpr_kernarg_preload_offset 0
		.amdhsa_user_sgpr_private_segment_size 0
		.amdhsa_uses_dynamic_stack 0
		.amdhsa_system_sgpr_private_segment_wavefront_offset 0
		.amdhsa_system_sgpr_workgroup_id_x 1
		.amdhsa_system_sgpr_workgroup_id_y 0
		.amdhsa_system_sgpr_workgroup_id_z 0
		.amdhsa_system_sgpr_workgroup_info 0
		.amdhsa_system_vgpr_workitem_id 0
		.amdhsa_next_free_vgpr 59
		.amdhsa_next_free_sgpr 38
		.amdhsa_accum_offset 60
		.amdhsa_reserve_vcc 1
		.amdhsa_reserve_flat_scratch 0
		.amdhsa_float_round_mode_32 0
		.amdhsa_float_round_mode_16_64 0
		.amdhsa_float_denorm_mode_32 3
		.amdhsa_float_denorm_mode_16_64 3
		.amdhsa_dx10_clamp 1
		.amdhsa_ieee_mode 1
		.amdhsa_fp16_overflow 0
		.amdhsa_tg_split 0
		.amdhsa_exception_fp_ieee_invalid_op 0
		.amdhsa_exception_fp_denorm_src 0
		.amdhsa_exception_fp_ieee_div_zero 0
		.amdhsa_exception_fp_ieee_overflow 0
		.amdhsa_exception_fp_ieee_underflow 0
		.amdhsa_exception_fp_ieee_inexact 0
		.amdhsa_exception_int_div_zero 0
	.end_amdhsa_kernel
	.section	.text._Z11rank_kernelIiLj4ELb0EL18RadixRankAlgorithm0ELj128ELj16ELj10EEvPKT_Pi,"axG",@progbits,_Z11rank_kernelIiLj4ELb0EL18RadixRankAlgorithm0ELj128ELj16ELj10EEvPKT_Pi,comdat
.Lfunc_end9:
	.size	_Z11rank_kernelIiLj4ELb0EL18RadixRankAlgorithm0ELj128ELj16ELj10EEvPKT_Pi, .Lfunc_end9-_Z11rank_kernelIiLj4ELb0EL18RadixRankAlgorithm0ELj128ELj16ELj10EEvPKT_Pi
                                        ; -- End function
	.section	.AMDGPU.csdata,"",@progbits
; Kernel info:
; codeLenInByte = 2272
; NumSgprs: 42
; NumVgprs: 59
; NumAgprs: 0
; TotalNumVgprs: 59
; ScratchSize: 0
; MemoryBound: 0
; FloatMode: 240
; IeeeMode: 1
; LDSByteSize: 4104 bytes/workgroup (compile time only)
; SGPRBlocks: 5
; VGPRBlocks: 7
; NumSGPRsForWavesPerEU: 42
; NumVGPRsForWavesPerEU: 59
; AccumOffset: 60
; Occupancy: 8
; WaveLimiterHint : 0
; COMPUTE_PGM_RSRC2:SCRATCH_EN: 0
; COMPUTE_PGM_RSRC2:USER_SGPR: 6
; COMPUTE_PGM_RSRC2:TRAP_HANDLER: 0
; COMPUTE_PGM_RSRC2:TGID_X_EN: 1
; COMPUTE_PGM_RSRC2:TGID_Y_EN: 0
; COMPUTE_PGM_RSRC2:TGID_Z_EN: 0
; COMPUTE_PGM_RSRC2:TIDIG_COMP_CNT: 0
; COMPUTE_PGM_RSRC3_GFX90A:ACCUM_OFFSET: 14
; COMPUTE_PGM_RSRC3_GFX90A:TG_SPLIT: 0
	.section	.text._Z11rank_kernelIiLj4ELb0EL18RadixRankAlgorithm1ELj128ELj16ELj10EEvPKT_Pi,"axG",@progbits,_Z11rank_kernelIiLj4ELb0EL18RadixRankAlgorithm1ELj128ELj16ELj10EEvPKT_Pi,comdat
	.protected	_Z11rank_kernelIiLj4ELb0EL18RadixRankAlgorithm1ELj128ELj16ELj10EEvPKT_Pi ; -- Begin function _Z11rank_kernelIiLj4ELb0EL18RadixRankAlgorithm1ELj128ELj16ELj10EEvPKT_Pi
	.globl	_Z11rank_kernelIiLj4ELb0EL18RadixRankAlgorithm1ELj128ELj16ELj10EEvPKT_Pi
	.p2align	8
	.type	_Z11rank_kernelIiLj4ELb0EL18RadixRankAlgorithm1ELj128ELj16ELj10EEvPKT_Pi,@function
_Z11rank_kernelIiLj4ELb0EL18RadixRankAlgorithm1ELj128ELj16ELj10EEvPKT_Pi: ; @_Z11rank_kernelIiLj4ELb0EL18RadixRankAlgorithm1ELj128ELj16ELj10EEvPKT_Pi
; %bb.0:
	s_load_dwordx4 s[20:23], s[4:5], 0x0
	s_lshl_b32 s26, s6, 11
	s_mov_b32 s27, 0
	s_lshl_b64 s[24:25], s[26:27], 2
	v_lshlrev_b32_e32 v1, 6, v0
	s_waitcnt lgkmcnt(0)
	s_add_u32 s0, s20, s24
	s_addc_u32 s1, s21, s25
	global_load_dwordx4 v[4:7], v1, s[0:1]
	global_load_dwordx4 v[8:11], v1, s[0:1] offset:16
	global_load_dwordx4 v[24:27], v1, s[0:1] offset:32
	;; [unrolled: 1-line block ×3, first 2 shown]
	v_mbcnt_lo_u32_b32 v1, -1, 0
	v_mbcnt_hi_u32_b32 v15, -1, v1
	v_add_u32_e32 v19, -1, v15
	v_and_b32_e32 v20, 64, v15
	v_or_b32_e32 v14, 63, v0
	v_lshrrev_b32_e32 v16, 4, v0
	v_cmp_lt_i32_e64 s[18:19], v19, v20
	v_and_b32_e32 v17, 15, v15
	v_and_b32_e32 v18, 16, v15
	v_cmp_lt_u32_e64 s[2:3], 31, v15
	v_cmp_eq_u32_e64 s[4:5], v14, v0
	v_cmp_eq_u32_e64 s[6:7], 0, v15
	v_and_b32_e32 v14, 4, v16
	v_and_b32_e32 v16, 1, v15
	v_cndmask_b32_e64 v15, v19, v15, s[18:19]
	v_mov_b32_e32 v3, 0
	v_lshlrev_b32_e32 v2, 4, v0
	v_lshlrev_b32_e32 v12, 5, v0
	v_cmp_gt_u32_e32 vcc, 2, v0
	v_cmp_lt_u32_e64 s[0:1], 63, v0
	v_lshlrev_b32_e32 v13, 2, v0
	v_or_b32_e32 v1, 0x80, v0
	v_cmp_eq_u32_e64 s[8:9], 0, v17
	v_cmp_lt_u32_e64 s[10:11], 1, v17
	v_cmp_lt_u32_e64 s[12:13], 3, v17
	;; [unrolled: 1-line block ×3, first 2 shown]
	v_cmp_eq_u32_e64 s[16:17], 0, v18
	v_cmp_eq_u32_e64 s[18:19], 0, v16
	v_lshlrev_b32_e32 v15, 2, v15
	s_movk_i32 s26, 0x380
	s_waitcnt vmcnt(3)
	v_xor_b32_e32 v16, 0x80000000, v4
	v_xor_b32_e32 v17, 0x80000000, v5
	v_xor_b32_e32 v18, 0x80000000, v6
	v_xor_b32_e32 v19, 0x80000000, v7
	s_waitcnt vmcnt(2)
	v_xor_b32_e32 v20, 0x80000000, v8
	v_xor_b32_e32 v21, 0x80000000, v9
	v_xor_b32_e32 v22, 0x80000000, v10
	v_xor_b32_e32 v23, 0x80000000, v11
	;; [unrolled: 5-line block ×4, first 2 shown]
	s_branch .LBB10_2
.LBB10_1:                               ;   in Loop: Header=BB10_2 Depth=1
	s_add_i32 s27, s27, 1
	s_cmp_eq_u32 s27, 10
	s_cbranch_scc1 .LBB10_16
.LBB10_2:                               ; =>This Loop Header: Depth=1
                                        ;     Child Loop BB10_4 Depth 2
                                        ;       Child Loop BB10_6 Depth 3
	s_mov_b32 s33, 0
	s_branch .LBB10_4
.LBB10_3:                               ;   in Loop: Header=BB10_4 Depth=2
	s_or_b64 exec, exec, s[20:21]
	s_waitcnt lgkmcnt(0)
	v_add_u32_e32 v7, v64, v7
	ds_bpermute_b32 v7, v15, v7
	ds_read_b32 v65, v3 offset:4100
	s_add_i32 s20, s33, 4
	s_cmp_lt_u32 s33, 28
	s_mov_b32 s33, s20
	s_waitcnt lgkmcnt(1)
	v_cndmask_b32_e64 v7, v7, v64, s[6:7]
	s_waitcnt lgkmcnt(0)
	v_lshl_add_u32 v7, v65, 16, v7
	v_add_u32_e32 v10, v7, v10
	v_add_u32_e32 v11, v10, v11
	ds_write2_b32 v12, v7, v10 offset1:1
	v_add_u32_e32 v7, v11, v8
	v_add_u32_e32 v8, v7, v9
	;; [unrolled: 1-line block ×4, first 2 shown]
	ds_write2_b32 v12, v11, v7 offset0:2 offset1:3
	v_add_u32_e32 v6, v5, v6
	ds_write2_b32 v12, v8, v4 offset0:4 offset1:5
	ds_write2_b32 v12, v5, v6 offset0:6 offset1:7
	s_waitcnt lgkmcnt(0)
	s_barrier
	s_cbranch_scc0 .LBB10_1
.LBB10_4:                               ;   Parent Loop BB10_2 Depth=1
                                        ; =>  This Loop Header: Depth=2
                                        ;       Child Loop BB10_6 Depth 3
	s_mov_b32 s34, 0
	s_mov_b64 s[20:21], 0
	v_pk_mov_b32 v[4:5], v[0:1], v[0:1] op_sel:[0,1]
	s_branch .LBB10_6
.LBB10_5:                               ;   in Loop: Header=BB10_6 Depth=3
	s_or_b64 exec, exec, s[30:31]
	s_add_i32 s34, s34, 2
	v_cmp_eq_u32_e64 s[28:29], 8, s34
	v_add_u32_e32 v5, 0x100, v5
	s_or_b64 s[20:21], s[28:29], s[20:21]
	v_add_u32_e32 v4, 0x100, v4
	s_andn2_b64 exec, exec, s[20:21]
	s_cbranch_execz .LBB10_10
.LBB10_6:                               ;   Parent Loop BB10_2 Depth=1
                                        ;     Parent Loop BB10_4 Depth=2
                                        ; =>    This Inner Loop Header: Depth=3
	s_or_b32 s28, s34, 1
	v_cmp_le_u32_e64 s[28:29], s28, 7
	v_cmp_le_u32_e64 s[36:37], s34, 7
	s_and_saveexec_b64 s[30:31], s[36:37]
	s_cbranch_execz .LBB10_8
; %bb.7:                                ;   in Loop: Header=BB10_6 Depth=3
	v_lshlrev_b32_e32 v6, 2, v4
	ds_write_b32 v6, v3
.LBB10_8:                               ;   in Loop: Header=BB10_6 Depth=3
	s_or_b64 exec, exec, s[30:31]
	s_and_saveexec_b64 s[30:31], s[28:29]
	s_cbranch_execz .LBB10_5
; %bb.9:                                ;   in Loop: Header=BB10_6 Depth=3
	v_lshlrev_b32_e32 v6, 2, v5
	ds_write_b32 v6, v3
	s_branch .LBB10_5
.LBB10_10:                              ;   in Loop: Header=BB10_4 Depth=2
	s_or_b64 exec, exec, s[20:21]
	s_sub_i32 s20, 28, s33
	v_lshlrev_b32_e32 v4, s20, v16
	v_lshrrev_b32_e32 v5, 21, v4
	v_and_or_b32 v5, v5, s26, v0
	v_alignbit_b32 v4, v5, v4, 31
	v_lshlrev_b32_e32 v34, 1, v4
	ds_read_u16 v32, v34
	v_lshlrev_b32_e32 v4, s20, v17
	v_lshrrev_b32_e32 v5, 21, v4
	v_and_or_b32 v5, v5, s26, v0
	v_alignbit_b32 v4, v5, v4, 31
	s_waitcnt lgkmcnt(0)
	v_add_u16_e32 v5, 1, v32
	ds_write_b16 v34, v5
	v_lshlrev_b32_e32 v36, 1, v4
	ds_read_u16 v33, v36
	v_lshlrev_b32_e32 v4, s20, v18
	v_lshrrev_b32_e32 v5, 21, v4
	v_and_or_b32 v5, v5, s26, v0
	v_alignbit_b32 v4, v5, v4, 31
	s_waitcnt lgkmcnt(0)
	v_add_u16_e32 v6, 1, v33
	ds_write_b16 v36, v6
	;; [unrolled: 9-line block ×3, first 2 shown]
	v_lshlrev_b32_e32 v40, 1, v4
	ds_read_u16 v37, v40
	v_lshlrev_b32_e32 v4, s20, v20
	s_waitcnt lgkmcnt(0)
	v_add_u16_e32 v5, 1, v37
	ds_write_b16 v40, v5
	v_lshrrev_b32_e32 v5, 21, v4
	v_and_or_b32 v5, v5, s26, v0
	v_alignbit_b32 v4, v5, v4, 31
	v_lshlrev_b32_e32 v42, 1, v4
	ds_read_u16 v39, v42
	s_waitcnt lgkmcnt(0)
	v_add_u16_e32 v4, 1, v39
	ds_write_b16 v42, v4
	v_lshlrev_b32_e32 v4, s20, v21
	v_lshrrev_b32_e32 v5, 21, v4
	v_and_or_b32 v5, v5, s26, v0
	v_alignbit_b32 v4, v5, v4, 31
	v_lshlrev_b32_e32 v44, 1, v4
	ds_read_u16 v41, v44
	s_waitcnt lgkmcnt(0)
	v_add_u16_e32 v4, 1, v41
	ds_write_b16 v44, v4
	v_lshlrev_b32_e32 v4, s20, v22
	;; [unrolled: 9-line block ×11, first 2 shown]
	v_lshrrev_b32_e32 v5, 21, v4
	v_and_or_b32 v5, v5, s26, v0
	v_alignbit_b32 v4, v5, v4, 31
	v_lshlrev_b32_e32 v63, 1, v4
	ds_read_u16 v61, v63
	s_waitcnt lgkmcnt(0)
	v_add_u16_e32 v4, 1, v61
	ds_write_b16 v63, v4
	s_waitcnt lgkmcnt(0)
	s_barrier
	ds_read2_b32 v[10:11], v12 offset1:1
	ds_read2_b32 v[8:9], v12 offset0:2 offset1:3
	ds_read2_b32 v[4:5], v12 offset0:4 offset1:5
	;; [unrolled: 1-line block ×3, first 2 shown]
	s_waitcnt lgkmcnt(3)
	v_add_u32_e32 v64, v11, v10
	s_waitcnt lgkmcnt(2)
	v_add3_u32 v64, v64, v8, v9
	s_waitcnt lgkmcnt(1)
	v_add3_u32 v64, v64, v4, v5
	;; [unrolled: 2-line block ×3, first 2 shown]
	s_nop 1
	v_mov_b32_dpp v64, v7 row_shr:1 row_mask:0xf bank_mask:0xf
	v_cndmask_b32_e64 v64, v64, 0, s[8:9]
	v_add_u32_e32 v7, v64, v7
	s_nop 1
	v_mov_b32_dpp v64, v7 row_shr:2 row_mask:0xf bank_mask:0xf
	v_cndmask_b32_e64 v64, 0, v64, s[10:11]
	v_add_u32_e32 v7, v7, v64
	;; [unrolled: 4-line block ×4, first 2 shown]
	s_nop 1
	v_mov_b32_dpp v64, v7 row_bcast:15 row_mask:0xf bank_mask:0xf
	v_cndmask_b32_e64 v64, v64, 0, s[16:17]
	v_add_u32_e32 v7, v7, v64
	s_nop 1
	v_mov_b32_dpp v64, v7 row_bcast:31 row_mask:0xf bank_mask:0xf
	v_cndmask_b32_e64 v64, 0, v64, s[2:3]
	v_add_u32_e32 v7, v7, v64
	s_and_saveexec_b64 s[20:21], s[4:5]
	s_cbranch_execz .LBB10_12
; %bb.11:                               ;   in Loop: Header=BB10_4 Depth=2
	ds_write_b32 v14, v7 offset:4096
.LBB10_12:                              ;   in Loop: Header=BB10_4 Depth=2
	s_or_b64 exec, exec, s[20:21]
	s_waitcnt lgkmcnt(0)
	s_barrier
	s_and_saveexec_b64 s[20:21], vcc
	s_cbranch_execz .LBB10_14
; %bb.13:                               ;   in Loop: Header=BB10_4 Depth=2
	ds_read_b32 v64, v13 offset:4096
	s_waitcnt lgkmcnt(0)
	s_nop 0
	v_mov_b32_dpp v65, v64 row_shr:1 row_mask:0xf bank_mask:0xf
	v_cndmask_b32_e64 v65, v65, 0, s[18:19]
	v_add_u32_e32 v64, v65, v64
	ds_write_b32 v13, v64 offset:4096
.LBB10_14:                              ;   in Loop: Header=BB10_4 Depth=2
	s_or_b64 exec, exec, s[20:21]
	v_mov_b32_e32 v64, 0
	s_waitcnt lgkmcnt(0)
	s_barrier
	s_and_saveexec_b64 s[20:21], s[0:1]
	s_cbranch_execz .LBB10_3
; %bb.15:                               ;   in Loop: Header=BB10_4 Depth=2
	ds_read_b32 v64, v14 offset:4092
	s_branch .LBB10_3
.LBB10_16:
	ds_read_u16 v0, v63
	ds_read_u16 v1, v62
	;; [unrolled: 1-line block ×16, first 2 shown]
	s_add_u32 s0, s22, s24
	s_waitcnt lgkmcnt(14)
	v_add_u32_sdwa v7, v0, v61 dst_sel:DWORD dst_unused:UNUSED_PAD src0_sel:DWORD src1_sel:WORD_0
	s_waitcnt lgkmcnt(11)
	v_add_u32_sdwa v11, v8, v53 dst_sel:DWORD dst_unused:UNUSED_PAD src0_sel:DWORD src1_sel:WORD_0
	;; [unrolled: 2-line block ×13, first 2 shown]
	s_addc_u32 s1, s23, s25
	v_lshlrev_b32_e32 v0, 2, v2
	v_add_u32_sdwa v6, v1, v59 dst_sel:DWORD dst_unused:UNUSED_PAD src0_sel:DWORD src1_sel:WORD_0
	v_add_u32_sdwa v5, v3, v57 dst_sel:DWORD dst_unused:UNUSED_PAD src0_sel:DWORD src1_sel:WORD_0
	;; [unrolled: 1-line block ×3, first 2 shown]
	global_store_dwordx4 v0, v[16:19], s[0:1]
	global_store_dwordx4 v0, v[12:15], s[0:1] offset:16
	global_store_dwordx4 v0, v[8:11], s[0:1] offset:32
	;; [unrolled: 1-line block ×3, first 2 shown]
	s_endpgm
	.section	.rodata,"a",@progbits
	.p2align	6, 0x0
	.amdhsa_kernel _Z11rank_kernelIiLj4ELb0EL18RadixRankAlgorithm1ELj128ELj16ELj10EEvPKT_Pi
		.amdhsa_group_segment_fixed_size 4104
		.amdhsa_private_segment_fixed_size 0
		.amdhsa_kernarg_size 16
		.amdhsa_user_sgpr_count 6
		.amdhsa_user_sgpr_private_segment_buffer 1
		.amdhsa_user_sgpr_dispatch_ptr 0
		.amdhsa_user_sgpr_queue_ptr 0
		.amdhsa_user_sgpr_kernarg_segment_ptr 1
		.amdhsa_user_sgpr_dispatch_id 0
		.amdhsa_user_sgpr_flat_scratch_init 0
		.amdhsa_user_sgpr_kernarg_preload_length 0
		.amdhsa_user_sgpr_kernarg_preload_offset 0
		.amdhsa_user_sgpr_private_segment_size 0
		.amdhsa_uses_dynamic_stack 0
		.amdhsa_system_sgpr_private_segment_wavefront_offset 0
		.amdhsa_system_sgpr_workgroup_id_x 1
		.amdhsa_system_sgpr_workgroup_id_y 0
		.amdhsa_system_sgpr_workgroup_id_z 0
		.amdhsa_system_sgpr_workgroup_info 0
		.amdhsa_system_vgpr_workitem_id 0
		.amdhsa_next_free_vgpr 66
		.amdhsa_next_free_sgpr 38
		.amdhsa_accum_offset 68
		.amdhsa_reserve_vcc 1
		.amdhsa_reserve_flat_scratch 0
		.amdhsa_float_round_mode_32 0
		.amdhsa_float_round_mode_16_64 0
		.amdhsa_float_denorm_mode_32 3
		.amdhsa_float_denorm_mode_16_64 3
		.amdhsa_dx10_clamp 1
		.amdhsa_ieee_mode 1
		.amdhsa_fp16_overflow 0
		.amdhsa_tg_split 0
		.amdhsa_exception_fp_ieee_invalid_op 0
		.amdhsa_exception_fp_denorm_src 0
		.amdhsa_exception_fp_ieee_div_zero 0
		.amdhsa_exception_fp_ieee_overflow 0
		.amdhsa_exception_fp_ieee_underflow 0
		.amdhsa_exception_fp_ieee_inexact 0
		.amdhsa_exception_int_div_zero 0
	.end_amdhsa_kernel
	.section	.text._Z11rank_kernelIiLj4ELb0EL18RadixRankAlgorithm1ELj128ELj16ELj10EEvPKT_Pi,"axG",@progbits,_Z11rank_kernelIiLj4ELb0EL18RadixRankAlgorithm1ELj128ELj16ELj10EEvPKT_Pi,comdat
.Lfunc_end10:
	.size	_Z11rank_kernelIiLj4ELb0EL18RadixRankAlgorithm1ELj128ELj16ELj10EEvPKT_Pi, .Lfunc_end10-_Z11rank_kernelIiLj4ELb0EL18RadixRankAlgorithm1ELj128ELj16ELj10EEvPKT_Pi
                                        ; -- End function
	.section	.AMDGPU.csdata,"",@progbits
; Kernel info:
; codeLenInByte = 2224
; NumSgprs: 42
; NumVgprs: 66
; NumAgprs: 0
; TotalNumVgprs: 66
; ScratchSize: 0
; MemoryBound: 0
; FloatMode: 240
; IeeeMode: 1
; LDSByteSize: 4104 bytes/workgroup (compile time only)
; SGPRBlocks: 5
; VGPRBlocks: 8
; NumSGPRsForWavesPerEU: 42
; NumVGPRsForWavesPerEU: 66
; AccumOffset: 68
; Occupancy: 7
; WaveLimiterHint : 0
; COMPUTE_PGM_RSRC2:SCRATCH_EN: 0
; COMPUTE_PGM_RSRC2:USER_SGPR: 6
; COMPUTE_PGM_RSRC2:TRAP_HANDLER: 0
; COMPUTE_PGM_RSRC2:TGID_X_EN: 1
; COMPUTE_PGM_RSRC2:TGID_Y_EN: 0
; COMPUTE_PGM_RSRC2:TGID_Z_EN: 0
; COMPUTE_PGM_RSRC2:TIDIG_COMP_CNT: 0
; COMPUTE_PGM_RSRC3_GFX90A:ACCUM_OFFSET: 16
; COMPUTE_PGM_RSRC3_GFX90A:TG_SPLIT: 0
	.section	.text._Z11rank_kernelIiLj4ELb0EL18RadixRankAlgorithm2ELj128ELj16ELj10EEvPKT_Pi,"axG",@progbits,_Z11rank_kernelIiLj4ELb0EL18RadixRankAlgorithm2ELj128ELj16ELj10EEvPKT_Pi,comdat
	.protected	_Z11rank_kernelIiLj4ELb0EL18RadixRankAlgorithm2ELj128ELj16ELj10EEvPKT_Pi ; -- Begin function _Z11rank_kernelIiLj4ELb0EL18RadixRankAlgorithm2ELj128ELj16ELj10EEvPKT_Pi
	.globl	_Z11rank_kernelIiLj4ELb0EL18RadixRankAlgorithm2ELj128ELj16ELj10EEvPKT_Pi
	.p2align	8
	.type	_Z11rank_kernelIiLj4ELb0EL18RadixRankAlgorithm2ELj128ELj16ELj10EEvPKT_Pi,@function
_Z11rank_kernelIiLj4ELb0EL18RadixRankAlgorithm2ELj128ELj16ELj10EEvPKT_Pi: ; @_Z11rank_kernelIiLj4ELb0EL18RadixRankAlgorithm2ELj128ELj16ELj10EEvPKT_Pi
; %bb.0:
	s_load_dwordx4 s[24:27], s[4:5], 0x0
	s_load_dword s20, s[4:5], 0x1c
	s_lshl_b32 s30, s6, 11
	s_mov_b32 s31, 0
	s_lshl_b64 s[28:29], s[30:31], 2
	s_waitcnt lgkmcnt(0)
	s_add_u32 s0, s24, s28
	v_and_b32_e32 v4, 0x3ff, v0
	s_addc_u32 s1, s25, s29
	v_lshlrev_b32_e32 v1, 6, v4
	global_load_dwordx4 v[10:13], v1, s[0:1]
	global_load_dwordx4 v[14:17], v1, s[0:1] offset:16
	global_load_dwordx4 v[18:21], v1, s[0:1] offset:32
	;; [unrolled: 1-line block ×3, first 2 shown]
	v_mbcnt_lo_u32_b32 v1, -1, 0
	v_mbcnt_hi_u32_b32 v6, -1, v1
	v_bfe_u32 v3, v0, 10, 10
	v_bfe_u32 v5, v0, 20, 10
	v_add_u32_e32 v26, -1, v6
	v_and_b32_e32 v27, 64, v6
	s_lshr_b32 s21, s20, 16
	v_and_b32_e32 v7, 15, v6
	v_or_b32_e32 v9, 63, v4
	v_lshrrev_b32_e32 v28, 4, v4
	v_cmp_lt_i32_e64 s[18:19], v26, v27
	s_and_b32 s20, s20, 0xffff
	v_mad_u32_u24 v3, v5, s21, v3
	v_lshlrev_b32_e32 v0, 4, v4
	v_lshlrev_b32_e32 v1, 2, v4
	v_and_b32_e32 v8, 16, v6
	v_cmp_lt_u32_e32 vcc, 31, v6
	v_cmp_gt_u32_e64 s[0:1], 2, v4
	v_cmp_lt_u32_e64 s[2:3], 63, v4
	v_cmp_eq_u32_e64 s[4:5], 0, v6
	v_and_b32_e32 v29, 1, v6
	v_cmp_eq_u32_e64 s[6:7], 0, v7
	v_cmp_lt_u32_e64 s[8:9], 1, v7
	v_cmp_lt_u32_e64 s[10:11], 3, v7
	;; [unrolled: 1-line block ×3, first 2 shown]
	v_cmp_eq_u32_e64 s[16:17], v9, v4
	v_cndmask_b32_e64 v7, v26, v6, s[18:19]
	v_and_b32_e32 v6, 4, v28
	v_mad_u64_u32 v[4:5], s[20:21], v3, s20, v[4:5]
	v_mov_b32_e32 v2, 0
	v_cmp_eq_u32_e64 s[14:15], 0, v8
	v_cmp_eq_u32_e64 s[18:19], 0, v29
	v_lshlrev_b32_e32 v7, 2, v7
	v_lshrrev_b32_e32 v8, 6, v4
	s_waitcnt vmcnt(3)
	v_xor_b32_e32 v9, 0x80000000, v10
	v_xor_b32_e32 v10, 0x80000000, v11
	v_xor_b32_e32 v11, 0x80000000, v12
	v_xor_b32_e32 v12, 0x80000000, v13
	s_waitcnt vmcnt(2)
	v_xor_b32_e32 v13, 0x80000000, v14
	v_xor_b32_e32 v14, 0x80000000, v15
	v_xor_b32_e32 v15, 0x80000000, v16
	v_xor_b32_e32 v16, 0x80000000, v17
	;; [unrolled: 5-line block ×4, first 2 shown]
	v_add_u32_e32 v25, -4, v6
	s_branch .LBB11_2
.LBB11_1:                               ;   in Loop: Header=BB11_2 Depth=1
	s_add_i32 s31, s31, 1
	s_cmp_eq_u32 s31, 10
	s_cbranch_scc1 .LBB11_42
.LBB11_2:                               ; =>This Loop Header: Depth=1
                                        ;     Child Loop BB11_4 Depth 2
	s_mov_b32 s24, -4
	s_mov_b32 s25, 28
	s_branch .LBB11_4
.LBB11_3:                               ;   in Loop: Header=BB11_4 Depth=2
	s_or_b64 exec, exec, s[20:21]
	s_waitcnt lgkmcnt(0)
	v_add_u32_e32 v4, v5, v4
	ds_bpermute_b32 v4, v7, v4
	s_add_i32 s25, s25, -4
	s_add_i32 s24, s24, 4
	s_cmp_lt_u32 s24, 28
	s_waitcnt lgkmcnt(0)
	v_cndmask_b32_e64 v4, v4, v5, s[4:5]
	ds_write_b32 v1, v4 offset:8
	s_waitcnt lgkmcnt(0)
	s_barrier
	s_cbranch_scc0 .LBB11_1
.LBB11_4:                               ;   Parent Loop BB11_2 Depth=1
                                        ; =>  This Inner Loop Header: Depth=2
	v_lshlrev_b32_e32 v4, s25, v9
	v_lshrrev_b32_e32 v5, 28, v4
	v_mad_u32_u24 v3, v5, 3, v8
	v_lshl_add_u32 v26, v3, 2, 8
	v_bfe_u32 v3, v4, 28, 1
	v_add_co_u32_e64 v27, s[20:21], -1, v3
	v_addc_co_u32_e64 v28, s[20:21], 0, -1, s[20:21]
	v_cmp_ne_u32_e64 s[20:21], 0, v3
	v_xor_b32_e32 v3, s21, v28
	v_and_b32_e32 v28, exec_hi, v3
	v_lshlrev_b32_e32 v3, 30, v5
	v_xor_b32_e32 v27, s20, v27
	v_cmp_gt_i64_e64 s[20:21], 0, v[2:3]
	v_not_b32_e32 v3, v3
	v_ashrrev_i32_e32 v3, 31, v3
	v_and_b32_e32 v27, exec_lo, v27
	v_xor_b32_e32 v29, s21, v3
	v_xor_b32_e32 v3, s20, v3
	v_and_b32_e32 v27, v27, v3
	v_lshlrev_b32_e32 v3, 29, v5
	v_cmp_gt_i64_e64 s[20:21], 0, v[2:3]
	v_not_b32_e32 v3, v3
	v_ashrrev_i32_e32 v3, 31, v3
	v_xor_b32_e32 v5, s21, v3
	v_xor_b32_e32 v3, s20, v3
	v_and_b32_e32 v27, v27, v3
	v_and_b32_e32 v3, 0xf0000000, v4
	v_cmp_gt_i64_e64 s[20:21], 0, v[2:3]
	v_not_b32_e32 v3, v3
	v_and_b32_e32 v28, v28, v29
	v_ashrrev_i32_e32 v3, 31, v3
	v_and_b32_e32 v5, v28, v5
	v_xor_b32_e32 v4, s21, v3
	v_xor_b32_e32 v3, s20, v3
	v_and_b32_e32 v5, v5, v4
	v_and_b32_e32 v4, v27, v3
	v_mbcnt_lo_u32_b32 v3, v4, 0
	v_mbcnt_hi_u32_b32 v27, v5, v3
	v_cmp_eq_u32_e64 s[20:21], 0, v27
	v_cmp_ne_u64_e64 s[22:23], 0, v[4:5]
	s_and_b64 s[22:23], s[22:23], s[20:21]
	ds_write_b32 v1, v2 offset:8
	s_waitcnt lgkmcnt(0)
	s_barrier
	s_waitcnt lgkmcnt(0)
	; wave barrier
	s_and_saveexec_b64 s[20:21], s[22:23]
	s_cbranch_execz .LBB11_6
; %bb.5:                                ;   in Loop: Header=BB11_4 Depth=2
	v_bcnt_u32_b32 v3, v4, 0
	v_bcnt_u32_b32 v3, v5, v3
	ds_write_b32 v26, v3
.LBB11_6:                               ;   in Loop: Header=BB11_4 Depth=2
	s_or_b64 exec, exec, s[20:21]
	v_lshlrev_b32_e32 v4, s25, v10
	v_lshrrev_b32_e32 v5, 28, v4
	v_mul_u32_u24_e32 v3, 3, v5
	v_add_lshl_u32 v3, v8, v3, 2
	; wave barrier
	v_add_u32_e32 v29, 8, v3
	ds_read_b32 v28, v3 offset:8
	v_bfe_u32 v3, v4, 28, 1
	v_add_co_u32_e64 v30, s[20:21], -1, v3
	v_addc_co_u32_e64 v31, s[20:21], 0, -1, s[20:21]
	v_cmp_ne_u32_e64 s[20:21], 0, v3
	v_xor_b32_e32 v3, s21, v31
	v_and_b32_e32 v31, exec_hi, v3
	v_lshlrev_b32_e32 v3, 30, v5
	v_xor_b32_e32 v30, s20, v30
	v_cmp_gt_i64_e64 s[20:21], 0, v[2:3]
	v_not_b32_e32 v3, v3
	v_ashrrev_i32_e32 v3, 31, v3
	v_and_b32_e32 v30, exec_lo, v30
	v_xor_b32_e32 v32, s21, v3
	v_xor_b32_e32 v3, s20, v3
	v_and_b32_e32 v30, v30, v3
	v_lshlrev_b32_e32 v3, 29, v5
	v_cmp_gt_i64_e64 s[20:21], 0, v[2:3]
	v_not_b32_e32 v3, v3
	v_ashrrev_i32_e32 v3, 31, v3
	v_xor_b32_e32 v5, s21, v3
	v_xor_b32_e32 v3, s20, v3
	v_and_b32_e32 v30, v30, v3
	v_and_b32_e32 v3, 0xf0000000, v4
	v_cmp_gt_i64_e64 s[20:21], 0, v[2:3]
	v_not_b32_e32 v3, v3
	v_and_b32_e32 v31, v31, v32
	v_ashrrev_i32_e32 v3, 31, v3
	v_and_b32_e32 v5, v31, v5
	v_xor_b32_e32 v4, s21, v3
	v_xor_b32_e32 v3, s20, v3
	v_and_b32_e32 v5, v5, v4
	v_and_b32_e32 v4, v30, v3
	v_mbcnt_lo_u32_b32 v3, v4, 0
	v_mbcnt_hi_u32_b32 v30, v5, v3
	v_cmp_eq_u32_e64 s[20:21], 0, v30
	v_cmp_ne_u64_e64 s[22:23], 0, v[4:5]
	s_and_b64 s[22:23], s[22:23], s[20:21]
	; wave barrier
	s_and_saveexec_b64 s[20:21], s[22:23]
	s_cbranch_execz .LBB11_8
; %bb.7:                                ;   in Loop: Header=BB11_4 Depth=2
	v_bcnt_u32_b32 v3, v4, 0
	v_bcnt_u32_b32 v3, v5, v3
	s_waitcnt lgkmcnt(0)
	v_add_u32_e32 v3, v28, v3
	ds_write_b32 v29, v3
.LBB11_8:                               ;   in Loop: Header=BB11_4 Depth=2
	s_or_b64 exec, exec, s[20:21]
	v_lshlrev_b32_e32 v4, s25, v11
	v_lshrrev_b32_e32 v5, 28, v4
	v_mul_u32_u24_e32 v3, 3, v5
	v_add_lshl_u32 v3, v8, v3, 2
	; wave barrier
	v_add_u32_e32 v32, 8, v3
	ds_read_b32 v31, v3 offset:8
	v_bfe_u32 v3, v4, 28, 1
	v_add_co_u32_e64 v33, s[20:21], -1, v3
	v_addc_co_u32_e64 v34, s[20:21], 0, -1, s[20:21]
	v_cmp_ne_u32_e64 s[20:21], 0, v3
	v_xor_b32_e32 v3, s21, v34
	v_and_b32_e32 v34, exec_hi, v3
	v_lshlrev_b32_e32 v3, 30, v5
	v_xor_b32_e32 v33, s20, v33
	v_cmp_gt_i64_e64 s[20:21], 0, v[2:3]
	v_not_b32_e32 v3, v3
	v_ashrrev_i32_e32 v3, 31, v3
	v_and_b32_e32 v33, exec_lo, v33
	v_xor_b32_e32 v35, s21, v3
	v_xor_b32_e32 v3, s20, v3
	v_and_b32_e32 v33, v33, v3
	v_lshlrev_b32_e32 v3, 29, v5
	v_cmp_gt_i64_e64 s[20:21], 0, v[2:3]
	v_not_b32_e32 v3, v3
	v_ashrrev_i32_e32 v3, 31, v3
	v_xor_b32_e32 v5, s21, v3
	v_xor_b32_e32 v3, s20, v3
	v_and_b32_e32 v33, v33, v3
	v_and_b32_e32 v3, 0xf0000000, v4
	v_cmp_gt_i64_e64 s[20:21], 0, v[2:3]
	v_not_b32_e32 v3, v3
	v_and_b32_e32 v34, v34, v35
	v_ashrrev_i32_e32 v3, 31, v3
	v_and_b32_e32 v5, v34, v5
	v_xor_b32_e32 v4, s21, v3
	v_xor_b32_e32 v3, s20, v3
	v_and_b32_e32 v5, v5, v4
	v_and_b32_e32 v4, v33, v3
	v_mbcnt_lo_u32_b32 v3, v4, 0
	v_mbcnt_hi_u32_b32 v33, v5, v3
	v_cmp_eq_u32_e64 s[20:21], 0, v33
	v_cmp_ne_u64_e64 s[22:23], 0, v[4:5]
	s_and_b64 s[22:23], s[22:23], s[20:21]
	; wave barrier
	s_and_saveexec_b64 s[20:21], s[22:23]
	s_cbranch_execz .LBB11_10
; %bb.9:                                ;   in Loop: Header=BB11_4 Depth=2
	v_bcnt_u32_b32 v3, v4, 0
	v_bcnt_u32_b32 v3, v5, v3
	s_waitcnt lgkmcnt(0)
	v_add_u32_e32 v3, v31, v3
	ds_write_b32 v32, v3
.LBB11_10:                              ;   in Loop: Header=BB11_4 Depth=2
	s_or_b64 exec, exec, s[20:21]
	v_lshlrev_b32_e32 v4, s25, v12
	v_lshrrev_b32_e32 v5, 28, v4
	v_mul_u32_u24_e32 v3, 3, v5
	v_add_lshl_u32 v3, v8, v3, 2
	; wave barrier
	v_add_u32_e32 v35, 8, v3
	ds_read_b32 v34, v3 offset:8
	v_bfe_u32 v3, v4, 28, 1
	v_add_co_u32_e64 v36, s[20:21], -1, v3
	v_addc_co_u32_e64 v37, s[20:21], 0, -1, s[20:21]
	v_cmp_ne_u32_e64 s[20:21], 0, v3
	v_xor_b32_e32 v3, s21, v37
	v_and_b32_e32 v37, exec_hi, v3
	v_lshlrev_b32_e32 v3, 30, v5
	v_xor_b32_e32 v36, s20, v36
	v_cmp_gt_i64_e64 s[20:21], 0, v[2:3]
	v_not_b32_e32 v3, v3
	v_ashrrev_i32_e32 v3, 31, v3
	v_and_b32_e32 v36, exec_lo, v36
	v_xor_b32_e32 v38, s21, v3
	v_xor_b32_e32 v3, s20, v3
	v_and_b32_e32 v36, v36, v3
	v_lshlrev_b32_e32 v3, 29, v5
	v_cmp_gt_i64_e64 s[20:21], 0, v[2:3]
	v_not_b32_e32 v3, v3
	v_ashrrev_i32_e32 v3, 31, v3
	v_xor_b32_e32 v5, s21, v3
	v_xor_b32_e32 v3, s20, v3
	v_and_b32_e32 v36, v36, v3
	v_and_b32_e32 v3, 0xf0000000, v4
	v_cmp_gt_i64_e64 s[20:21], 0, v[2:3]
	v_not_b32_e32 v3, v3
	v_and_b32_e32 v37, v37, v38
	v_ashrrev_i32_e32 v3, 31, v3
	v_and_b32_e32 v5, v37, v5
	v_xor_b32_e32 v4, s21, v3
	v_xor_b32_e32 v3, s20, v3
	v_and_b32_e32 v5, v5, v4
	v_and_b32_e32 v4, v36, v3
	v_mbcnt_lo_u32_b32 v3, v4, 0
	v_mbcnt_hi_u32_b32 v36, v5, v3
	v_cmp_eq_u32_e64 s[20:21], 0, v36
	v_cmp_ne_u64_e64 s[22:23], 0, v[4:5]
	s_and_b64 s[22:23], s[22:23], s[20:21]
	; wave barrier
	s_and_saveexec_b64 s[20:21], s[22:23]
	s_cbranch_execz .LBB11_12
; %bb.11:                               ;   in Loop: Header=BB11_4 Depth=2
	v_bcnt_u32_b32 v3, v4, 0
	v_bcnt_u32_b32 v3, v5, v3
	s_waitcnt lgkmcnt(0)
	v_add_u32_e32 v3, v34, v3
	ds_write_b32 v35, v3
.LBB11_12:                              ;   in Loop: Header=BB11_4 Depth=2
	s_or_b64 exec, exec, s[20:21]
	v_lshlrev_b32_e32 v4, s25, v13
	v_lshrrev_b32_e32 v5, 28, v4
	v_mul_u32_u24_e32 v3, 3, v5
	v_add_lshl_u32 v3, v8, v3, 2
	; wave barrier
	v_add_u32_e32 v38, 8, v3
	ds_read_b32 v37, v3 offset:8
	v_bfe_u32 v3, v4, 28, 1
	v_add_co_u32_e64 v39, s[20:21], -1, v3
	v_addc_co_u32_e64 v40, s[20:21], 0, -1, s[20:21]
	v_cmp_ne_u32_e64 s[20:21], 0, v3
	v_xor_b32_e32 v3, s21, v40
	v_and_b32_e32 v40, exec_hi, v3
	v_lshlrev_b32_e32 v3, 30, v5
	v_xor_b32_e32 v39, s20, v39
	v_cmp_gt_i64_e64 s[20:21], 0, v[2:3]
	v_not_b32_e32 v3, v3
	v_ashrrev_i32_e32 v3, 31, v3
	v_and_b32_e32 v39, exec_lo, v39
	v_xor_b32_e32 v41, s21, v3
	v_xor_b32_e32 v3, s20, v3
	v_and_b32_e32 v39, v39, v3
	v_lshlrev_b32_e32 v3, 29, v5
	v_cmp_gt_i64_e64 s[20:21], 0, v[2:3]
	v_not_b32_e32 v3, v3
	v_ashrrev_i32_e32 v3, 31, v3
	v_xor_b32_e32 v5, s21, v3
	v_xor_b32_e32 v3, s20, v3
	v_and_b32_e32 v39, v39, v3
	v_and_b32_e32 v3, 0xf0000000, v4
	v_cmp_gt_i64_e64 s[20:21], 0, v[2:3]
	v_not_b32_e32 v3, v3
	v_and_b32_e32 v40, v40, v41
	v_ashrrev_i32_e32 v3, 31, v3
	v_and_b32_e32 v5, v40, v5
	v_xor_b32_e32 v4, s21, v3
	v_xor_b32_e32 v3, s20, v3
	v_and_b32_e32 v5, v5, v4
	v_and_b32_e32 v4, v39, v3
	v_mbcnt_lo_u32_b32 v3, v4, 0
	v_mbcnt_hi_u32_b32 v39, v5, v3
	v_cmp_eq_u32_e64 s[20:21], 0, v39
	v_cmp_ne_u64_e64 s[22:23], 0, v[4:5]
	s_and_b64 s[22:23], s[22:23], s[20:21]
	; wave barrier
	s_and_saveexec_b64 s[20:21], s[22:23]
	s_cbranch_execz .LBB11_14
; %bb.13:                               ;   in Loop: Header=BB11_4 Depth=2
	v_bcnt_u32_b32 v3, v4, 0
	v_bcnt_u32_b32 v3, v5, v3
	s_waitcnt lgkmcnt(0)
	v_add_u32_e32 v3, v37, v3
	ds_write_b32 v38, v3
.LBB11_14:                              ;   in Loop: Header=BB11_4 Depth=2
	;; [unrolled: 55-line block ×13, first 2 shown]
	s_or_b64 exec, exec, s[20:21]
	; wave barrier
	s_waitcnt lgkmcnt(0)
	s_barrier
	ds_read_b32 v4, v1 offset:8
	s_waitcnt lgkmcnt(0)
	s_nop 0
	v_mov_b32_dpp v5, v4 row_shr:1 row_mask:0xf bank_mask:0xf
	v_cndmask_b32_e64 v5, v5, 0, s[6:7]
	v_add_u32_e32 v4, v5, v4
	s_nop 1
	v_mov_b32_dpp v5, v4 row_shr:2 row_mask:0xf bank_mask:0xf
	v_cndmask_b32_e64 v5, 0, v5, s[8:9]
	v_add_u32_e32 v4, v4, v5
	;; [unrolled: 4-line block ×4, first 2 shown]
	s_nop 1
	v_mov_b32_dpp v5, v4 row_bcast:15 row_mask:0xf bank_mask:0xf
	v_cndmask_b32_e64 v5, v5, 0, s[14:15]
	v_add_u32_e32 v4, v4, v5
	s_nop 1
	v_mov_b32_dpp v5, v4 row_bcast:31 row_mask:0xf bank_mask:0xf
	v_cndmask_b32_e32 v5, 0, v5, vcc
	v_add_u32_e32 v4, v4, v5
	s_and_saveexec_b64 s[20:21], s[16:17]
	s_xor_b64 s[20:21], exec, s[20:21]
	s_cbranch_execz .LBB11_38
; %bb.37:                               ;   in Loop: Header=BB11_4 Depth=2
	ds_write_b32 v6, v4
.LBB11_38:                              ;   in Loop: Header=BB11_4 Depth=2
	s_or_b64 exec, exec, s[20:21]
	s_waitcnt lgkmcnt(0)
	s_barrier
	s_and_saveexec_b64 s[20:21], s[0:1]
	s_cbranch_execz .LBB11_40
; %bb.39:                               ;   in Loop: Header=BB11_4 Depth=2
	ds_read_b32 v5, v1
	s_waitcnt lgkmcnt(0)
	s_nop 0
	v_mov_b32_dpp v72, v5 row_shr:1 row_mask:0xf bank_mask:0xf
	v_cndmask_b32_e64 v72, v72, 0, s[18:19]
	v_add_u32_e32 v5, v72, v5
	ds_write_b32 v1, v5
.LBB11_40:                              ;   in Loop: Header=BB11_4 Depth=2
	s_or_b64 exec, exec, s[20:21]
	v_mov_b32_e32 v5, 0
	s_waitcnt lgkmcnt(0)
	s_barrier
	s_and_saveexec_b64 s[20:21], s[2:3]
	s_cbranch_execz .LBB11_3
; %bb.41:                               ;   in Loop: Header=BB11_4 Depth=2
	ds_read_b32 v5, v25
	s_branch .LBB11_3
.LBB11_42:
	ds_read_b32 v2, v71
	ds_read_b32 v8, v69
	;; [unrolled: 1-line block ×16, first 2 shown]
	s_add_u32 s0, s26, s28
	s_addc_u32 s1, s27, s29
	v_lshlrev_b32_e32 v19, 2, v0
	s_waitcnt lgkmcnt(1)
	v_add3_u32 v5, v30, v28, v4
	s_waitcnt lgkmcnt(0)
	v_add_u32_e32 v4, v7, v27
	v_add3_u32 v7, v36, v34, v6
	v_add3_u32 v6, v33, v31, v18
	global_store_dwordx4 v19, v[4:7], s[0:1]
	v_add3_u32 v1, v66, v64, v1
	v_add3_u32 v5, v42, v40, v16
	;; [unrolled: 1-line block ×5, first 2 shown]
	global_store_dwordx4 v19, v[4:7], s[0:1] offset:16
	v_add3_u32 v0, v63, v61, v9
	v_add3_u32 v5, v54, v52, v12
	;; [unrolled: 1-line block ×7, first 2 shown]
	global_store_dwordx4 v19, v[4:7], s[0:1] offset:32
	global_store_dwordx4 v19, v[0:3], s[0:1] offset:48
	s_endpgm
	.section	.rodata,"a",@progbits
	.p2align	6, 0x0
	.amdhsa_kernel _Z11rank_kernelIiLj4ELb0EL18RadixRankAlgorithm2ELj128ELj16ELj10EEvPKT_Pi
		.amdhsa_group_segment_fixed_size 520
		.amdhsa_private_segment_fixed_size 0
		.amdhsa_kernarg_size 272
		.amdhsa_user_sgpr_count 6
		.amdhsa_user_sgpr_private_segment_buffer 1
		.amdhsa_user_sgpr_dispatch_ptr 0
		.amdhsa_user_sgpr_queue_ptr 0
		.amdhsa_user_sgpr_kernarg_segment_ptr 1
		.amdhsa_user_sgpr_dispatch_id 0
		.amdhsa_user_sgpr_flat_scratch_init 0
		.amdhsa_user_sgpr_kernarg_preload_length 0
		.amdhsa_user_sgpr_kernarg_preload_offset 0
		.amdhsa_user_sgpr_private_segment_size 0
		.amdhsa_uses_dynamic_stack 0
		.amdhsa_system_sgpr_private_segment_wavefront_offset 0
		.amdhsa_system_sgpr_workgroup_id_x 1
		.amdhsa_system_sgpr_workgroup_id_y 0
		.amdhsa_system_sgpr_workgroup_id_z 0
		.amdhsa_system_sgpr_workgroup_info 0
		.amdhsa_system_vgpr_workitem_id 2
		.amdhsa_next_free_vgpr 75
		.amdhsa_next_free_sgpr 32
		.amdhsa_accum_offset 76
		.amdhsa_reserve_vcc 1
		.amdhsa_reserve_flat_scratch 0
		.amdhsa_float_round_mode_32 0
		.amdhsa_float_round_mode_16_64 0
		.amdhsa_float_denorm_mode_32 3
		.amdhsa_float_denorm_mode_16_64 3
		.amdhsa_dx10_clamp 1
		.amdhsa_ieee_mode 1
		.amdhsa_fp16_overflow 0
		.amdhsa_tg_split 0
		.amdhsa_exception_fp_ieee_invalid_op 0
		.amdhsa_exception_fp_denorm_src 0
		.amdhsa_exception_fp_ieee_div_zero 0
		.amdhsa_exception_fp_ieee_overflow 0
		.amdhsa_exception_fp_ieee_underflow 0
		.amdhsa_exception_fp_ieee_inexact 0
		.amdhsa_exception_int_div_zero 0
	.end_amdhsa_kernel
	.section	.text._Z11rank_kernelIiLj4ELb0EL18RadixRankAlgorithm2ELj128ELj16ELj10EEvPKT_Pi,"axG",@progbits,_Z11rank_kernelIiLj4ELb0EL18RadixRankAlgorithm2ELj128ELj16ELj10EEvPKT_Pi,comdat
.Lfunc_end11:
	.size	_Z11rank_kernelIiLj4ELb0EL18RadixRankAlgorithm2ELj128ELj16ELj10EEvPKT_Pi, .Lfunc_end11-_Z11rank_kernelIiLj4ELb0EL18RadixRankAlgorithm2ELj128ELj16ELj10EEvPKT_Pi
                                        ; -- End function
	.section	.AMDGPU.csdata,"",@progbits
; Kernel info:
; codeLenInByte = 5480
; NumSgprs: 36
; NumVgprs: 75
; NumAgprs: 0
; TotalNumVgprs: 75
; ScratchSize: 0
; MemoryBound: 0
; FloatMode: 240
; IeeeMode: 1
; LDSByteSize: 520 bytes/workgroup (compile time only)
; SGPRBlocks: 4
; VGPRBlocks: 9
; NumSGPRsForWavesPerEU: 36
; NumVGPRsForWavesPerEU: 75
; AccumOffset: 76
; Occupancy: 6
; WaveLimiterHint : 0
; COMPUTE_PGM_RSRC2:SCRATCH_EN: 0
; COMPUTE_PGM_RSRC2:USER_SGPR: 6
; COMPUTE_PGM_RSRC2:TRAP_HANDLER: 0
; COMPUTE_PGM_RSRC2:TGID_X_EN: 1
; COMPUTE_PGM_RSRC2:TGID_Y_EN: 0
; COMPUTE_PGM_RSRC2:TGID_Z_EN: 0
; COMPUTE_PGM_RSRC2:TIDIG_COMP_CNT: 2
; COMPUTE_PGM_RSRC3_GFX90A:ACCUM_OFFSET: 18
; COMPUTE_PGM_RSRC3_GFX90A:TG_SPLIT: 0
	.section	.text._Z11rank_kernelIiLj4ELb0EL18RadixRankAlgorithm0ELj128ELj32ELj10EEvPKT_Pi,"axG",@progbits,_Z11rank_kernelIiLj4ELb0EL18RadixRankAlgorithm0ELj128ELj32ELj10EEvPKT_Pi,comdat
	.protected	_Z11rank_kernelIiLj4ELb0EL18RadixRankAlgorithm0ELj128ELj32ELj10EEvPKT_Pi ; -- Begin function _Z11rank_kernelIiLj4ELb0EL18RadixRankAlgorithm0ELj128ELj32ELj10EEvPKT_Pi
	.globl	_Z11rank_kernelIiLj4ELb0EL18RadixRankAlgorithm0ELj128ELj32ELj10EEvPKT_Pi
	.p2align	8
	.type	_Z11rank_kernelIiLj4ELb0EL18RadixRankAlgorithm0ELj128ELj32ELj10EEvPKT_Pi,@function
_Z11rank_kernelIiLj4ELb0EL18RadixRankAlgorithm0ELj128ELj32ELj10EEvPKT_Pi: ; @_Z11rank_kernelIiLj4ELb0EL18RadixRankAlgorithm0ELj128ELj32ELj10EEvPKT_Pi
; %bb.0:
	s_load_dwordx4 s[20:23], s[4:5], 0x0
	s_lshl_b32 s26, s6, 12
	s_mov_b32 s27, 0
	s_lshl_b64 s[24:25], s[26:27], 2
	v_lshlrev_b32_e32 v1, 7, v0
	s_waitcnt lgkmcnt(0)
	s_add_u32 s0, s20, s24
	s_addc_u32 s1, s21, s25
	global_load_dwordx4 v[10:13], v1, s[0:1]
	global_load_dwordx4 v[14:17], v1, s[0:1] offset:16
	global_load_dwordx4 v[18:21], v1, s[0:1] offset:32
	;; [unrolled: 1-line block ×7, first 2 shown]
	v_mbcnt_lo_u32_b32 v1, -1, 0
	v_mbcnt_hi_u32_b32 v4, -1, v1
	v_or_b32_e32 v5, 63, v0
	v_cmp_eq_u32_e64 s[4:5], v5, v0
	v_add_u32_e32 v5, -1, v4
	v_and_b32_e32 v42, 64, v4
	v_cmp_lt_i32_e64 s[18:19], v5, v42
	v_lshrrev_b32_e32 v7, 4, v0
	v_and_b32_e32 v8, 15, v4
	v_and_b32_e32 v9, 16, v4
	v_cmp_lt_u32_e64 s[2:3], 31, v4
	v_cmp_eq_u32_e64 s[6:7], 0, v4
	v_and_b32_e32 v43, 1, v4
	v_cndmask_b32_e64 v4, v5, v4, s[18:19]
	v_mov_b32_e32 v3, 0
	v_lshlrev_b32_e32 v2, 5, v0
	v_cmp_gt_u32_e32 vcc, 2, v0
	v_cmp_lt_u32_e64 s[0:1], 63, v0
	v_lshlrev_b32_e32 v6, 2, v0
	v_or_b32_e32 v1, 0x80, v0
	v_and_b32_e32 v7, 4, v7
	v_cmp_eq_u32_e64 s[8:9], 0, v8
	v_cmp_lt_u32_e64 s[10:11], 1, v8
	v_cmp_lt_u32_e64 s[12:13], 3, v8
	;; [unrolled: 1-line block ×3, first 2 shown]
	v_cmp_eq_u32_e64 s[16:17], 0, v9
	v_cmp_eq_u32_e64 s[18:19], 0, v43
	v_lshlrev_b32_e32 v8, 2, v4
	s_movk_i32 s26, 0x380
	s_waitcnt vmcnt(7)
	v_xor_b32_e32 v9, 0x80000000, v10
	v_xor_b32_e32 v10, 0x80000000, v11
	v_xor_b32_e32 v11, 0x80000000, v12
	v_xor_b32_e32 v12, 0x80000000, v13
	s_waitcnt vmcnt(6)
	v_xor_b32_e32 v13, 0x80000000, v14
	v_xor_b32_e32 v14, 0x80000000, v15
	v_xor_b32_e32 v15, 0x80000000, v16
	v_xor_b32_e32 v16, 0x80000000, v17
	;; [unrolled: 5-line block ×8, first 2 shown]
	s_branch .LBB12_2
.LBB12_1:                               ;   in Loop: Header=BB12_2 Depth=1
	s_add_i32 s27, s27, 1
	s_cmp_eq_u32 s27, 10
	s_cbranch_scc1 .LBB12_16
.LBB12_2:                               ; =>This Loop Header: Depth=1
                                        ;     Child Loop BB12_4 Depth 2
                                        ;       Child Loop BB12_6 Depth 3
	s_mov_b32 s33, 0
	s_branch .LBB12_4
.LBB12_3:                               ;   in Loop: Header=BB12_4 Depth=2
	s_or_b64 exec, exec, s[20:21]
	s_waitcnt lgkmcnt(0)
	v_add_u32_e32 v103, v104, v103
	ds_bpermute_b32 v103, v8, v103
	ds_read_b32 v106, v3 offset:4100
	s_add_i32 s20, s33, 4
	s_cmp_lt_u32 s33, 28
	s_mov_b32 s33, s20
	s_waitcnt lgkmcnt(1)
	v_cndmask_b32_e64 v103, v103, v104, s[6:7]
	ds_read2_b32 v[104:105], v2 offset1:1
	s_waitcnt lgkmcnt(1)
	v_lshl_add_u32 v103, v106, 16, v103
	ds_read2_b32 v[106:107], v2 offset0:2 offset1:3
	ds_read2_b32 v[108:109], v2 offset0:4 offset1:5
	ds_read_b32 v110, v2 offset:24
	s_waitcnt lgkmcnt(3)
	v_add_u32_e32 v104, v103, v104
	ds_write2_b32 v2, v103, v104 offset1:1
	v_add_u32_e32 v103, v105, v104
	s_waitcnt lgkmcnt(3)
	v_add_u32_e32 v104, v106, v103
	ds_write2_b32 v2, v103, v104 offset0:2 offset1:3
	v_add_u32_e32 v103, v107, v104
	s_waitcnt lgkmcnt(3)
	v_add_u32_e32 v104, v108, v103
	ds_write2_b32 v2, v103, v104 offset0:4 offset1:5
	;; [unrolled: 4-line block ×3, first 2 shown]
	s_waitcnt lgkmcnt(0)
	s_barrier
	s_cbranch_scc0 .LBB12_1
.LBB12_4:                               ;   Parent Loop BB12_2 Depth=1
                                        ; =>  This Loop Header: Depth=2
                                        ;       Child Loop BB12_6 Depth 3
	s_mov_b32 s34, 0
	s_mov_b64 s[20:21], 0
	v_pk_mov_b32 v[4:5], v[0:1], v[0:1] op_sel:[0,1]
	s_branch .LBB12_6
.LBB12_5:                               ;   in Loop: Header=BB12_6 Depth=3
	s_or_b64 exec, exec, s[30:31]
	s_add_i32 s34, s34, 2
	v_cmp_eq_u32_e64 s[28:29], 8, s34
	v_add_u32_e32 v5, 0x100, v5
	s_or_b64 s[20:21], s[28:29], s[20:21]
	v_add_u32_e32 v4, 0x100, v4
	s_andn2_b64 exec, exec, s[20:21]
	s_cbranch_execz .LBB12_10
.LBB12_6:                               ;   Parent Loop BB12_2 Depth=1
                                        ;     Parent Loop BB12_4 Depth=2
                                        ; =>    This Inner Loop Header: Depth=3
	s_or_b32 s28, s34, 1
	v_cmp_le_u32_e64 s[28:29], s28, 7
	v_cmp_le_u32_e64 s[36:37], s34, 7
	s_and_saveexec_b64 s[30:31], s[36:37]
	s_cbranch_execz .LBB12_8
; %bb.7:                                ;   in Loop: Header=BB12_6 Depth=3
	v_lshlrev_b32_e32 v41, 2, v4
	ds_write_b32 v41, v3
.LBB12_8:                               ;   in Loop: Header=BB12_6 Depth=3
	s_or_b64 exec, exec, s[30:31]
	s_and_saveexec_b64 s[30:31], s[28:29]
	s_cbranch_execz .LBB12_5
; %bb.9:                                ;   in Loop: Header=BB12_6 Depth=3
	v_lshlrev_b32_e32 v41, 2, v5
	ds_write_b32 v41, v3
	s_branch .LBB12_5
.LBB12_10:                              ;   in Loop: Header=BB12_4 Depth=2
	s_or_b64 exec, exec, s[20:21]
	s_sub_i32 s20, 28, s33
	v_lshlrev_b32_e32 v4, s20, v9
	v_lshrrev_b32_e32 v5, 21, v4
	v_and_or_b32 v5, v5, s26, v0
	v_alignbit_b32 v4, v5, v4, 31
	v_lshlrev_b32_e32 v41, 1, v4
	ds_read_u16 v4, v41
	v_lshlrev_b32_e32 v5, s20, v10
	v_lshrrev_b32_e32 v42, 21, v5
	v_and_or_b32 v42, v42, s26, v0
	v_alignbit_b32 v5, v42, v5, 31
	s_waitcnt lgkmcnt(0)
	v_add_u16_e32 v42, 1, v4
	ds_write_b16 v41, v42
	v_lshlrev_b32_e32 v43, 1, v5
	ds_read_u16 v5, v43
	v_lshlrev_b32_e32 v42, s20, v11
	v_lshrrev_b32_e32 v44, 21, v42
	v_and_or_b32 v44, v44, s26, v0
	v_alignbit_b32 v42, v44, v42, 31
	s_waitcnt lgkmcnt(0)
	v_add_u16_e32 v45, 1, v5
	ds_write_b16 v43, v45
	;; [unrolled: 9-line block ×3, first 2 shown]
	v_lshlrev_b32_e32 v48, 1, v44
	ds_read_u16 v44, v48
	v_lshlrev_b32_e32 v46, s20, v13
	s_waitcnt lgkmcnt(0)
	v_add_u16_e32 v47, 1, v44
	ds_write_b16 v48, v47
	v_lshrrev_b32_e32 v47, 21, v46
	v_and_or_b32 v47, v47, s26, v0
	v_alignbit_b32 v46, v47, v46, 31
	v_lshlrev_b32_e32 v51, 1, v46
	ds_read_u16 v47, v51
	s_waitcnt lgkmcnt(0)
	v_add_u16_e32 v46, 1, v47
	ds_write_b16 v51, v46
	v_lshlrev_b32_e32 v46, s20, v14
	v_lshrrev_b32_e32 v49, 21, v46
	v_and_or_b32 v49, v49, s26, v0
	v_alignbit_b32 v46, v49, v46, 31
	v_lshlrev_b32_e32 v55, 1, v46
	ds_read_u16 v50, v55
	s_waitcnt lgkmcnt(0)
	v_add_u16_e32 v46, 1, v50
	ds_write_b16 v55, v46
	v_lshlrev_b32_e32 v46, s20, v15
	;; [unrolled: 9-line block ×27, first 2 shown]
	v_lshrrev_b32_e32 v102, 21, v96
	v_and_or_b32 v102, v102, s26, v0
	v_alignbit_b32 v96, v102, v96, 31
	v_lshlrev_b32_e32 v102, 1, v96
	ds_read_u16 v96, v102
	s_waitcnt lgkmcnt(0)
	v_add_u16_e32 v103, 1, v96
	ds_write_b16 v102, v103
	s_waitcnt lgkmcnt(0)
	s_barrier
	ds_read2_b32 v[104:105], v2 offset1:1
	ds_read2_b32 v[106:107], v2 offset0:2 offset1:3
	ds_read2_b32 v[108:109], v2 offset0:4 offset1:5
	;; [unrolled: 1-line block ×3, first 2 shown]
	s_waitcnt lgkmcnt(3)
	v_add_u32_e32 v103, v105, v104
	s_waitcnt lgkmcnt(2)
	v_add3_u32 v103, v103, v106, v107
	s_waitcnt lgkmcnt(1)
	v_add3_u32 v103, v103, v108, v109
	;; [unrolled: 2-line block ×3, first 2 shown]
	s_nop 1
	v_mov_b32_dpp v104, v103 row_shr:1 row_mask:0xf bank_mask:0xf
	v_cndmask_b32_e64 v104, v104, 0, s[8:9]
	v_add_u32_e32 v103, v104, v103
	s_nop 1
	v_mov_b32_dpp v104, v103 row_shr:2 row_mask:0xf bank_mask:0xf
	v_cndmask_b32_e64 v104, 0, v104, s[10:11]
	v_add_u32_e32 v103, v103, v104
	;; [unrolled: 4-line block ×4, first 2 shown]
	s_nop 1
	v_mov_b32_dpp v104, v103 row_bcast:15 row_mask:0xf bank_mask:0xf
	v_cndmask_b32_e64 v104, v104, 0, s[16:17]
	v_add_u32_e32 v103, v103, v104
	s_nop 1
	v_mov_b32_dpp v104, v103 row_bcast:31 row_mask:0xf bank_mask:0xf
	v_cndmask_b32_e64 v104, 0, v104, s[2:3]
	v_add_u32_e32 v103, v103, v104
	s_and_saveexec_b64 s[20:21], s[4:5]
	s_cbranch_execz .LBB12_12
; %bb.11:                               ;   in Loop: Header=BB12_4 Depth=2
	ds_write_b32 v7, v103 offset:4096
.LBB12_12:                              ;   in Loop: Header=BB12_4 Depth=2
	s_or_b64 exec, exec, s[20:21]
	s_waitcnt lgkmcnt(0)
	s_barrier
	s_and_saveexec_b64 s[20:21], vcc
	s_cbranch_execz .LBB12_14
; %bb.13:                               ;   in Loop: Header=BB12_4 Depth=2
	ds_read_b32 v104, v6 offset:4096
	s_waitcnt lgkmcnt(0)
	s_nop 0
	v_mov_b32_dpp v105, v104 row_shr:1 row_mask:0xf bank_mask:0xf
	v_cndmask_b32_e64 v105, v105, 0, s[18:19]
	v_add_u32_e32 v104, v105, v104
	ds_write_b32 v6, v104 offset:4096
.LBB12_14:                              ;   in Loop: Header=BB12_4 Depth=2
	s_or_b64 exec, exec, s[20:21]
	v_mov_b32_e32 v104, 0
	s_waitcnt lgkmcnt(0)
	s_barrier
	s_and_saveexec_b64 s[20:21], s[0:1]
	s_cbranch_execz .LBB12_3
; %bb.15:                               ;   in Loop: Header=BB12_4 Depth=2
	ds_read_b32 v104, v7 offset:4092
	s_branch .LBB12_3
.LBB12_16:
	ds_read_u16 v0, v41
	ds_read_u16 v1, v43
	;; [unrolled: 1-line block ×8, first 2 shown]
	s_waitcnt lgkmcnt(7)
	v_add_u32_sdwa v4, v0, v4 dst_sel:DWORD dst_unused:UNUSED_PAD src0_sel:DWORD src1_sel:WORD_0
	s_waitcnt lgkmcnt(6)
	v_add_u32_sdwa v5, v1, v5 dst_sel:DWORD dst_unused:UNUSED_PAD src0_sel:DWORD src1_sel:WORD_0
	;; [unrolled: 2-line block ×3, first 2 shown]
	ds_read_u16 v0, v102
	ds_read_u16 v1, v101
	;; [unrolled: 1-line block ×24, first 2 shown]
	s_add_u32 s0, s22, s24
	s_waitcnt lgkmcnt(14)
	v_add_u32_sdwa v7, v7, v44 dst_sel:DWORD dst_unused:UNUSED_PAD src0_sel:DWORD src1_sel:WORD_0
	v_add_u32_sdwa v35, v0, v96 dst_sel:DWORD dst_unused:UNUSED_PAD src0_sel:DWORD src1_sel:WORD_0
	s_addc_u32 s1, s23, s25
	v_lshlrev_b32_e32 v0, 2, v2
	v_add_u32_sdwa v8, v8, v47 dst_sel:DWORD dst_unused:UNUSED_PAD src0_sel:DWORD src1_sel:WORD_0
	v_add_u32_sdwa v9, v9, v50 dst_sel:DWORD dst_unused:UNUSED_PAD src0_sel:DWORD src1_sel:WORD_0
	;; [unrolled: 1-line block ×4, first 2 shown]
	s_waitcnt lgkmcnt(8)
	v_add_u32_sdwa v12, v12, v49 dst_sel:DWORD dst_unused:UNUSED_PAD src0_sel:DWORD src1_sel:WORD_0
	v_add_u32_sdwa v13, v13, v52 dst_sel:DWORD dst_unused:UNUSED_PAD src0_sel:DWORD src1_sel:WORD_0
	;; [unrolled: 1-line block ×8, first 2 shown]
	s_waitcnt lgkmcnt(0)
	v_add_u32_sdwa v20, v20, v69 dst_sel:DWORD dst_unused:UNUSED_PAD src0_sel:DWORD src1_sel:WORD_0
	v_add_u32_sdwa v21, v21, v71 dst_sel:DWORD dst_unused:UNUSED_PAD src0_sel:DWORD src1_sel:WORD_0
	;; [unrolled: 1-line block ×15, first 2 shown]
	global_store_dwordx4 v0, v[4:7], s[0:1]
	global_store_dwordx4 v0, v[8:11], s[0:1] offset:16
	global_store_dwordx4 v0, v[12:15], s[0:1] offset:32
	;; [unrolled: 1-line block ×7, first 2 shown]
	s_endpgm
	.section	.rodata,"a",@progbits
	.p2align	6, 0x0
	.amdhsa_kernel _Z11rank_kernelIiLj4ELb0EL18RadixRankAlgorithm0ELj128ELj32ELj10EEvPKT_Pi
		.amdhsa_group_segment_fixed_size 4104
		.amdhsa_private_segment_fixed_size 0
		.amdhsa_kernarg_size 16
		.amdhsa_user_sgpr_count 6
		.amdhsa_user_sgpr_private_segment_buffer 1
		.amdhsa_user_sgpr_dispatch_ptr 0
		.amdhsa_user_sgpr_queue_ptr 0
		.amdhsa_user_sgpr_kernarg_segment_ptr 1
		.amdhsa_user_sgpr_dispatch_id 0
		.amdhsa_user_sgpr_flat_scratch_init 0
		.amdhsa_user_sgpr_kernarg_preload_length 0
		.amdhsa_user_sgpr_kernarg_preload_offset 0
		.amdhsa_user_sgpr_private_segment_size 0
		.amdhsa_uses_dynamic_stack 0
		.amdhsa_system_sgpr_private_segment_wavefront_offset 0
		.amdhsa_system_sgpr_workgroup_id_x 1
		.amdhsa_system_sgpr_workgroup_id_y 0
		.amdhsa_system_sgpr_workgroup_id_z 0
		.amdhsa_system_sgpr_workgroup_info 0
		.amdhsa_system_vgpr_workitem_id 0
		.amdhsa_next_free_vgpr 112
		.amdhsa_next_free_sgpr 38
		.amdhsa_accum_offset 112
		.amdhsa_reserve_vcc 1
		.amdhsa_reserve_flat_scratch 0
		.amdhsa_float_round_mode_32 0
		.amdhsa_float_round_mode_16_64 0
		.amdhsa_float_denorm_mode_32 3
		.amdhsa_float_denorm_mode_16_64 3
		.amdhsa_dx10_clamp 1
		.amdhsa_ieee_mode 1
		.amdhsa_fp16_overflow 0
		.amdhsa_tg_split 0
		.amdhsa_exception_fp_ieee_invalid_op 0
		.amdhsa_exception_fp_denorm_src 0
		.amdhsa_exception_fp_ieee_div_zero 0
		.amdhsa_exception_fp_ieee_overflow 0
		.amdhsa_exception_fp_ieee_underflow 0
		.amdhsa_exception_fp_ieee_inexact 0
		.amdhsa_exception_int_div_zero 0
	.end_amdhsa_kernel
	.section	.text._Z11rank_kernelIiLj4ELb0EL18RadixRankAlgorithm0ELj128ELj32ELj10EEvPKT_Pi,"axG",@progbits,_Z11rank_kernelIiLj4ELb0EL18RadixRankAlgorithm0ELj128ELj32ELj10EEvPKT_Pi,comdat
.Lfunc_end12:
	.size	_Z11rank_kernelIiLj4ELb0EL18RadixRankAlgorithm0ELj128ELj32ELj10EEvPKT_Pi, .Lfunc_end12-_Z11rank_kernelIiLj4ELb0EL18RadixRankAlgorithm0ELj128ELj32ELj10EEvPKT_Pi
                                        ; -- End function
	.section	.AMDGPU.csdata,"",@progbits
; Kernel info:
; codeLenInByte = 3536
; NumSgprs: 42
; NumVgprs: 112
; NumAgprs: 0
; TotalNumVgprs: 112
; ScratchSize: 0
; MemoryBound: 0
; FloatMode: 240
; IeeeMode: 1
; LDSByteSize: 4104 bytes/workgroup (compile time only)
; SGPRBlocks: 5
; VGPRBlocks: 13
; NumSGPRsForWavesPerEU: 42
; NumVGPRsForWavesPerEU: 112
; AccumOffset: 112
; Occupancy: 4
; WaveLimiterHint : 0
; COMPUTE_PGM_RSRC2:SCRATCH_EN: 0
; COMPUTE_PGM_RSRC2:USER_SGPR: 6
; COMPUTE_PGM_RSRC2:TRAP_HANDLER: 0
; COMPUTE_PGM_RSRC2:TGID_X_EN: 1
; COMPUTE_PGM_RSRC2:TGID_Y_EN: 0
; COMPUTE_PGM_RSRC2:TGID_Z_EN: 0
; COMPUTE_PGM_RSRC2:TIDIG_COMP_CNT: 0
; COMPUTE_PGM_RSRC3_GFX90A:ACCUM_OFFSET: 27
; COMPUTE_PGM_RSRC3_GFX90A:TG_SPLIT: 0
	.section	.text._Z11rank_kernelIiLj4ELb0EL18RadixRankAlgorithm1ELj128ELj32ELj10EEvPKT_Pi,"axG",@progbits,_Z11rank_kernelIiLj4ELb0EL18RadixRankAlgorithm1ELj128ELj32ELj10EEvPKT_Pi,comdat
	.protected	_Z11rank_kernelIiLj4ELb0EL18RadixRankAlgorithm1ELj128ELj32ELj10EEvPKT_Pi ; -- Begin function _Z11rank_kernelIiLj4ELb0EL18RadixRankAlgorithm1ELj128ELj32ELj10EEvPKT_Pi
	.globl	_Z11rank_kernelIiLj4ELb0EL18RadixRankAlgorithm1ELj128ELj32ELj10EEvPKT_Pi
	.p2align	8
	.type	_Z11rank_kernelIiLj4ELb0EL18RadixRankAlgorithm1ELj128ELj32ELj10EEvPKT_Pi,@function
_Z11rank_kernelIiLj4ELb0EL18RadixRankAlgorithm1ELj128ELj32ELj10EEvPKT_Pi: ; @_Z11rank_kernelIiLj4ELb0EL18RadixRankAlgorithm1ELj128ELj32ELj10EEvPKT_Pi
; %bb.0:
	s_load_dwordx4 s[20:23], s[4:5], 0x0
	s_lshl_b32 s26, s6, 12
	s_mov_b32 s27, 0
	s_lshl_b64 s[24:25], s[26:27], 2
	v_lshlrev_b32_e32 v1, 7, v0
	s_waitcnt lgkmcnt(0)
	s_add_u32 s0, s20, s24
	s_addc_u32 s1, s21, s25
	global_load_dwordx4 v[4:7], v1, s[0:1]
	global_load_dwordx4 v[8:11], v1, s[0:1] offset:16
	global_load_dwordx4 v[24:27], v1, s[0:1] offset:32
	;; [unrolled: 1-line block ×7, first 2 shown]
	v_mbcnt_lo_u32_b32 v1, -1, 0
	v_mbcnt_hi_u32_b32 v14, -1, v1
	v_add_u32_e32 v18, -1, v14
	v_and_b32_e32 v19, 64, v14
	v_or_b32_e32 v13, 63, v0
	v_lshrrev_b32_e32 v15, 4, v0
	v_cmp_lt_i32_e64 s[18:19], v18, v19
	v_and_b32_e32 v16, 15, v14
	v_and_b32_e32 v17, 16, v14
	v_cmp_lt_u32_e64 s[2:3], 31, v14
	v_cmp_eq_u32_e64 s[4:5], v13, v0
	v_cmp_eq_u32_e64 s[6:7], 0, v14
	v_and_b32_e32 v13, 4, v15
	v_and_b32_e32 v15, 1, v14
	v_cndmask_b32_e64 v14, v18, v14, s[18:19]
	v_mov_b32_e32 v3, 0
	v_lshlrev_b32_e32 v2, 5, v0
	v_cmp_gt_u32_e32 vcc, 2, v0
	v_cmp_lt_u32_e64 s[0:1], 63, v0
	v_lshlrev_b32_e32 v12, 2, v0
	v_or_b32_e32 v1, 0x80, v0
	v_cmp_eq_u32_e64 s[8:9], 0, v16
	v_cmp_lt_u32_e64 s[10:11], 1, v16
	v_cmp_lt_u32_e64 s[12:13], 3, v16
	;; [unrolled: 1-line block ×3, first 2 shown]
	v_cmp_eq_u32_e64 s[16:17], 0, v17
	v_cmp_eq_u32_e64 s[18:19], 0, v15
	v_lshlrev_b32_e32 v14, 2, v14
	s_movk_i32 s26, 0x380
	s_waitcnt vmcnt(7)
	v_xor_b32_e32 v15, 0x80000000, v4
	v_xor_b32_e32 v16, 0x80000000, v5
	v_xor_b32_e32 v17, 0x80000000, v6
	v_xor_b32_e32 v18, 0x80000000, v7
	s_waitcnt vmcnt(6)
	v_xor_b32_e32 v19, 0x80000000, v8
	v_xor_b32_e32 v20, 0x80000000, v9
	v_xor_b32_e32 v21, 0x80000000, v10
	v_xor_b32_e32 v22, 0x80000000, v11
	;; [unrolled: 5-line block ×8, first 2 shown]
	s_branch .LBB13_2
.LBB13_1:                               ;   in Loop: Header=BB13_2 Depth=1
	s_add_i32 s27, s27, 1
	s_cmp_eq_u32 s27, 10
	s_cbranch_scc1 .LBB13_16
.LBB13_2:                               ; =>This Loop Header: Depth=1
                                        ;     Child Loop BB13_4 Depth 2
                                        ;       Child Loop BB13_6 Depth 3
	s_mov_b32 s33, 0
	s_branch .LBB13_4
.LBB13_3:                               ;   in Loop: Header=BB13_4 Depth=2
	s_or_b64 exec, exec, s[20:21]
	s_waitcnt lgkmcnt(0)
	v_add_u32_e32 v9, v111, v9
	ds_bpermute_b32 v9, v14, v9
	ds_read_b32 v112, v3 offset:4100
	s_add_i32 s20, s33, 4
	s_cmp_lt_u32 s33, 28
	s_mov_b32 s33, s20
	s_waitcnt lgkmcnt(1)
	v_cndmask_b32_e64 v9, v9, v111, s[6:7]
	s_waitcnt lgkmcnt(0)
	v_lshl_add_u32 v9, v112, 16, v9
	v_add_u32_e32 v10, v9, v10
	v_add_u32_e32 v11, v10, v11
	;; [unrolled: 1-line block ×6, first 2 shown]
	ds_write2_b32 v2, v9, v10 offset1:1
	ds_write2_b32 v2, v11, v6 offset0:2 offset1:3
	v_add_u32_e32 v6, v5, v8
	ds_write2_b32 v2, v7, v4 offset0:4 offset1:5
	ds_write2_b32 v2, v5, v6 offset0:6 offset1:7
	s_waitcnt lgkmcnt(0)
	s_barrier
	s_cbranch_scc0 .LBB13_1
.LBB13_4:                               ;   Parent Loop BB13_2 Depth=1
                                        ; =>  This Loop Header: Depth=2
                                        ;       Child Loop BB13_6 Depth 3
	s_mov_b32 s34, 0
	s_mov_b64 s[20:21], 0
	v_pk_mov_b32 v[4:5], v[0:1], v[0:1] op_sel:[0,1]
	s_branch .LBB13_6
.LBB13_5:                               ;   in Loop: Header=BB13_6 Depth=3
	s_or_b64 exec, exec, s[30:31]
	s_add_i32 s34, s34, 2
	v_cmp_eq_u32_e64 s[28:29], 8, s34
	v_add_u32_e32 v5, 0x100, v5
	s_or_b64 s[20:21], s[28:29], s[20:21]
	v_add_u32_e32 v4, 0x100, v4
	s_andn2_b64 exec, exec, s[20:21]
	s_cbranch_execz .LBB13_10
.LBB13_6:                               ;   Parent Loop BB13_2 Depth=1
                                        ;     Parent Loop BB13_4 Depth=2
                                        ; =>    This Inner Loop Header: Depth=3
	s_or_b32 s28, s34, 1
	v_cmp_le_u32_e64 s[28:29], s28, 7
	v_cmp_le_u32_e64 s[36:37], s34, 7
	s_and_saveexec_b64 s[30:31], s[36:37]
	s_cbranch_execz .LBB13_8
; %bb.7:                                ;   in Loop: Header=BB13_6 Depth=3
	v_lshlrev_b32_e32 v6, 2, v4
	ds_write_b32 v6, v3
.LBB13_8:                               ;   in Loop: Header=BB13_6 Depth=3
	s_or_b64 exec, exec, s[30:31]
	s_and_saveexec_b64 s[30:31], s[28:29]
	s_cbranch_execz .LBB13_5
; %bb.9:                                ;   in Loop: Header=BB13_6 Depth=3
	v_lshlrev_b32_e32 v6, 2, v5
	ds_write_b32 v6, v3
	s_branch .LBB13_5
.LBB13_10:                              ;   in Loop: Header=BB13_4 Depth=2
	s_or_b64 exec, exec, s[20:21]
	s_sub_i32 s20, 28, s33
	v_lshlrev_b32_e32 v4, s20, v15
	v_lshrrev_b32_e32 v5, 21, v4
	v_and_or_b32 v5, v5, s26, v0
	v_alignbit_b32 v4, v5, v4, 31
	v_lshlrev_b32_e32 v49, 1, v4
	ds_read_u16 v47, v49
	v_lshlrev_b32_e32 v4, s20, v16
	v_lshrrev_b32_e32 v5, 21, v4
	v_and_or_b32 v5, v5, s26, v0
	v_alignbit_b32 v4, v5, v4, 31
	s_waitcnt lgkmcnt(0)
	v_add_u16_e32 v5, 1, v47
	ds_write_b16 v49, v5
	v_lshlrev_b32_e32 v51, 1, v4
	ds_read_u16 v48, v51
	v_lshlrev_b32_e32 v4, s20, v17
	v_lshrrev_b32_e32 v5, 21, v4
	v_and_or_b32 v5, v5, s26, v0
	v_alignbit_b32 v4, v5, v4, 31
	s_waitcnt lgkmcnt(0)
	v_add_u16_e32 v6, 1, v48
	ds_write_b16 v51, v6
	;; [unrolled: 9-line block ×3, first 2 shown]
	v_lshlrev_b32_e32 v56, 1, v4
	ds_read_u16 v52, v56
	v_lshlrev_b32_e32 v4, s20, v19
	s_waitcnt lgkmcnt(0)
	v_add_u16_e32 v5, 1, v52
	ds_write_b16 v56, v5
	v_lshrrev_b32_e32 v5, 21, v4
	v_and_or_b32 v5, v5, s26, v0
	v_alignbit_b32 v4, v5, v4, 31
	v_lshlrev_b32_e32 v59, 1, v4
	ds_read_u16 v55, v59
	s_waitcnt lgkmcnt(0)
	v_add_u16_e32 v4, 1, v55
	ds_write_b16 v59, v4
	v_lshlrev_b32_e32 v4, s20, v20
	v_lshrrev_b32_e32 v5, 21, v4
	v_and_or_b32 v5, v5, s26, v0
	v_alignbit_b32 v4, v5, v4, 31
	v_lshlrev_b32_e32 v63, 1, v4
	ds_read_u16 v58, v63
	s_waitcnt lgkmcnt(0)
	v_add_u16_e32 v4, 1, v58
	ds_write_b16 v63, v4
	v_lshlrev_b32_e32 v4, s20, v21
	;; [unrolled: 9-line block ×27, first 2 shown]
	v_lshrrev_b32_e32 v5, 21, v4
	v_and_or_b32 v5, v5, s26, v0
	v_alignbit_b32 v4, v5, v4, 31
	v_lshlrev_b32_e32 v110, 1, v4
	ds_read_u16 v104, v110
	s_waitcnt lgkmcnt(0)
	v_add_u16_e32 v4, 1, v104
	ds_write_b16 v110, v4
	s_waitcnt lgkmcnt(0)
	s_barrier
	ds_read2_b32 v[10:11], v2 offset1:1
	ds_read2_b32 v[6:7], v2 offset0:2 offset1:3
	ds_read2_b32 v[4:5], v2 offset0:4 offset1:5
	;; [unrolled: 1-line block ×3, first 2 shown]
	s_waitcnt lgkmcnt(3)
	v_add_u32_e32 v111, v11, v10
	s_waitcnt lgkmcnt(2)
	v_add3_u32 v111, v111, v6, v7
	s_waitcnt lgkmcnt(1)
	v_add3_u32 v111, v111, v4, v5
	;; [unrolled: 2-line block ×3, first 2 shown]
	s_nop 1
	v_mov_b32_dpp v111, v9 row_shr:1 row_mask:0xf bank_mask:0xf
	v_cndmask_b32_e64 v111, v111, 0, s[8:9]
	v_add_u32_e32 v9, v111, v9
	s_nop 1
	v_mov_b32_dpp v111, v9 row_shr:2 row_mask:0xf bank_mask:0xf
	v_cndmask_b32_e64 v111, 0, v111, s[10:11]
	v_add_u32_e32 v9, v9, v111
	;; [unrolled: 4-line block ×4, first 2 shown]
	s_nop 1
	v_mov_b32_dpp v111, v9 row_bcast:15 row_mask:0xf bank_mask:0xf
	v_cndmask_b32_e64 v111, v111, 0, s[16:17]
	v_add_u32_e32 v9, v9, v111
	s_nop 1
	v_mov_b32_dpp v111, v9 row_bcast:31 row_mask:0xf bank_mask:0xf
	v_cndmask_b32_e64 v111, 0, v111, s[2:3]
	v_add_u32_e32 v9, v9, v111
	s_and_saveexec_b64 s[20:21], s[4:5]
	s_cbranch_execz .LBB13_12
; %bb.11:                               ;   in Loop: Header=BB13_4 Depth=2
	ds_write_b32 v13, v9 offset:4096
.LBB13_12:                              ;   in Loop: Header=BB13_4 Depth=2
	s_or_b64 exec, exec, s[20:21]
	s_waitcnt lgkmcnt(0)
	s_barrier
	s_and_saveexec_b64 s[20:21], vcc
	s_cbranch_execz .LBB13_14
; %bb.13:                               ;   in Loop: Header=BB13_4 Depth=2
	ds_read_b32 v111, v12 offset:4096
	s_waitcnt lgkmcnt(0)
	s_nop 0
	v_mov_b32_dpp v112, v111 row_shr:1 row_mask:0xf bank_mask:0xf
	v_cndmask_b32_e64 v112, v112, 0, s[18:19]
	v_add_u32_e32 v111, v112, v111
	ds_write_b32 v12, v111 offset:4096
.LBB13_14:                              ;   in Loop: Header=BB13_4 Depth=2
	s_or_b64 exec, exec, s[20:21]
	v_mov_b32_e32 v111, 0
	s_waitcnt lgkmcnt(0)
	s_barrier
	s_and_saveexec_b64 s[20:21], s[0:1]
	s_cbranch_execz .LBB13_3
; %bb.15:                               ;   in Loop: Header=BB13_4 Depth=2
	ds_read_b32 v111, v13 offset:4092
	s_branch .LBB13_3
.LBB13_16:
	ds_read_u16 v0, v49
	ds_read_u16 v1, v51
	;; [unrolled: 1-line block ×8, first 2 shown]
	s_waitcnt lgkmcnt(7)
	v_add_u32_sdwa v4, v0, v47 dst_sel:DWORD dst_unused:UNUSED_PAD src0_sel:DWORD src1_sel:WORD_0
	s_waitcnt lgkmcnt(6)
	v_add_u32_sdwa v5, v1, v48 dst_sel:DWORD dst_unused:UNUSED_PAD src0_sel:DWORD src1_sel:WORD_0
	;; [unrolled: 2-line block ×3, first 2 shown]
	ds_read_u16 v0, v110
	ds_read_u16 v1, v109
	;; [unrolled: 1-line block ×24, first 2 shown]
	s_add_u32 s0, s22, s24
	s_waitcnt lgkmcnt(14)
	v_add_u32_sdwa v7, v7, v52 dst_sel:DWORD dst_unused:UNUSED_PAD src0_sel:DWORD src1_sel:WORD_0
	v_add_u32_sdwa v35, v0, v104 dst_sel:DWORD dst_unused:UNUSED_PAD src0_sel:DWORD src1_sel:WORD_0
	s_addc_u32 s1, s23, s25
	v_lshlrev_b32_e32 v0, 2, v2
	v_add_u32_sdwa v8, v8, v55 dst_sel:DWORD dst_unused:UNUSED_PAD src0_sel:DWORD src1_sel:WORD_0
	v_add_u32_sdwa v9, v9, v58 dst_sel:DWORD dst_unused:UNUSED_PAD src0_sel:DWORD src1_sel:WORD_0
	;; [unrolled: 1-line block ×4, first 2 shown]
	s_waitcnt lgkmcnt(8)
	v_add_u32_sdwa v12, v12, v57 dst_sel:DWORD dst_unused:UNUSED_PAD src0_sel:DWORD src1_sel:WORD_0
	v_add_u32_sdwa v13, v13, v60 dst_sel:DWORD dst_unused:UNUSED_PAD src0_sel:DWORD src1_sel:WORD_0
	;; [unrolled: 1-line block ×8, first 2 shown]
	s_waitcnt lgkmcnt(0)
	v_add_u32_sdwa v20, v20, v77 dst_sel:DWORD dst_unused:UNUSED_PAD src0_sel:DWORD src1_sel:WORD_0
	v_add_u32_sdwa v21, v21, v79 dst_sel:DWORD dst_unused:UNUSED_PAD src0_sel:DWORD src1_sel:WORD_0
	;; [unrolled: 1-line block ×15, first 2 shown]
	global_store_dwordx4 v0, v[4:7], s[0:1]
	global_store_dwordx4 v0, v[8:11], s[0:1] offset:16
	global_store_dwordx4 v0, v[12:15], s[0:1] offset:32
	;; [unrolled: 1-line block ×7, first 2 shown]
	s_endpgm
	.section	.rodata,"a",@progbits
	.p2align	6, 0x0
	.amdhsa_kernel _Z11rank_kernelIiLj4ELb0EL18RadixRankAlgorithm1ELj128ELj32ELj10EEvPKT_Pi
		.amdhsa_group_segment_fixed_size 4104
		.amdhsa_private_segment_fixed_size 0
		.amdhsa_kernarg_size 16
		.amdhsa_user_sgpr_count 6
		.amdhsa_user_sgpr_private_segment_buffer 1
		.amdhsa_user_sgpr_dispatch_ptr 0
		.amdhsa_user_sgpr_queue_ptr 0
		.amdhsa_user_sgpr_kernarg_segment_ptr 1
		.amdhsa_user_sgpr_dispatch_id 0
		.amdhsa_user_sgpr_flat_scratch_init 0
		.amdhsa_user_sgpr_kernarg_preload_length 0
		.amdhsa_user_sgpr_kernarg_preload_offset 0
		.amdhsa_user_sgpr_private_segment_size 0
		.amdhsa_uses_dynamic_stack 0
		.amdhsa_system_sgpr_private_segment_wavefront_offset 0
		.amdhsa_system_sgpr_workgroup_id_x 1
		.amdhsa_system_sgpr_workgroup_id_y 0
		.amdhsa_system_sgpr_workgroup_id_z 0
		.amdhsa_system_sgpr_workgroup_info 0
		.amdhsa_system_vgpr_workitem_id 0
		.amdhsa_next_free_vgpr 113
		.amdhsa_next_free_sgpr 38
		.amdhsa_accum_offset 116
		.amdhsa_reserve_vcc 1
		.amdhsa_reserve_flat_scratch 0
		.amdhsa_float_round_mode_32 0
		.amdhsa_float_round_mode_16_64 0
		.amdhsa_float_denorm_mode_32 3
		.amdhsa_float_denorm_mode_16_64 3
		.amdhsa_dx10_clamp 1
		.amdhsa_ieee_mode 1
		.amdhsa_fp16_overflow 0
		.amdhsa_tg_split 0
		.amdhsa_exception_fp_ieee_invalid_op 0
		.amdhsa_exception_fp_denorm_src 0
		.amdhsa_exception_fp_ieee_div_zero 0
		.amdhsa_exception_fp_ieee_overflow 0
		.amdhsa_exception_fp_ieee_underflow 0
		.amdhsa_exception_fp_ieee_inexact 0
		.amdhsa_exception_int_div_zero 0
	.end_amdhsa_kernel
	.section	.text._Z11rank_kernelIiLj4ELb0EL18RadixRankAlgorithm1ELj128ELj32ELj10EEvPKT_Pi,"axG",@progbits,_Z11rank_kernelIiLj4ELb0EL18RadixRankAlgorithm1ELj128ELj32ELj10EEvPKT_Pi,comdat
.Lfunc_end13:
	.size	_Z11rank_kernelIiLj4ELb0EL18RadixRankAlgorithm1ELj128ELj32ELj10EEvPKT_Pi, .Lfunc_end13-_Z11rank_kernelIiLj4ELb0EL18RadixRankAlgorithm1ELj128ELj32ELj10EEvPKT_Pi
                                        ; -- End function
	.section	.AMDGPU.csdata,"",@progbits
; Kernel info:
; codeLenInByte = 3488
; NumSgprs: 42
; NumVgprs: 113
; NumAgprs: 0
; TotalNumVgprs: 113
; ScratchSize: 0
; MemoryBound: 0
; FloatMode: 240
; IeeeMode: 1
; LDSByteSize: 4104 bytes/workgroup (compile time only)
; SGPRBlocks: 5
; VGPRBlocks: 14
; NumSGPRsForWavesPerEU: 42
; NumVGPRsForWavesPerEU: 113
; AccumOffset: 116
; Occupancy: 4
; WaveLimiterHint : 0
; COMPUTE_PGM_RSRC2:SCRATCH_EN: 0
; COMPUTE_PGM_RSRC2:USER_SGPR: 6
; COMPUTE_PGM_RSRC2:TRAP_HANDLER: 0
; COMPUTE_PGM_RSRC2:TGID_X_EN: 1
; COMPUTE_PGM_RSRC2:TGID_Y_EN: 0
; COMPUTE_PGM_RSRC2:TGID_Z_EN: 0
; COMPUTE_PGM_RSRC2:TIDIG_COMP_CNT: 0
; COMPUTE_PGM_RSRC3_GFX90A:ACCUM_OFFSET: 28
; COMPUTE_PGM_RSRC3_GFX90A:TG_SPLIT: 0
	.section	.text._Z11rank_kernelIiLj4ELb0EL18RadixRankAlgorithm2ELj128ELj32ELj10EEvPKT_Pi,"axG",@progbits,_Z11rank_kernelIiLj4ELb0EL18RadixRankAlgorithm2ELj128ELj32ELj10EEvPKT_Pi,comdat
	.protected	_Z11rank_kernelIiLj4ELb0EL18RadixRankAlgorithm2ELj128ELj32ELj10EEvPKT_Pi ; -- Begin function _Z11rank_kernelIiLj4ELb0EL18RadixRankAlgorithm2ELj128ELj32ELj10EEvPKT_Pi
	.globl	_Z11rank_kernelIiLj4ELb0EL18RadixRankAlgorithm2ELj128ELj32ELj10EEvPKT_Pi
	.p2align	8
	.type	_Z11rank_kernelIiLj4ELb0EL18RadixRankAlgorithm2ELj128ELj32ELj10EEvPKT_Pi,@function
_Z11rank_kernelIiLj4ELb0EL18RadixRankAlgorithm2ELj128ELj32ELj10EEvPKT_Pi: ; @_Z11rank_kernelIiLj4ELb0EL18RadixRankAlgorithm2ELj128ELj32ELj10EEvPKT_Pi
; %bb.0:
	s_load_dwordx4 s[24:27], s[4:5], 0x0
	s_load_dword s20, s[4:5], 0x1c
	s_lshl_b32 s30, s6, 12
	s_mov_b32 s31, 0
	s_lshl_b64 s[28:29], s[30:31], 2
	s_waitcnt lgkmcnt(0)
	s_add_u32 s0, s24, s28
	v_and_b32_e32 v4, 0x3ff, v0
	s_addc_u32 s1, s25, s29
	v_lshlrev_b32_e32 v1, 7, v4
	global_load_dwordx4 v[10:13], v1, s[0:1]
	global_load_dwordx4 v[14:17], v1, s[0:1] offset:16
	global_load_dwordx4 v[18:21], v1, s[0:1] offset:32
	global_load_dwordx4 v[22:25], v1, s[0:1] offset:48
	global_load_dwordx4 v[26:29], v1, s[0:1] offset:64
	global_load_dwordx4 v[30:33], v1, s[0:1] offset:80
	global_load_dwordx4 v[34:37], v1, s[0:1] offset:96
	global_load_dwordx4 v[40:43], v1, s[0:1] offset:112
	v_mbcnt_lo_u32_b32 v1, -1, 0
	v_mbcnt_hi_u32_b32 v6, -1, v1
	v_bfe_u32 v3, v0, 10, 10
	v_bfe_u32 v5, v0, 20, 10
	v_add_u32_e32 v38, -1, v6
	v_and_b32_e32 v39, 64, v6
	s_lshr_b32 s21, s20, 16
	v_and_b32_e32 v7, 15, v6
	v_or_b32_e32 v9, 63, v4
	v_lshrrev_b32_e32 v44, 4, v4
	v_cmp_lt_i32_e64 s[18:19], v38, v39
	s_and_b32 s20, s20, 0xffff
	v_mad_u32_u24 v3, v5, s21, v3
	v_lshlrev_b32_e32 v0, 5, v4
	v_lshlrev_b32_e32 v1, 2, v4
	v_and_b32_e32 v8, 16, v6
	v_cmp_lt_u32_e32 vcc, 31, v6
	v_cmp_gt_u32_e64 s[0:1], 2, v4
	v_cmp_lt_u32_e64 s[2:3], 63, v4
	v_cmp_eq_u32_e64 s[4:5], 0, v6
	v_and_b32_e32 v45, 1, v6
	v_cmp_eq_u32_e64 s[6:7], 0, v7
	v_cmp_lt_u32_e64 s[8:9], 1, v7
	v_cmp_lt_u32_e64 s[10:11], 3, v7
	;; [unrolled: 1-line block ×3, first 2 shown]
	v_cmp_eq_u32_e64 s[16:17], v9, v4
	v_cndmask_b32_e64 v6, v38, v6, s[18:19]
	v_and_b32_e32 v7, 4, v44
	v_mad_u64_u32 v[4:5], s[20:21], v3, s20, v[4:5]
	v_mov_b32_e32 v2, 0
	v_cmp_eq_u32_e64 s[14:15], 0, v8
	v_cmp_eq_u32_e64 s[18:19], 0, v45
	v_lshlrev_b32_e32 v8, 2, v6
	v_lshrrev_b32_e32 v9, 6, v4
	s_waitcnt vmcnt(7)
	v_xor_b32_e32 v10, 0x80000000, v10
	v_xor_b32_e32 v11, 0x80000000, v11
	v_xor_b32_e32 v12, 0x80000000, v12
	v_xor_b32_e32 v13, 0x80000000, v13
	s_waitcnt vmcnt(6)
	v_xor_b32_e32 v14, 0x80000000, v14
	v_xor_b32_e32 v15, 0x80000000, v15
	v_xor_b32_e32 v16, 0x80000000, v16
	v_xor_b32_e32 v17, 0x80000000, v17
	s_waitcnt vmcnt(5)
	v_xor_b32_e32 v18, 0x80000000, v18
	v_xor_b32_e32 v19, 0x80000000, v19
	v_xor_b32_e32 v20, 0x80000000, v20
	v_xor_b32_e32 v21, 0x80000000, v21
	s_waitcnt vmcnt(4)
	v_xor_b32_e32 v22, 0x80000000, v22
	v_xor_b32_e32 v23, 0x80000000, v23
	v_xor_b32_e32 v24, 0x80000000, v24
	v_xor_b32_e32 v25, 0x80000000, v25
	s_waitcnt vmcnt(3)
	v_xor_b32_e32 v26, 0x80000000, v26
	v_xor_b32_e32 v27, 0x80000000, v27
	v_xor_b32_e32 v28, 0x80000000, v28
	v_xor_b32_e32 v29, 0x80000000, v29
	s_waitcnt vmcnt(2)
	v_xor_b32_e32 v30, 0x80000000, v30
	v_xor_b32_e32 v31, 0x80000000, v31
	v_xor_b32_e32 v32, 0x80000000, v32
	v_xor_b32_e32 v33, 0x80000000, v33
	s_waitcnt vmcnt(1)
	v_xor_b32_e32 v34, 0x80000000, v34
	v_xor_b32_e32 v35, 0x80000000, v35
	v_xor_b32_e32 v36, 0x80000000, v36
	v_xor_b32_e32 v37, 0x80000000, v37
	s_waitcnt vmcnt(0)
	v_xor_b32_e32 v38, 0x80000000, v40
	v_xor_b32_e32 v40, 0x80000000, v41
	v_xor_b32_e32 v41, 0x80000000, v42
	v_xor_b32_e32 v42, 0x80000000, v43
	v_add_u32_e32 v43, -4, v7
	s_branch .LBB14_2
.LBB14_1:                               ;   in Loop: Header=BB14_2 Depth=1
	s_add_i32 s31, s31, 1
	s_cmp_eq_u32 s31, 10
	s_cbranch_scc1 .LBB14_74
.LBB14_2:                               ; =>This Loop Header: Depth=1
                                        ;     Child Loop BB14_4 Depth 2
	s_mov_b32 s24, -4
	s_mov_b32 s25, 28
	s_branch .LBB14_4
.LBB14_3:                               ;   in Loop: Header=BB14_4 Depth=2
	s_or_b64 exec, exec, s[20:21]
	s_waitcnt lgkmcnt(0)
	v_add_u32_e32 v4, v5, v4
	ds_bpermute_b32 v4, v8, v4
	s_add_i32 s25, s25, -4
	s_add_i32 s24, s24, 4
	s_cmp_lt_u32 s24, 28
	s_waitcnt lgkmcnt(0)
	v_cndmask_b32_e64 v4, v4, v5, s[4:5]
	ds_write_b32 v1, v4 offset:8
	s_waitcnt lgkmcnt(0)
	s_barrier
	s_cbranch_scc0 .LBB14_1
.LBB14_4:                               ;   Parent Loop BB14_2 Depth=1
                                        ; =>  This Inner Loop Header: Depth=2
	v_lshlrev_b32_e32 v4, s25, v10
	v_lshrrev_b32_e32 v5, 28, v4
	v_mad_u32_u24 v3, v5, 3, v9
	v_lshl_add_u32 v6, v3, 2, 8
	v_bfe_u32 v3, v4, 28, 1
	v_add_co_u32_e64 v39, s[20:21], -1, v3
	v_addc_co_u32_e64 v44, s[20:21], 0, -1, s[20:21]
	v_cmp_ne_u32_e64 s[20:21], 0, v3
	v_xor_b32_e32 v3, s21, v44
	v_and_b32_e32 v44, exec_hi, v3
	v_lshlrev_b32_e32 v3, 30, v5
	v_xor_b32_e32 v39, s20, v39
	v_cmp_gt_i64_e64 s[20:21], 0, v[2:3]
	v_not_b32_e32 v3, v3
	v_ashrrev_i32_e32 v3, 31, v3
	v_and_b32_e32 v39, exec_lo, v39
	v_xor_b32_e32 v45, s21, v3
	v_xor_b32_e32 v3, s20, v3
	v_and_b32_e32 v39, v39, v3
	v_lshlrev_b32_e32 v3, 29, v5
	v_cmp_gt_i64_e64 s[20:21], 0, v[2:3]
	v_not_b32_e32 v3, v3
	v_ashrrev_i32_e32 v3, 31, v3
	v_xor_b32_e32 v5, s21, v3
	v_xor_b32_e32 v3, s20, v3
	v_and_b32_e32 v39, v39, v3
	v_and_b32_e32 v3, 0xf0000000, v4
	v_cmp_gt_i64_e64 s[20:21], 0, v[2:3]
	v_not_b32_e32 v3, v3
	v_and_b32_e32 v44, v44, v45
	v_ashrrev_i32_e32 v3, 31, v3
	v_and_b32_e32 v5, v44, v5
	v_xor_b32_e32 v4, s21, v3
	v_xor_b32_e32 v3, s20, v3
	v_and_b32_e32 v5, v5, v4
	v_and_b32_e32 v4, v39, v3
	v_mbcnt_lo_u32_b32 v3, v4, 0
	v_mbcnt_hi_u32_b32 v39, v5, v3
	v_cmp_eq_u32_e64 s[20:21], 0, v39
	v_cmp_ne_u64_e64 s[22:23], 0, v[4:5]
	s_and_b64 s[22:23], s[20:21], s[22:23]
	ds_write_b32 v1, v2 offset:8
	s_waitcnt lgkmcnt(0)
	s_barrier
	s_waitcnt lgkmcnt(0)
	; wave barrier
	s_and_saveexec_b64 s[20:21], s[22:23]
	s_cbranch_execz .LBB14_6
; %bb.5:                                ;   in Loop: Header=BB14_4 Depth=2
	v_bcnt_u32_b32 v3, v4, 0
	v_bcnt_u32_b32 v3, v5, v3
	ds_write_b32 v6, v3
.LBB14_6:                               ;   in Loop: Header=BB14_4 Depth=2
	s_or_b64 exec, exec, s[20:21]
	v_lshlrev_b32_e32 v4, s25, v11
	v_lshrrev_b32_e32 v5, 28, v4
	v_mul_u32_u24_e32 v3, 3, v5
	v_add_lshl_u32 v3, v3, v9, 2
	; wave barrier
	v_add_u32_e32 v45, 8, v3
	ds_read_b32 v44, v3 offset:8
	v_bfe_u32 v3, v4, 28, 1
	v_add_co_u32_e64 v46, s[20:21], -1, v3
	v_addc_co_u32_e64 v47, s[20:21], 0, -1, s[20:21]
	v_cmp_ne_u32_e64 s[20:21], 0, v3
	v_xor_b32_e32 v3, s21, v47
	v_and_b32_e32 v47, exec_hi, v3
	v_lshlrev_b32_e32 v3, 30, v5
	v_xor_b32_e32 v46, s20, v46
	v_cmp_gt_i64_e64 s[20:21], 0, v[2:3]
	v_not_b32_e32 v3, v3
	v_ashrrev_i32_e32 v3, 31, v3
	v_and_b32_e32 v46, exec_lo, v46
	v_xor_b32_e32 v48, s21, v3
	v_xor_b32_e32 v3, s20, v3
	v_and_b32_e32 v46, v46, v3
	v_lshlrev_b32_e32 v3, 29, v5
	v_cmp_gt_i64_e64 s[20:21], 0, v[2:3]
	v_not_b32_e32 v3, v3
	v_ashrrev_i32_e32 v3, 31, v3
	v_xor_b32_e32 v5, s21, v3
	v_xor_b32_e32 v3, s20, v3
	v_and_b32_e32 v46, v46, v3
	v_and_b32_e32 v3, 0xf0000000, v4
	v_cmp_gt_i64_e64 s[20:21], 0, v[2:3]
	v_not_b32_e32 v3, v3
	v_and_b32_e32 v47, v47, v48
	v_ashrrev_i32_e32 v3, 31, v3
	v_and_b32_e32 v5, v47, v5
	v_xor_b32_e32 v4, s21, v3
	v_xor_b32_e32 v3, s20, v3
	v_and_b32_e32 v5, v5, v4
	v_and_b32_e32 v4, v46, v3
	v_mbcnt_lo_u32_b32 v3, v4, 0
	v_mbcnt_hi_u32_b32 v46, v5, v3
	v_cmp_eq_u32_e64 s[20:21], 0, v46
	v_cmp_ne_u64_e64 s[22:23], 0, v[4:5]
	s_and_b64 s[22:23], s[22:23], s[20:21]
	; wave barrier
	s_and_saveexec_b64 s[20:21], s[22:23]
	s_cbranch_execz .LBB14_8
; %bb.7:                                ;   in Loop: Header=BB14_4 Depth=2
	v_bcnt_u32_b32 v3, v4, 0
	v_bcnt_u32_b32 v3, v5, v3
	s_waitcnt lgkmcnt(0)
	v_add_u32_e32 v3, v44, v3
	ds_write_b32 v45, v3
.LBB14_8:                               ;   in Loop: Header=BB14_4 Depth=2
	s_or_b64 exec, exec, s[20:21]
	v_lshlrev_b32_e32 v4, s25, v12
	v_lshrrev_b32_e32 v5, 28, v4
	v_mul_u32_u24_e32 v3, 3, v5
	v_add_lshl_u32 v3, v3, v9, 2
	; wave barrier
	v_add_u32_e32 v48, 8, v3
	ds_read_b32 v47, v3 offset:8
	v_bfe_u32 v3, v4, 28, 1
	v_add_co_u32_e64 v49, s[20:21], -1, v3
	v_addc_co_u32_e64 v50, s[20:21], 0, -1, s[20:21]
	v_cmp_ne_u32_e64 s[20:21], 0, v3
	v_xor_b32_e32 v3, s21, v50
	v_and_b32_e32 v50, exec_hi, v3
	v_lshlrev_b32_e32 v3, 30, v5
	v_xor_b32_e32 v49, s20, v49
	v_cmp_gt_i64_e64 s[20:21], 0, v[2:3]
	v_not_b32_e32 v3, v3
	v_ashrrev_i32_e32 v3, 31, v3
	v_and_b32_e32 v49, exec_lo, v49
	v_xor_b32_e32 v51, s21, v3
	v_xor_b32_e32 v3, s20, v3
	v_and_b32_e32 v49, v49, v3
	v_lshlrev_b32_e32 v3, 29, v5
	v_cmp_gt_i64_e64 s[20:21], 0, v[2:3]
	v_not_b32_e32 v3, v3
	v_ashrrev_i32_e32 v3, 31, v3
	v_xor_b32_e32 v5, s21, v3
	v_xor_b32_e32 v3, s20, v3
	v_and_b32_e32 v49, v49, v3
	v_and_b32_e32 v3, 0xf0000000, v4
	v_cmp_gt_i64_e64 s[20:21], 0, v[2:3]
	v_not_b32_e32 v3, v3
	v_and_b32_e32 v50, v50, v51
	v_ashrrev_i32_e32 v3, 31, v3
	v_and_b32_e32 v5, v50, v5
	v_xor_b32_e32 v4, s21, v3
	v_xor_b32_e32 v3, s20, v3
	v_and_b32_e32 v5, v5, v4
	v_and_b32_e32 v4, v49, v3
	v_mbcnt_lo_u32_b32 v3, v4, 0
	v_mbcnt_hi_u32_b32 v49, v5, v3
	v_cmp_eq_u32_e64 s[20:21], 0, v49
	v_cmp_ne_u64_e64 s[22:23], 0, v[4:5]
	s_and_b64 s[22:23], s[22:23], s[20:21]
	; wave barrier
	s_and_saveexec_b64 s[20:21], s[22:23]
	s_cbranch_execz .LBB14_10
; %bb.9:                                ;   in Loop: Header=BB14_4 Depth=2
	v_bcnt_u32_b32 v3, v4, 0
	v_bcnt_u32_b32 v3, v5, v3
	s_waitcnt lgkmcnt(0)
	v_add_u32_e32 v3, v47, v3
	ds_write_b32 v48, v3
.LBB14_10:                              ;   in Loop: Header=BB14_4 Depth=2
	s_or_b64 exec, exec, s[20:21]
	v_lshlrev_b32_e32 v4, s25, v13
	v_lshrrev_b32_e32 v5, 28, v4
	v_mul_u32_u24_e32 v3, 3, v5
	v_add_lshl_u32 v3, v3, v9, 2
	; wave barrier
	v_add_u32_e32 v51, 8, v3
	ds_read_b32 v50, v3 offset:8
	v_bfe_u32 v3, v4, 28, 1
	v_add_co_u32_e64 v52, s[20:21], -1, v3
	v_addc_co_u32_e64 v53, s[20:21], 0, -1, s[20:21]
	v_cmp_ne_u32_e64 s[20:21], 0, v3
	v_xor_b32_e32 v3, s21, v53
	v_and_b32_e32 v53, exec_hi, v3
	v_lshlrev_b32_e32 v3, 30, v5
	v_xor_b32_e32 v52, s20, v52
	v_cmp_gt_i64_e64 s[20:21], 0, v[2:3]
	v_not_b32_e32 v3, v3
	v_ashrrev_i32_e32 v3, 31, v3
	v_and_b32_e32 v52, exec_lo, v52
	v_xor_b32_e32 v54, s21, v3
	v_xor_b32_e32 v3, s20, v3
	v_and_b32_e32 v52, v52, v3
	v_lshlrev_b32_e32 v3, 29, v5
	v_cmp_gt_i64_e64 s[20:21], 0, v[2:3]
	v_not_b32_e32 v3, v3
	v_ashrrev_i32_e32 v3, 31, v3
	v_xor_b32_e32 v5, s21, v3
	v_xor_b32_e32 v3, s20, v3
	v_and_b32_e32 v52, v52, v3
	v_and_b32_e32 v3, 0xf0000000, v4
	v_cmp_gt_i64_e64 s[20:21], 0, v[2:3]
	v_not_b32_e32 v3, v3
	v_and_b32_e32 v53, v53, v54
	v_ashrrev_i32_e32 v3, 31, v3
	v_and_b32_e32 v5, v53, v5
	v_xor_b32_e32 v4, s21, v3
	v_xor_b32_e32 v3, s20, v3
	v_and_b32_e32 v5, v5, v4
	v_and_b32_e32 v4, v52, v3
	v_mbcnt_lo_u32_b32 v3, v4, 0
	v_mbcnt_hi_u32_b32 v52, v5, v3
	v_cmp_eq_u32_e64 s[20:21], 0, v52
	v_cmp_ne_u64_e64 s[22:23], 0, v[4:5]
	s_and_b64 s[22:23], s[22:23], s[20:21]
	; wave barrier
	s_and_saveexec_b64 s[20:21], s[22:23]
	s_cbranch_execz .LBB14_12
; %bb.11:                               ;   in Loop: Header=BB14_4 Depth=2
	v_bcnt_u32_b32 v3, v4, 0
	v_bcnt_u32_b32 v3, v5, v3
	s_waitcnt lgkmcnt(0)
	v_add_u32_e32 v3, v50, v3
	ds_write_b32 v51, v3
.LBB14_12:                              ;   in Loop: Header=BB14_4 Depth=2
	s_or_b64 exec, exec, s[20:21]
	v_lshlrev_b32_e32 v4, s25, v14
	v_lshrrev_b32_e32 v5, 28, v4
	v_mul_u32_u24_e32 v3, 3, v5
	v_add_lshl_u32 v3, v3, v9, 2
	; wave barrier
	v_add_u32_e32 v54, 8, v3
	ds_read_b32 v53, v3 offset:8
	v_bfe_u32 v3, v4, 28, 1
	v_add_co_u32_e64 v55, s[20:21], -1, v3
	v_addc_co_u32_e64 v56, s[20:21], 0, -1, s[20:21]
	v_cmp_ne_u32_e64 s[20:21], 0, v3
	v_xor_b32_e32 v3, s21, v56
	v_and_b32_e32 v56, exec_hi, v3
	v_lshlrev_b32_e32 v3, 30, v5
	v_xor_b32_e32 v55, s20, v55
	v_cmp_gt_i64_e64 s[20:21], 0, v[2:3]
	v_not_b32_e32 v3, v3
	v_ashrrev_i32_e32 v3, 31, v3
	v_and_b32_e32 v55, exec_lo, v55
	v_xor_b32_e32 v57, s21, v3
	v_xor_b32_e32 v3, s20, v3
	v_and_b32_e32 v55, v55, v3
	v_lshlrev_b32_e32 v3, 29, v5
	v_cmp_gt_i64_e64 s[20:21], 0, v[2:3]
	v_not_b32_e32 v3, v3
	v_ashrrev_i32_e32 v3, 31, v3
	v_xor_b32_e32 v5, s21, v3
	v_xor_b32_e32 v3, s20, v3
	v_and_b32_e32 v55, v55, v3
	v_and_b32_e32 v3, 0xf0000000, v4
	v_cmp_gt_i64_e64 s[20:21], 0, v[2:3]
	v_not_b32_e32 v3, v3
	v_and_b32_e32 v56, v56, v57
	v_ashrrev_i32_e32 v3, 31, v3
	v_and_b32_e32 v5, v56, v5
	v_xor_b32_e32 v4, s21, v3
	v_xor_b32_e32 v3, s20, v3
	v_and_b32_e32 v5, v5, v4
	v_and_b32_e32 v4, v55, v3
	v_mbcnt_lo_u32_b32 v3, v4, 0
	v_mbcnt_hi_u32_b32 v55, v5, v3
	v_cmp_eq_u32_e64 s[20:21], 0, v55
	v_cmp_ne_u64_e64 s[22:23], 0, v[4:5]
	s_and_b64 s[22:23], s[22:23], s[20:21]
	; wave barrier
	s_and_saveexec_b64 s[20:21], s[22:23]
	s_cbranch_execz .LBB14_14
; %bb.13:                               ;   in Loop: Header=BB14_4 Depth=2
	v_bcnt_u32_b32 v3, v4, 0
	v_bcnt_u32_b32 v3, v5, v3
	s_waitcnt lgkmcnt(0)
	v_add_u32_e32 v3, v53, v3
	ds_write_b32 v54, v3
.LBB14_14:                              ;   in Loop: Header=BB14_4 Depth=2
	;; [unrolled: 55-line block ×29, first 2 shown]
	s_or_b64 exec, exec, s[20:21]
	; wave barrier
	s_waitcnt lgkmcnt(0)
	s_barrier
	ds_read_b32 v4, v1 offset:8
	s_waitcnt lgkmcnt(0)
	s_nop 0
	v_mov_b32_dpp v5, v4 row_shr:1 row_mask:0xf bank_mask:0xf
	v_cndmask_b32_e64 v5, v5, 0, s[6:7]
	v_add_u32_e32 v4, v5, v4
	s_nop 1
	v_mov_b32_dpp v5, v4 row_shr:2 row_mask:0xf bank_mask:0xf
	v_cndmask_b32_e64 v5, 0, v5, s[8:9]
	v_add_u32_e32 v4, v4, v5
	;; [unrolled: 4-line block ×4, first 2 shown]
	s_nop 1
	v_mov_b32_dpp v5, v4 row_bcast:15 row_mask:0xf bank_mask:0xf
	v_cndmask_b32_e64 v5, v5, 0, s[14:15]
	v_add_u32_e32 v4, v4, v5
	s_nop 1
	v_mov_b32_dpp v5, v4 row_bcast:31 row_mask:0xf bank_mask:0xf
	v_cndmask_b32_e32 v5, 0, v5, vcc
	v_add_u32_e32 v4, v4, v5
	s_and_saveexec_b64 s[20:21], s[16:17]
	s_xor_b64 s[20:21], exec, s[20:21]
	s_cbranch_execz .LBB14_70
; %bb.69:                               ;   in Loop: Header=BB14_4 Depth=2
	ds_write_b32 v7, v4
.LBB14_70:                              ;   in Loop: Header=BB14_4 Depth=2
	s_or_b64 exec, exec, s[20:21]
	s_waitcnt lgkmcnt(0)
	s_barrier
	s_and_saveexec_b64 s[20:21], s[0:1]
	s_cbranch_execz .LBB14_72
; %bb.71:                               ;   in Loop: Header=BB14_4 Depth=2
	ds_read_b32 v5, v1
	s_waitcnt lgkmcnt(0)
	s_nop 0
	v_mov_b32_dpp v136, v5 row_shr:1 row_mask:0xf bank_mask:0xf
	v_cndmask_b32_e64 v136, v136, 0, s[18:19]
	v_add_u32_e32 v5, v136, v5
	ds_write_b32 v1, v5
.LBB14_72:                              ;   in Loop: Header=BB14_4 Depth=2
	s_or_b64 exec, exec, s[20:21]
	v_mov_b32_e32 v5, 0
	s_waitcnt lgkmcnt(0)
	s_barrier
	s_and_saveexec_b64 s[20:21], s[2:3]
	s_cbranch_execz .LBB14_3
; %bb.73:                               ;   in Loop: Header=BB14_4 Depth=2
	ds_read_b32 v5, v43
	s_branch .LBB14_3
.LBB14_74:
	ds_read_b32 v1, v45
	ds_read_b32 v2, v61
	;; [unrolled: 1-line block ×8, first 2 shown]
	s_add_u32 s0, s26, s28
	s_waitcnt lgkmcnt(7)
	v_add3_u32 v5, v46, v44, v1
	s_waitcnt lgkmcnt(3)
	v_add3_u32 v7, v52, v50, v4
	;; [unrolled: 2-line block ×3, first 2 shown]
	s_waitcnt lgkmcnt(1)
	v_add_u32_e32 v4, v11, v39
	v_lshlrev_b32_e32 v10, 2, v0
	s_addc_u32 s1, s27, s29
	global_store_dwordx4 v10, v[4:7], s[0:1]
	s_nop 0
	v_add3_u32 v5, v59, v56, v8
	v_add3_u32 v4, v55, v53, v9
	ds_read_b32 v0, v87
	ds_read_b32 v1, v84
	ds_read_b32 v8, v81
	ds_read_b32 v9, v78
	ds_read_b32 v11, v75
	ds_read_b32 v13, v72
	ds_read_b32 v14, v69
	ds_read_b32 v15, v66
	s_waitcnt lgkmcnt(8)
	v_add3_u32 v7, v64, v62, v12
	v_add3_u32 v6, v60, v58, v2
	global_store_dwordx4 v10, v[4:7], s[0:1] offset:16
	s_waitcnt lgkmcnt(1)
	v_add3_u32 v5, v70, v68, v14
	s_waitcnt lgkmcnt(0)
	v_add3_u32 v4, v67, v65, v15
	v_add3_u32 v7, v76, v74, v11
	;; [unrolled: 1-line block ×3, first 2 shown]
	global_store_dwordx4 v10, v[4:7], s[0:1] offset:32
	s_nop 0
	v_add3_u32 v5, v82, v80, v8
	v_add3_u32 v4, v79, v77, v9
	ds_read_b32 v2, v135
	ds_read_b32 v8, v133
	;; [unrolled: 1-line block ×16, first 2 shown]
	v_add3_u32 v7, v88, v86, v0
	v_add3_u32 v6, v85, v83, v1
	global_store_dwordx4 v10, v[4:7], s[0:1] offset:48
	s_waitcnt lgkmcnt(13)
	v_add3_u32 v1, v129, v128, v9
	s_waitcnt lgkmcnt(1)
	v_add3_u32 v5, v94, v92, v22
	;; [unrolled: 2-line block ×3, first 2 shown]
	v_add3_u32 v7, v100, v98, v20
	v_add3_u32 v6, v97, v95, v21
	global_store_dwordx4 v10, v[4:7], s[0:1] offset:64
	v_add3_u32 v0, v126, v125, v11
	v_add3_u32 v5, v106, v104, v18
	;; [unrolled: 1-line block ×5, first 2 shown]
	global_store_dwordx4 v10, v[4:7], s[0:1] offset:80
	v_add3_u32 v3, v3, v134, v2
	v_add3_u32 v5, v118, v116, v14
	;; [unrolled: 1-line block ×6, first 2 shown]
	global_store_dwordx4 v10, v[4:7], s[0:1] offset:96
	global_store_dwordx4 v10, v[0:3], s[0:1] offset:112
	s_endpgm
	.section	.rodata,"a",@progbits
	.p2align	6, 0x0
	.amdhsa_kernel _Z11rank_kernelIiLj4ELb0EL18RadixRankAlgorithm2ELj128ELj32ELj10EEvPKT_Pi
		.amdhsa_group_segment_fixed_size 520
		.amdhsa_private_segment_fixed_size 0
		.amdhsa_kernarg_size 272
		.amdhsa_user_sgpr_count 6
		.amdhsa_user_sgpr_private_segment_buffer 1
		.amdhsa_user_sgpr_dispatch_ptr 0
		.amdhsa_user_sgpr_queue_ptr 0
		.amdhsa_user_sgpr_kernarg_segment_ptr 1
		.amdhsa_user_sgpr_dispatch_id 0
		.amdhsa_user_sgpr_flat_scratch_init 0
		.amdhsa_user_sgpr_kernarg_preload_length 0
		.amdhsa_user_sgpr_kernarg_preload_offset 0
		.amdhsa_user_sgpr_private_segment_size 0
		.amdhsa_uses_dynamic_stack 0
		.amdhsa_system_sgpr_private_segment_wavefront_offset 0
		.amdhsa_system_sgpr_workgroup_id_x 1
		.amdhsa_system_sgpr_workgroup_id_y 0
		.amdhsa_system_sgpr_workgroup_id_z 0
		.amdhsa_system_sgpr_workgroup_info 0
		.amdhsa_system_vgpr_workitem_id 2
		.amdhsa_next_free_vgpr 139
		.amdhsa_next_free_sgpr 32
		.amdhsa_accum_offset 140
		.amdhsa_reserve_vcc 1
		.amdhsa_reserve_flat_scratch 0
		.amdhsa_float_round_mode_32 0
		.amdhsa_float_round_mode_16_64 0
		.amdhsa_float_denorm_mode_32 3
		.amdhsa_float_denorm_mode_16_64 3
		.amdhsa_dx10_clamp 1
		.amdhsa_ieee_mode 1
		.amdhsa_fp16_overflow 0
		.amdhsa_tg_split 0
		.amdhsa_exception_fp_ieee_invalid_op 0
		.amdhsa_exception_fp_denorm_src 0
		.amdhsa_exception_fp_ieee_div_zero 0
		.amdhsa_exception_fp_ieee_overflow 0
		.amdhsa_exception_fp_ieee_underflow 0
		.amdhsa_exception_fp_ieee_inexact 0
		.amdhsa_exception_int_div_zero 0
	.end_amdhsa_kernel
	.section	.text._Z11rank_kernelIiLj4ELb0EL18RadixRankAlgorithm2ELj128ELj32ELj10EEvPKT_Pi,"axG",@progbits,_Z11rank_kernelIiLj4ELb0EL18RadixRankAlgorithm2ELj128ELj32ELj10EEvPKT_Pi,comdat
.Lfunc_end14:
	.size	_Z11rank_kernelIiLj4ELb0EL18RadixRankAlgorithm2ELj128ELj32ELj10EEvPKT_Pi, .Lfunc_end14-_Z11rank_kernelIiLj4ELb0EL18RadixRankAlgorithm2ELj128ELj32ELj10EEvPKT_Pi
                                        ; -- End function
	.section	.AMDGPU.csdata,"",@progbits
; Kernel info:
; codeLenInByte = 10336
; NumSgprs: 36
; NumVgprs: 139
; NumAgprs: 0
; TotalNumVgprs: 139
; ScratchSize: 0
; MemoryBound: 0
; FloatMode: 240
; IeeeMode: 1
; LDSByteSize: 520 bytes/workgroup (compile time only)
; SGPRBlocks: 4
; VGPRBlocks: 17
; NumSGPRsForWavesPerEU: 36
; NumVGPRsForWavesPerEU: 139
; AccumOffset: 140
; Occupancy: 3
; WaveLimiterHint : 0
; COMPUTE_PGM_RSRC2:SCRATCH_EN: 0
; COMPUTE_PGM_RSRC2:USER_SGPR: 6
; COMPUTE_PGM_RSRC2:TRAP_HANDLER: 0
; COMPUTE_PGM_RSRC2:TGID_X_EN: 1
; COMPUTE_PGM_RSRC2:TGID_Y_EN: 0
; COMPUTE_PGM_RSRC2:TGID_Z_EN: 0
; COMPUTE_PGM_RSRC2:TIDIG_COMP_CNT: 2
; COMPUTE_PGM_RSRC3_GFX90A:ACCUM_OFFSET: 34
; COMPUTE_PGM_RSRC3_GFX90A:TG_SPLIT: 0
	.section	.text._Z11rank_kernelIiLj4ELb0EL18RadixRankAlgorithm0ELj256ELj1ELj10EEvPKT_Pi,"axG",@progbits,_Z11rank_kernelIiLj4ELb0EL18RadixRankAlgorithm0ELj256ELj1ELj10EEvPKT_Pi,comdat
	.protected	_Z11rank_kernelIiLj4ELb0EL18RadixRankAlgorithm0ELj256ELj1ELj10EEvPKT_Pi ; -- Begin function _Z11rank_kernelIiLj4ELb0EL18RadixRankAlgorithm0ELj256ELj1ELj10EEvPKT_Pi
	.globl	_Z11rank_kernelIiLj4ELb0EL18RadixRankAlgorithm0ELj256ELj1ELj10EEvPKT_Pi
	.p2align	8
	.type	_Z11rank_kernelIiLj4ELb0EL18RadixRankAlgorithm0ELj256ELj1ELj10EEvPKT_Pi,@function
_Z11rank_kernelIiLj4ELb0EL18RadixRankAlgorithm0ELj256ELj1ELj10EEvPKT_Pi: ; @_Z11rank_kernelIiLj4ELb0EL18RadixRankAlgorithm0ELj256ELj1ELj10EEvPKT_Pi
; %bb.0:
	s_load_dwordx4 s[20:23], s[4:5], 0x0
	s_lshl_b32 s26, s6, 8
	s_mov_b32 s27, 0
	s_lshl_b64 s[24:25], s[26:27], 2
	v_lshlrev_b32_e32 v4, 2, v0
	s_waitcnt lgkmcnt(0)
	s_add_u32 s0, s20, s24
	s_addc_u32 s1, s21, s25
	global_load_dword v2, v4, s[0:1]
	v_mbcnt_lo_u32_b32 v1, -1, 0
	v_mbcnt_hi_u32_b32 v3, -1, v1
	v_add_u32_e32 v11, -1, v3
	v_and_b32_e32 v12, 64, v3
	v_or_b32_e32 v7, 63, v0
	v_lshrrev_b32_e32 v8, 4, v0
	v_cmp_lt_i32_e64 s[18:19], v11, v12
	v_and_b32_e32 v9, 15, v3
	v_and_b32_e32 v10, 16, v3
	v_cmp_lt_u32_e64 s[2:3], 31, v3
	v_cmp_eq_u32_e64 s[4:5], v7, v0
	v_cmp_eq_u32_e64 s[6:7], 0, v3
	v_and_b32_e32 v7, 12, v8
	v_and_b32_e32 v8, 3, v3
	v_cndmask_b32_e64 v3, v11, v3, s[18:19]
	v_mov_b32_e32 v5, 0
	v_lshlrev_b32_e32 v6, 5, v0
	v_cmp_gt_u32_e32 vcc, 4, v0
	v_cmp_lt_u32_e64 s[0:1], 63, v0
	v_or_b32_e32 v1, 0x100, v0
	v_cmp_eq_u32_e64 s[8:9], 0, v9
	v_cmp_lt_u32_e64 s[10:11], 1, v9
	v_cmp_lt_u32_e64 s[12:13], 3, v9
	;; [unrolled: 1-line block ×3, first 2 shown]
	v_cmp_eq_u32_e64 s[16:17], 0, v10
	v_cmp_eq_u32_e64 s[18:19], 0, v8
	v_cmp_lt_u32_e64 s[20:21], 1, v8
	v_lshlrev_b32_e32 v8, 2, v3
	s_movk_i32 s26, 0x700
	s_waitcnt vmcnt(0)
	v_xor_b32_e32 v9, 0x80000000, v2
	s_branch .LBB15_2
.LBB15_1:                               ;   in Loop: Header=BB15_2 Depth=1
	s_add_i32 s27, s27, 1
	s_cmp_eq_u32 s27, 10
	s_cbranch_scc1 .LBB15_16
.LBB15_2:                               ; =>This Loop Header: Depth=1
                                        ;     Child Loop BB15_4 Depth 2
                                        ;       Child Loop BB15_6 Depth 3
	s_mov_b32 s33, 0
	s_branch .LBB15_4
.LBB15_3:                               ;   in Loop: Header=BB15_4 Depth=2
	s_or_b64 exec, exec, s[28:29]
	s_waitcnt lgkmcnt(0)
	v_add_u32_e32 v10, v11, v10
	ds_bpermute_b32 v10, v8, v10
	ds_read_b32 v12, v5 offset:8204
	s_add_i32 s28, s33, 4
	s_cmp_lt_u32 s33, 28
	s_mov_b32 s33, s28
	s_waitcnt lgkmcnt(1)
	v_cndmask_b32_e64 v13, v10, v11, s[6:7]
	ds_read2_b32 v[10:11], v6 offset1:1
	s_waitcnt lgkmcnt(1)
	v_lshl_add_u32 v16, v12, 16, v13
	ds_read2_b32 v[12:13], v6 offset0:2 offset1:3
	ds_read2_b32 v[14:15], v6 offset0:4 offset1:5
	ds_read_b32 v17, v6 offset:24
	s_waitcnt lgkmcnt(3)
	v_add_u32_e32 v10, v16, v10
	ds_write2_b32 v6, v16, v10 offset1:1
	v_add_u32_e32 v10, v11, v10
	s_waitcnt lgkmcnt(3)
	v_add_u32_e32 v11, v12, v10
	ds_write2_b32 v6, v10, v11 offset0:2 offset1:3
	v_add_u32_e32 v10, v13, v11
	s_waitcnt lgkmcnt(3)
	v_add_u32_e32 v11, v14, v10
	ds_write2_b32 v6, v10, v11 offset0:4 offset1:5
	;; [unrolled: 4-line block ×3, first 2 shown]
	s_waitcnt lgkmcnt(0)
	s_barrier
	s_cbranch_scc0 .LBB15_1
.LBB15_4:                               ;   Parent Loop BB15_2 Depth=1
                                        ; =>  This Loop Header: Depth=2
                                        ;       Child Loop BB15_6 Depth 3
	s_mov_b32 s36, 0
	s_mov_b64 s[28:29], 0
	v_pk_mov_b32 v[2:3], v[0:1], v[0:1] op_sel:[0,1]
	s_branch .LBB15_6
.LBB15_5:                               ;   in Loop: Header=BB15_6 Depth=3
	s_or_b64 exec, exec, s[34:35]
	s_add_i32 s36, s36, 2
	v_cmp_eq_u32_e64 s[30:31], 8, s36
	v_add_u32_e32 v3, 0x200, v3
	s_or_b64 s[28:29], s[30:31], s[28:29]
	v_add_u32_e32 v2, 0x200, v2
	s_andn2_b64 exec, exec, s[28:29]
	s_cbranch_execz .LBB15_10
.LBB15_6:                               ;   Parent Loop BB15_2 Depth=1
                                        ;     Parent Loop BB15_4 Depth=2
                                        ; =>    This Inner Loop Header: Depth=3
	s_or_b32 s30, s36, 1
	v_cmp_le_u32_e64 s[30:31], s30, 7
	v_cmp_le_u32_e64 s[38:39], s36, 7
	s_and_saveexec_b64 s[34:35], s[38:39]
	s_cbranch_execz .LBB15_8
; %bb.7:                                ;   in Loop: Header=BB15_6 Depth=3
	v_lshlrev_b32_e32 v10, 2, v2
	ds_write_b32 v10, v5
.LBB15_8:                               ;   in Loop: Header=BB15_6 Depth=3
	s_or_b64 exec, exec, s[34:35]
	s_and_saveexec_b64 s[34:35], s[30:31]
	s_cbranch_execz .LBB15_5
; %bb.9:                                ;   in Loop: Header=BB15_6 Depth=3
	v_lshlrev_b32_e32 v10, 2, v3
	ds_write_b32 v10, v5
	s_branch .LBB15_5
.LBB15_10:                              ;   in Loop: Header=BB15_4 Depth=2
	s_or_b64 exec, exec, s[28:29]
	s_sub_i32 s28, 28, s33
	v_lshlrev_b32_e32 v2, s28, v9
	v_lshrrev_b32_e32 v3, 20, v2
	v_and_or_b32 v3, v3, s26, v0
	v_alignbit_b32 v2, v3, v2, 31
	v_lshlrev_b32_e32 v3, 1, v2
	ds_read_u16 v2, v3
	s_waitcnt lgkmcnt(0)
	v_add_u16_e32 v10, 1, v2
	ds_write_b16 v3, v10
	s_waitcnt lgkmcnt(0)
	s_barrier
	ds_read2_b32 v[10:11], v6 offset1:1
	ds_read2_b32 v[12:13], v6 offset0:2 offset1:3
	ds_read2_b32 v[14:15], v6 offset0:4 offset1:5
	;; [unrolled: 1-line block ×3, first 2 shown]
	s_waitcnt lgkmcnt(3)
	v_add_u32_e32 v10, v11, v10
	s_waitcnt lgkmcnt(2)
	v_add3_u32 v10, v10, v12, v13
	s_waitcnt lgkmcnt(1)
	v_add3_u32 v10, v10, v14, v15
	;; [unrolled: 2-line block ×3, first 2 shown]
	s_nop 1
	v_mov_b32_dpp v11, v10 row_shr:1 row_mask:0xf bank_mask:0xf
	v_cndmask_b32_e64 v11, v11, 0, s[8:9]
	v_add_u32_e32 v10, v11, v10
	s_nop 1
	v_mov_b32_dpp v11, v10 row_shr:2 row_mask:0xf bank_mask:0xf
	v_cndmask_b32_e64 v11, 0, v11, s[10:11]
	v_add_u32_e32 v10, v10, v11
	;; [unrolled: 4-line block ×4, first 2 shown]
	s_nop 1
	v_mov_b32_dpp v11, v10 row_bcast:15 row_mask:0xf bank_mask:0xf
	v_cndmask_b32_e64 v11, v11, 0, s[16:17]
	v_add_u32_e32 v10, v10, v11
	s_nop 1
	v_mov_b32_dpp v11, v10 row_bcast:31 row_mask:0xf bank_mask:0xf
	v_cndmask_b32_e64 v11, 0, v11, s[2:3]
	v_add_u32_e32 v10, v10, v11
	s_and_saveexec_b64 s[28:29], s[4:5]
	s_cbranch_execz .LBB15_12
; %bb.11:                               ;   in Loop: Header=BB15_4 Depth=2
	ds_write_b32 v7, v10 offset:8192
.LBB15_12:                              ;   in Loop: Header=BB15_4 Depth=2
	s_or_b64 exec, exec, s[28:29]
	s_waitcnt lgkmcnt(0)
	s_barrier
	s_and_saveexec_b64 s[28:29], vcc
	s_cbranch_execz .LBB15_14
; %bb.13:                               ;   in Loop: Header=BB15_4 Depth=2
	ds_read_b32 v11, v4 offset:8192
	s_waitcnt lgkmcnt(0)
	s_nop 0
	v_mov_b32_dpp v12, v11 row_shr:1 row_mask:0xf bank_mask:0xf
	v_cndmask_b32_e64 v12, v12, 0, s[18:19]
	v_add_u32_e32 v11, v12, v11
	s_nop 1
	v_mov_b32_dpp v12, v11 row_shr:2 row_mask:0xf bank_mask:0xf
	v_cndmask_b32_e64 v12, 0, v12, s[20:21]
	v_add_u32_e32 v11, v11, v12
	ds_write_b32 v4, v11 offset:8192
.LBB15_14:                              ;   in Loop: Header=BB15_4 Depth=2
	s_or_b64 exec, exec, s[28:29]
	v_mov_b32_e32 v11, 0
	s_waitcnt lgkmcnt(0)
	s_barrier
	s_and_saveexec_b64 s[28:29], s[0:1]
	s_cbranch_execz .LBB15_3
; %bb.15:                               ;   in Loop: Header=BB15_4 Depth=2
	ds_read_b32 v11, v7 offset:8188
	s_branch .LBB15_3
.LBB15_16:
	ds_read_u16 v1, v3
	s_add_u32 s0, s22, s24
	s_addc_u32 s1, s23, s25
	v_lshlrev_b32_e32 v0, 2, v0
	s_waitcnt lgkmcnt(0)
	v_add_u32_sdwa v1, v1, v2 dst_sel:DWORD dst_unused:UNUSED_PAD src0_sel:DWORD src1_sel:WORD_0
	global_store_dword v0, v1, s[0:1]
	s_endpgm
	.section	.rodata,"a",@progbits
	.p2align	6, 0x0
	.amdhsa_kernel _Z11rank_kernelIiLj4ELb0EL18RadixRankAlgorithm0ELj256ELj1ELj10EEvPKT_Pi
		.amdhsa_group_segment_fixed_size 8208
		.amdhsa_private_segment_fixed_size 0
		.amdhsa_kernarg_size 16
		.amdhsa_user_sgpr_count 6
		.amdhsa_user_sgpr_private_segment_buffer 1
		.amdhsa_user_sgpr_dispatch_ptr 0
		.amdhsa_user_sgpr_queue_ptr 0
		.amdhsa_user_sgpr_kernarg_segment_ptr 1
		.amdhsa_user_sgpr_dispatch_id 0
		.amdhsa_user_sgpr_flat_scratch_init 0
		.amdhsa_user_sgpr_kernarg_preload_length 0
		.amdhsa_user_sgpr_kernarg_preload_offset 0
		.amdhsa_user_sgpr_private_segment_size 0
		.amdhsa_uses_dynamic_stack 0
		.amdhsa_system_sgpr_private_segment_wavefront_offset 0
		.amdhsa_system_sgpr_workgroup_id_x 1
		.amdhsa_system_sgpr_workgroup_id_y 0
		.amdhsa_system_sgpr_workgroup_id_z 0
		.amdhsa_system_sgpr_workgroup_info 0
		.amdhsa_system_vgpr_workitem_id 0
		.amdhsa_next_free_vgpr 18
		.amdhsa_next_free_sgpr 40
		.amdhsa_accum_offset 20
		.amdhsa_reserve_vcc 1
		.amdhsa_reserve_flat_scratch 0
		.amdhsa_float_round_mode_32 0
		.amdhsa_float_round_mode_16_64 0
		.amdhsa_float_denorm_mode_32 3
		.amdhsa_float_denorm_mode_16_64 3
		.amdhsa_dx10_clamp 1
		.amdhsa_ieee_mode 1
		.amdhsa_fp16_overflow 0
		.amdhsa_tg_split 0
		.amdhsa_exception_fp_ieee_invalid_op 0
		.amdhsa_exception_fp_denorm_src 0
		.amdhsa_exception_fp_ieee_div_zero 0
		.amdhsa_exception_fp_ieee_overflow 0
		.amdhsa_exception_fp_ieee_underflow 0
		.amdhsa_exception_fp_ieee_inexact 0
		.amdhsa_exception_int_div_zero 0
	.end_amdhsa_kernel
	.section	.text._Z11rank_kernelIiLj4ELb0EL18RadixRankAlgorithm0ELj256ELj1ELj10EEvPKT_Pi,"axG",@progbits,_Z11rank_kernelIiLj4ELb0EL18RadixRankAlgorithm0ELj256ELj1ELj10EEvPKT_Pi,comdat
.Lfunc_end15:
	.size	_Z11rank_kernelIiLj4ELb0EL18RadixRankAlgorithm0ELj256ELj1ELj10EEvPKT_Pi, .Lfunc_end15-_Z11rank_kernelIiLj4ELb0EL18RadixRankAlgorithm0ELj256ELj1ELj10EEvPKT_Pi
                                        ; -- End function
	.section	.AMDGPU.csdata,"",@progbits
; Kernel info:
; codeLenInByte = 1048
; NumSgprs: 44
; NumVgprs: 18
; NumAgprs: 0
; TotalNumVgprs: 18
; ScratchSize: 0
; MemoryBound: 0
; FloatMode: 240
; IeeeMode: 1
; LDSByteSize: 8208 bytes/workgroup (compile time only)
; SGPRBlocks: 5
; VGPRBlocks: 2
; NumSGPRsForWavesPerEU: 44
; NumVGPRsForWavesPerEU: 18
; AccumOffset: 20
; Occupancy: 7
; WaveLimiterHint : 0
; COMPUTE_PGM_RSRC2:SCRATCH_EN: 0
; COMPUTE_PGM_RSRC2:USER_SGPR: 6
; COMPUTE_PGM_RSRC2:TRAP_HANDLER: 0
; COMPUTE_PGM_RSRC2:TGID_X_EN: 1
; COMPUTE_PGM_RSRC2:TGID_Y_EN: 0
; COMPUTE_PGM_RSRC2:TGID_Z_EN: 0
; COMPUTE_PGM_RSRC2:TIDIG_COMP_CNT: 0
; COMPUTE_PGM_RSRC3_GFX90A:ACCUM_OFFSET: 4
; COMPUTE_PGM_RSRC3_GFX90A:TG_SPLIT: 0
	.section	.text._Z11rank_kernelIiLj4ELb0EL18RadixRankAlgorithm1ELj256ELj1ELj10EEvPKT_Pi,"axG",@progbits,_Z11rank_kernelIiLj4ELb0EL18RadixRankAlgorithm1ELj256ELj1ELj10EEvPKT_Pi,comdat
	.protected	_Z11rank_kernelIiLj4ELb0EL18RadixRankAlgorithm1ELj256ELj1ELj10EEvPKT_Pi ; -- Begin function _Z11rank_kernelIiLj4ELb0EL18RadixRankAlgorithm1ELj256ELj1ELj10EEvPKT_Pi
	.globl	_Z11rank_kernelIiLj4ELb0EL18RadixRankAlgorithm1ELj256ELj1ELj10EEvPKT_Pi
	.p2align	8
	.type	_Z11rank_kernelIiLj4ELb0EL18RadixRankAlgorithm1ELj256ELj1ELj10EEvPKT_Pi,@function
_Z11rank_kernelIiLj4ELb0EL18RadixRankAlgorithm1ELj256ELj1ELj10EEvPKT_Pi: ; @_Z11rank_kernelIiLj4ELb0EL18RadixRankAlgorithm1ELj256ELj1ELj10EEvPKT_Pi
; %bb.0:
	s_load_dwordx4 s[20:23], s[4:5], 0x0
	s_lshl_b32 s26, s6, 8
	s_mov_b32 s27, 0
	s_lshl_b64 s[24:25], s[26:27], 2
	v_lshlrev_b32_e32 v10, 2, v0
	s_waitcnt lgkmcnt(0)
	s_add_u32 s0, s20, s24
	s_addc_u32 s1, s21, s25
	global_load_dword v2, v10, s[0:1]
	v_mbcnt_lo_u32_b32 v1, -1, 0
	v_mbcnt_hi_u32_b32 v3, -1, v1
	v_or_b32_e32 v4, 63, v0
	v_cmp_eq_u32_e64 s[4:5], v4, v0
	v_add_u32_e32 v4, -1, v3
	v_and_b32_e32 v8, 64, v3
	v_lshrrev_b32_e32 v5, 4, v0
	v_cmp_lt_i32_e64 s[18:19], v4, v8
	v_and_b32_e32 v6, 15, v3
	v_and_b32_e32 v7, 16, v3
	v_cmp_lt_u32_e64 s[2:3], 31, v3
	v_cmp_eq_u32_e64 s[6:7], 0, v3
	v_and_b32_e32 v13, 12, v5
	v_and_b32_e32 v5, 3, v3
	v_cndmask_b32_e64 v3, v4, v3, s[18:19]
	v_mov_b32_e32 v11, 0
	v_lshlrev_b32_e32 v12, 5, v0
	v_cmp_gt_u32_e32 vcc, 4, v0
	v_cmp_lt_u32_e64 s[0:1], 63, v0
	v_or_b32_e32 v1, 0x100, v0
	v_cmp_eq_u32_e64 s[8:9], 0, v6
	v_cmp_lt_u32_e64 s[10:11], 1, v6
	v_cmp_lt_u32_e64 s[12:13], 3, v6
	;; [unrolled: 1-line block ×3, first 2 shown]
	v_cmp_eq_u32_e64 s[16:17], 0, v7
	v_cmp_eq_u32_e64 s[18:19], 0, v5
	v_cmp_lt_u32_e64 s[20:21], 1, v5
	v_lshlrev_b32_e32 v14, 2, v3
	s_movk_i32 s26, 0x700
	s_waitcnt vmcnt(0)
	v_xor_b32_e32 v15, 0x80000000, v2
	s_branch .LBB16_2
.LBB16_1:                               ;   in Loop: Header=BB16_2 Depth=1
	s_add_i32 s27, s27, 1
	s_cmp_eq_u32 s27, 10
	s_cbranch_scc1 .LBB16_16
.LBB16_2:                               ; =>This Loop Header: Depth=1
                                        ;     Child Loop BB16_4 Depth 2
                                        ;       Child Loop BB16_6 Depth 3
	s_mov_b32 s33, 0
	s_branch .LBB16_4
.LBB16_3:                               ;   in Loop: Header=BB16_4 Depth=2
	s_or_b64 exec, exec, s[28:29]
	s_waitcnt lgkmcnt(0)
	v_add_u32_e32 v5, v18, v5
	ds_bpermute_b32 v5, v14, v5
	ds_read_b32 v19, v11 offset:8204
	s_add_i32 s28, s33, 4
	s_cmp_lt_u32 s33, 28
	s_mov_b32 s33, s28
	s_waitcnt lgkmcnt(1)
	v_cndmask_b32_e64 v5, v5, v18, s[6:7]
	s_waitcnt lgkmcnt(0)
	v_lshl_add_u32 v5, v19, 16, v5
	v_add_u32_e32 v8, v5, v8
	v_add_u32_e32 v9, v8, v9
	ds_write2_b32 v12, v5, v8 offset1:1
	v_add_u32_e32 v5, v9, v6
	v_add_u32_e32 v6, v5, v7
	v_add_u32_e32 v2, v6, v2
	v_add_u32_e32 v3, v2, v3
	ds_write2_b32 v12, v9, v5 offset0:2 offset1:3
	v_add_u32_e32 v4, v3, v4
	ds_write2_b32 v12, v6, v2 offset0:4 offset1:5
	ds_write2_b32 v12, v3, v4 offset0:6 offset1:7
	s_waitcnt lgkmcnt(0)
	s_barrier
	s_cbranch_scc0 .LBB16_1
.LBB16_4:                               ;   Parent Loop BB16_2 Depth=1
                                        ; =>  This Loop Header: Depth=2
                                        ;       Child Loop BB16_6 Depth 3
	s_mov_b32 s36, 0
	s_mov_b64 s[28:29], 0
	v_pk_mov_b32 v[2:3], v[0:1], v[0:1] op_sel:[0,1]
	s_branch .LBB16_6
.LBB16_5:                               ;   in Loop: Header=BB16_6 Depth=3
	s_or_b64 exec, exec, s[34:35]
	s_add_i32 s36, s36, 2
	v_cmp_eq_u32_e64 s[30:31], 8, s36
	v_add_u32_e32 v3, 0x200, v3
	s_or_b64 s[28:29], s[30:31], s[28:29]
	v_add_u32_e32 v2, 0x200, v2
	s_andn2_b64 exec, exec, s[28:29]
	s_cbranch_execz .LBB16_10
.LBB16_6:                               ;   Parent Loop BB16_2 Depth=1
                                        ;     Parent Loop BB16_4 Depth=2
                                        ; =>    This Inner Loop Header: Depth=3
	s_or_b32 s30, s36, 1
	v_cmp_le_u32_e64 s[30:31], s30, 7
	v_cmp_le_u32_e64 s[38:39], s36, 7
	s_and_saveexec_b64 s[34:35], s[38:39]
	s_cbranch_execz .LBB16_8
; %bb.7:                                ;   in Loop: Header=BB16_6 Depth=3
	v_lshlrev_b32_e32 v4, 2, v2
	ds_write_b32 v4, v11
.LBB16_8:                               ;   in Loop: Header=BB16_6 Depth=3
	s_or_b64 exec, exec, s[34:35]
	s_and_saveexec_b64 s[34:35], s[30:31]
	s_cbranch_execz .LBB16_5
; %bb.9:                                ;   in Loop: Header=BB16_6 Depth=3
	v_lshlrev_b32_e32 v4, 2, v3
	ds_write_b32 v4, v11
	s_branch .LBB16_5
.LBB16_10:                              ;   in Loop: Header=BB16_4 Depth=2
	s_or_b64 exec, exec, s[28:29]
	s_sub_i32 s28, 28, s33
	v_lshlrev_b32_e32 v2, s28, v15
	v_lshrrev_b32_e32 v3, 20, v2
	v_and_or_b32 v3, v3, s26, v0
	v_alignbit_b32 v2, v3, v2, 31
	v_lshlrev_b32_e32 v17, 1, v2
	ds_read_u16 v16, v17
	s_waitcnt lgkmcnt(0)
	v_add_u16_e32 v2, 1, v16
	ds_write_b16 v17, v2
	s_waitcnt lgkmcnt(0)
	s_barrier
	ds_read2_b32 v[8:9], v12 offset1:1
	ds_read2_b32 v[6:7], v12 offset0:2 offset1:3
	ds_read2_b32 v[2:3], v12 offset0:4 offset1:5
	;; [unrolled: 1-line block ×3, first 2 shown]
	s_waitcnt lgkmcnt(3)
	v_add_u32_e32 v18, v9, v8
	s_waitcnt lgkmcnt(2)
	v_add3_u32 v18, v18, v6, v7
	s_waitcnt lgkmcnt(1)
	v_add3_u32 v18, v18, v2, v3
	;; [unrolled: 2-line block ×3, first 2 shown]
	s_nop 1
	v_mov_b32_dpp v18, v5 row_shr:1 row_mask:0xf bank_mask:0xf
	v_cndmask_b32_e64 v18, v18, 0, s[8:9]
	v_add_u32_e32 v5, v18, v5
	s_nop 1
	v_mov_b32_dpp v18, v5 row_shr:2 row_mask:0xf bank_mask:0xf
	v_cndmask_b32_e64 v18, 0, v18, s[10:11]
	v_add_u32_e32 v5, v5, v18
	s_nop 1
	v_mov_b32_dpp v18, v5 row_shr:4 row_mask:0xf bank_mask:0xf
	v_cndmask_b32_e64 v18, 0, v18, s[12:13]
	v_add_u32_e32 v5, v5, v18
	s_nop 1
	v_mov_b32_dpp v18, v5 row_shr:8 row_mask:0xf bank_mask:0xf
	v_cndmask_b32_e64 v18, 0, v18, s[14:15]
	v_add_u32_e32 v5, v5, v18
	s_nop 1
	v_mov_b32_dpp v18, v5 row_bcast:15 row_mask:0xf bank_mask:0xf
	v_cndmask_b32_e64 v18, v18, 0, s[16:17]
	v_add_u32_e32 v5, v5, v18
	s_nop 1
	v_mov_b32_dpp v18, v5 row_bcast:31 row_mask:0xf bank_mask:0xf
	v_cndmask_b32_e64 v18, 0, v18, s[2:3]
	v_add_u32_e32 v5, v5, v18
	s_and_saveexec_b64 s[28:29], s[4:5]
	s_cbranch_execz .LBB16_12
; %bb.11:                               ;   in Loop: Header=BB16_4 Depth=2
	ds_write_b32 v13, v5 offset:8192
.LBB16_12:                              ;   in Loop: Header=BB16_4 Depth=2
	s_or_b64 exec, exec, s[28:29]
	s_waitcnt lgkmcnt(0)
	s_barrier
	s_and_saveexec_b64 s[28:29], vcc
	s_cbranch_execz .LBB16_14
; %bb.13:                               ;   in Loop: Header=BB16_4 Depth=2
	ds_read_b32 v18, v10 offset:8192
	s_waitcnt lgkmcnt(0)
	s_nop 0
	v_mov_b32_dpp v19, v18 row_shr:1 row_mask:0xf bank_mask:0xf
	v_cndmask_b32_e64 v19, v19, 0, s[18:19]
	v_add_u32_e32 v18, v19, v18
	s_nop 1
	v_mov_b32_dpp v19, v18 row_shr:2 row_mask:0xf bank_mask:0xf
	v_cndmask_b32_e64 v19, 0, v19, s[20:21]
	v_add_u32_e32 v18, v18, v19
	ds_write_b32 v10, v18 offset:8192
.LBB16_14:                              ;   in Loop: Header=BB16_4 Depth=2
	s_or_b64 exec, exec, s[28:29]
	v_mov_b32_e32 v18, 0
	s_waitcnt lgkmcnt(0)
	s_barrier
	s_and_saveexec_b64 s[28:29], s[0:1]
	s_cbranch_execz .LBB16_3
; %bb.15:                               ;   in Loop: Header=BB16_4 Depth=2
	ds_read_b32 v18, v13 offset:8188
	s_branch .LBB16_3
.LBB16_16:
	ds_read_u16 v1, v17
	s_add_u32 s0, s22, s24
	s_addc_u32 s1, s23, s25
	v_lshlrev_b32_e32 v0, 2, v0
	s_waitcnt lgkmcnt(0)
	v_add_u32_sdwa v1, v1, v16 dst_sel:DWORD dst_unused:UNUSED_PAD src0_sel:DWORD src1_sel:WORD_0
	global_store_dword v0, v1, s[0:1]
	s_endpgm
	.section	.rodata,"a",@progbits
	.p2align	6, 0x0
	.amdhsa_kernel _Z11rank_kernelIiLj4ELb0EL18RadixRankAlgorithm1ELj256ELj1ELj10EEvPKT_Pi
		.amdhsa_group_segment_fixed_size 8208
		.amdhsa_private_segment_fixed_size 0
		.amdhsa_kernarg_size 16
		.amdhsa_user_sgpr_count 6
		.amdhsa_user_sgpr_private_segment_buffer 1
		.amdhsa_user_sgpr_dispatch_ptr 0
		.amdhsa_user_sgpr_queue_ptr 0
		.amdhsa_user_sgpr_kernarg_segment_ptr 1
		.amdhsa_user_sgpr_dispatch_id 0
		.amdhsa_user_sgpr_flat_scratch_init 0
		.amdhsa_user_sgpr_kernarg_preload_length 0
		.amdhsa_user_sgpr_kernarg_preload_offset 0
		.amdhsa_user_sgpr_private_segment_size 0
		.amdhsa_uses_dynamic_stack 0
		.amdhsa_system_sgpr_private_segment_wavefront_offset 0
		.amdhsa_system_sgpr_workgroup_id_x 1
		.amdhsa_system_sgpr_workgroup_id_y 0
		.amdhsa_system_sgpr_workgroup_id_z 0
		.amdhsa_system_sgpr_workgroup_info 0
		.amdhsa_system_vgpr_workitem_id 0
		.amdhsa_next_free_vgpr 20
		.amdhsa_next_free_sgpr 40
		.amdhsa_accum_offset 20
		.amdhsa_reserve_vcc 1
		.amdhsa_reserve_flat_scratch 0
		.amdhsa_float_round_mode_32 0
		.amdhsa_float_round_mode_16_64 0
		.amdhsa_float_denorm_mode_32 3
		.amdhsa_float_denorm_mode_16_64 3
		.amdhsa_dx10_clamp 1
		.amdhsa_ieee_mode 1
		.amdhsa_fp16_overflow 0
		.amdhsa_tg_split 0
		.amdhsa_exception_fp_ieee_invalid_op 0
		.amdhsa_exception_fp_denorm_src 0
		.amdhsa_exception_fp_ieee_div_zero 0
		.amdhsa_exception_fp_ieee_overflow 0
		.amdhsa_exception_fp_ieee_underflow 0
		.amdhsa_exception_fp_ieee_inexact 0
		.amdhsa_exception_int_div_zero 0
	.end_amdhsa_kernel
	.section	.text._Z11rank_kernelIiLj4ELb0EL18RadixRankAlgorithm1ELj256ELj1ELj10EEvPKT_Pi,"axG",@progbits,_Z11rank_kernelIiLj4ELb0EL18RadixRankAlgorithm1ELj256ELj1ELj10EEvPKT_Pi,comdat
.Lfunc_end16:
	.size	_Z11rank_kernelIiLj4ELb0EL18RadixRankAlgorithm1ELj256ELj1ELj10EEvPKT_Pi, .Lfunc_end16-_Z11rank_kernelIiLj4ELb0EL18RadixRankAlgorithm1ELj256ELj1ELj10EEvPKT_Pi
                                        ; -- End function
	.section	.AMDGPU.csdata,"",@progbits
; Kernel info:
; codeLenInByte = 1000
; NumSgprs: 44
; NumVgprs: 20
; NumAgprs: 0
; TotalNumVgprs: 20
; ScratchSize: 0
; MemoryBound: 0
; FloatMode: 240
; IeeeMode: 1
; LDSByteSize: 8208 bytes/workgroup (compile time only)
; SGPRBlocks: 5
; VGPRBlocks: 2
; NumSGPRsForWavesPerEU: 44
; NumVGPRsForWavesPerEU: 20
; AccumOffset: 20
; Occupancy: 7
; WaveLimiterHint : 0
; COMPUTE_PGM_RSRC2:SCRATCH_EN: 0
; COMPUTE_PGM_RSRC2:USER_SGPR: 6
; COMPUTE_PGM_RSRC2:TRAP_HANDLER: 0
; COMPUTE_PGM_RSRC2:TGID_X_EN: 1
; COMPUTE_PGM_RSRC2:TGID_Y_EN: 0
; COMPUTE_PGM_RSRC2:TGID_Z_EN: 0
; COMPUTE_PGM_RSRC2:TIDIG_COMP_CNT: 0
; COMPUTE_PGM_RSRC3_GFX90A:ACCUM_OFFSET: 4
; COMPUTE_PGM_RSRC3_GFX90A:TG_SPLIT: 0
	.section	.text._Z11rank_kernelIiLj4ELb0EL18RadixRankAlgorithm2ELj256ELj1ELj10EEvPKT_Pi,"axG",@progbits,_Z11rank_kernelIiLj4ELb0EL18RadixRankAlgorithm2ELj256ELj1ELj10EEvPKT_Pi,comdat
	.protected	_Z11rank_kernelIiLj4ELb0EL18RadixRankAlgorithm2ELj256ELj1ELj10EEvPKT_Pi ; -- Begin function _Z11rank_kernelIiLj4ELb0EL18RadixRankAlgorithm2ELj256ELj1ELj10EEvPKT_Pi
	.globl	_Z11rank_kernelIiLj4ELb0EL18RadixRankAlgorithm2ELj256ELj1ELj10EEvPKT_Pi
	.p2align	8
	.type	_Z11rank_kernelIiLj4ELb0EL18RadixRankAlgorithm2ELj256ELj1ELj10EEvPKT_Pi,@function
_Z11rank_kernelIiLj4ELb0EL18RadixRankAlgorithm2ELj256ELj1ELj10EEvPKT_Pi: ; @_Z11rank_kernelIiLj4ELb0EL18RadixRankAlgorithm2ELj256ELj1ELj10EEvPKT_Pi
; %bb.0:
	s_load_dwordx4 s[24:27], s[4:5], 0x0
	s_load_dword s22, s[4:5], 0x1c
	s_lshl_b32 s30, s6, 8
	s_mov_b32 s31, 0
	s_lshl_b64 s[28:29], s[30:31], 2
	s_waitcnt lgkmcnt(0)
	s_add_u32 s0, s24, s28
	v_and_b32_e32 v2, 0x3ff, v0
	s_addc_u32 s1, s25, s29
	v_lshlrev_b32_e32 v3, 2, v2
	global_load_dword v5, v3, s[0:1]
	v_mbcnt_lo_u32_b32 v1, -1, 0
	v_mbcnt_hi_u32_b32 v1, -1, v1
	v_add_u32_e32 v10, -1, v1
	v_and_b32_e32 v11, 64, v1
	v_bfe_u32 v8, v0, 10, 10
	v_bfe_u32 v0, v0, 20, 10
	v_cmp_lt_i32_e64 s[18:19], v10, v11
	s_lshr_b32 s23, s22, 16
	v_and_b32_e32 v6, 15, v1
	v_and_b32_e32 v7, 16, v1
	v_cmp_lt_u32_e32 vcc, 31, v1
	v_cmp_eq_u32_e64 s[4:5], 0, v1
	v_lshrrev_b32_e32 v12, 4, v2
	v_and_b32_e32 v13, 3, v1
	v_cndmask_b32_e64 v1, v10, v1, s[18:19]
	s_and_b32 s22, s22, 0xffff
	v_mad_u32_u24 v0, v0, s23, v8
	v_or_b32_e32 v9, 63, v2
	v_cmp_eq_u32_e64 s[6:7], 0, v6
	v_cmp_lt_u32_e64 s[8:9], 1, v6
	v_cmp_lt_u32_e64 s[10:11], 3, v6
	;; [unrolled: 1-line block ×3, first 2 shown]
	v_cmp_eq_u32_e64 s[14:15], 0, v7
	v_and_b32_e32 v6, 12, v12
	v_lshlrev_b32_e32 v7, 2, v1
	v_mad_u64_u32 v[0:1], s[22:23], v0, s22, v[2:3]
	v_mov_b32_e32 v4, 0
	v_cmp_gt_u32_e64 s[0:1], 4, v2
	v_cmp_lt_u32_e64 s[2:3], 63, v2
	v_cmp_eq_u32_e64 s[16:17], v9, v2
	v_cmp_eq_u32_e64 s[18:19], 0, v13
	v_cmp_lt_u32_e64 s[20:21], 1, v13
	v_lshrrev_b32_e32 v8, 6, v0
	v_add_u32_e32 v10, -4, v6
	s_waitcnt vmcnt(0)
	v_xor_b32_e32 v9, 0x80000000, v5
	s_branch .LBB17_2
.LBB17_1:                               ;   in Loop: Header=BB17_2 Depth=1
	s_add_i32 s31, s31, 1
	s_cmp_eq_u32 s31, 10
	s_cbranch_scc1 .LBB17_12
.LBB17_2:                               ; =>This Loop Header: Depth=1
                                        ;     Child Loop BB17_4 Depth 2
	s_mov_b32 s30, -4
	s_mov_b32 s33, 28
	s_branch .LBB17_4
.LBB17_3:                               ;   in Loop: Header=BB17_4 Depth=2
	s_or_b64 exec, exec, s[22:23]
	s_waitcnt lgkmcnt(0)
	v_add_u32_e32 v0, v1, v0
	ds_bpermute_b32 v0, v7, v0
	s_add_i32 s33, s33, -4
	s_add_i32 s30, s30, 4
	s_cmp_lt_u32 s30, 28
	s_waitcnt lgkmcnt(0)
	v_cndmask_b32_e64 v0, v0, v1, s[4:5]
	ds_write_b32 v3, v0 offset:16
	s_waitcnt lgkmcnt(0)
	s_barrier
	s_cbranch_scc0 .LBB17_1
.LBB17_4:                               ;   Parent Loop BB17_2 Depth=1
                                        ; =>  This Inner Loop Header: Depth=2
	v_lshlrev_b32_e32 v0, s33, v9
	v_lshrrev_b32_e32 v1, 28, v0
	v_mad_u32_u24 v5, v1, 5, v8
	v_lshl_add_u32 v11, v5, 2, 16
	v_bfe_u32 v5, v0, 28, 1
	v_add_co_u32_e64 v12, s[22:23], -1, v5
	v_addc_co_u32_e64 v13, s[22:23], 0, -1, s[22:23]
	v_cmp_ne_u32_e64 s[22:23], 0, v5
	v_xor_b32_e32 v5, s23, v13
	v_and_b32_e32 v13, exec_hi, v5
	v_lshlrev_b32_e32 v5, 30, v1
	v_xor_b32_e32 v12, s22, v12
	v_cmp_gt_i64_e64 s[22:23], 0, v[4:5]
	v_not_b32_e32 v5, v5
	v_ashrrev_i32_e32 v5, 31, v5
	v_and_b32_e32 v12, exec_lo, v12
	v_xor_b32_e32 v14, s23, v5
	v_xor_b32_e32 v5, s22, v5
	v_and_b32_e32 v12, v12, v5
	v_lshlrev_b32_e32 v5, 29, v1
	v_not_b32_e32 v1, v5
	v_cmp_gt_i64_e64 s[22:23], 0, v[4:5]
	v_ashrrev_i32_e32 v1, 31, v1
	v_and_b32_e32 v13, v13, v14
	v_xor_b32_e32 v5, s23, v1
	v_and_b32_e32 v13, v13, v5
	v_and_b32_e32 v5, 0xf0000000, v0
	v_not_b32_e32 v0, v5
	v_xor_b32_e32 v1, s22, v1
	v_cmp_gt_i64_e64 s[22:23], 0, v[4:5]
	v_ashrrev_i32_e32 v0, 31, v0
	v_and_b32_e32 v12, v12, v1
	v_xor_b32_e32 v1, s23, v0
	v_xor_b32_e32 v0, s22, v0
	v_and_b32_e32 v0, v12, v0
	v_and_b32_e32 v1, v13, v1
	v_mbcnt_lo_u32_b32 v5, v0, 0
	v_mbcnt_hi_u32_b32 v5, v1, v5
	v_cmp_eq_u32_e64 s[22:23], 0, v5
	v_cmp_ne_u64_e64 s[24:25], 0, v[0:1]
	s_and_b64 s[24:25], s[24:25], s[22:23]
	ds_write_b32 v3, v4 offset:16
	s_waitcnt lgkmcnt(0)
	s_barrier
	s_waitcnt lgkmcnt(0)
	; wave barrier
	s_and_saveexec_b64 s[22:23], s[24:25]
	s_cbranch_execz .LBB17_6
; %bb.5:                                ;   in Loop: Header=BB17_4 Depth=2
	v_bcnt_u32_b32 v0, v0, 0
	v_bcnt_u32_b32 v0, v1, v0
	ds_write_b32 v11, v0
.LBB17_6:                               ;   in Loop: Header=BB17_4 Depth=2
	s_or_b64 exec, exec, s[22:23]
	; wave barrier
	s_waitcnt lgkmcnt(0)
	s_barrier
	ds_read_b32 v0, v3 offset:16
	s_waitcnt lgkmcnt(0)
	s_nop 0
	v_mov_b32_dpp v1, v0 row_shr:1 row_mask:0xf bank_mask:0xf
	v_cndmask_b32_e64 v1, v1, 0, s[6:7]
	v_add_u32_e32 v0, v1, v0
	s_nop 1
	v_mov_b32_dpp v1, v0 row_shr:2 row_mask:0xf bank_mask:0xf
	v_cndmask_b32_e64 v1, 0, v1, s[8:9]
	v_add_u32_e32 v0, v0, v1
	;; [unrolled: 4-line block ×4, first 2 shown]
	s_nop 1
	v_mov_b32_dpp v1, v0 row_bcast:15 row_mask:0xf bank_mask:0xf
	v_cndmask_b32_e64 v1, v1, 0, s[14:15]
	v_add_u32_e32 v0, v0, v1
	s_nop 1
	v_mov_b32_dpp v1, v0 row_bcast:31 row_mask:0xf bank_mask:0xf
	v_cndmask_b32_e32 v1, 0, v1, vcc
	v_add_u32_e32 v0, v0, v1
	s_and_saveexec_b64 s[22:23], s[16:17]
	s_cbranch_execz .LBB17_8
; %bb.7:                                ;   in Loop: Header=BB17_4 Depth=2
	ds_write_b32 v6, v0
.LBB17_8:                               ;   in Loop: Header=BB17_4 Depth=2
	s_or_b64 exec, exec, s[22:23]
	s_waitcnt lgkmcnt(0)
	s_barrier
	s_and_saveexec_b64 s[22:23], s[0:1]
	s_cbranch_execz .LBB17_10
; %bb.9:                                ;   in Loop: Header=BB17_4 Depth=2
	ds_read_b32 v1, v3
	s_waitcnt lgkmcnt(0)
	s_nop 0
	v_mov_b32_dpp v12, v1 row_shr:1 row_mask:0xf bank_mask:0xf
	v_cndmask_b32_e64 v12, v12, 0, s[18:19]
	v_add_u32_e32 v1, v12, v1
	s_nop 1
	v_mov_b32_dpp v12, v1 row_shr:2 row_mask:0xf bank_mask:0xf
	v_cndmask_b32_e64 v12, 0, v12, s[20:21]
	v_add_u32_e32 v1, v1, v12
	ds_write_b32 v3, v1
.LBB17_10:                              ;   in Loop: Header=BB17_4 Depth=2
	s_or_b64 exec, exec, s[22:23]
	v_mov_b32_e32 v1, 0
	s_waitcnt lgkmcnt(0)
	s_barrier
	s_and_saveexec_b64 s[22:23], s[2:3]
	s_cbranch_execz .LBB17_3
; %bb.11:                               ;   in Loop: Header=BB17_4 Depth=2
	ds_read_b32 v1, v10
	s_branch .LBB17_3
.LBB17_12:
	ds_read_b32 v0, v11
	s_add_u32 s0, s26, s28
	s_addc_u32 s1, s27, s29
	v_lshlrev_b32_e32 v1, 2, v2
	s_waitcnt lgkmcnt(0)
	v_add_u32_e32 v0, v0, v5
	global_store_dword v1, v0, s[0:1]
	s_endpgm
	.section	.rodata,"a",@progbits
	.p2align	6, 0x0
	.amdhsa_kernel _Z11rank_kernelIiLj4ELb0EL18RadixRankAlgorithm2ELj256ELj1ELj10EEvPKT_Pi
		.amdhsa_group_segment_fixed_size 1040
		.amdhsa_private_segment_fixed_size 0
		.amdhsa_kernarg_size 272
		.amdhsa_user_sgpr_count 6
		.amdhsa_user_sgpr_private_segment_buffer 1
		.amdhsa_user_sgpr_dispatch_ptr 0
		.amdhsa_user_sgpr_queue_ptr 0
		.amdhsa_user_sgpr_kernarg_segment_ptr 1
		.amdhsa_user_sgpr_dispatch_id 0
		.amdhsa_user_sgpr_flat_scratch_init 0
		.amdhsa_user_sgpr_kernarg_preload_length 0
		.amdhsa_user_sgpr_kernarg_preload_offset 0
		.amdhsa_user_sgpr_private_segment_size 0
		.amdhsa_uses_dynamic_stack 0
		.amdhsa_system_sgpr_private_segment_wavefront_offset 0
		.amdhsa_system_sgpr_workgroup_id_x 1
		.amdhsa_system_sgpr_workgroup_id_y 0
		.amdhsa_system_sgpr_workgroup_id_z 0
		.amdhsa_system_sgpr_workgroup_info 0
		.amdhsa_system_vgpr_workitem_id 2
		.amdhsa_next_free_vgpr 15
		.amdhsa_next_free_sgpr 34
		.amdhsa_accum_offset 16
		.amdhsa_reserve_vcc 1
		.amdhsa_reserve_flat_scratch 0
		.amdhsa_float_round_mode_32 0
		.amdhsa_float_round_mode_16_64 0
		.amdhsa_float_denorm_mode_32 3
		.amdhsa_float_denorm_mode_16_64 3
		.amdhsa_dx10_clamp 1
		.amdhsa_ieee_mode 1
		.amdhsa_fp16_overflow 0
		.amdhsa_tg_split 0
		.amdhsa_exception_fp_ieee_invalid_op 0
		.amdhsa_exception_fp_denorm_src 0
		.amdhsa_exception_fp_ieee_div_zero 0
		.amdhsa_exception_fp_ieee_overflow 0
		.amdhsa_exception_fp_ieee_underflow 0
		.amdhsa_exception_fp_ieee_inexact 0
		.amdhsa_exception_int_div_zero 0
	.end_amdhsa_kernel
	.section	.text._Z11rank_kernelIiLj4ELb0EL18RadixRankAlgorithm2ELj256ELj1ELj10EEvPKT_Pi,"axG",@progbits,_Z11rank_kernelIiLj4ELb0EL18RadixRankAlgorithm2ELj256ELj1ELj10EEvPKT_Pi,comdat
.Lfunc_end17:
	.size	_Z11rank_kernelIiLj4ELb0EL18RadixRankAlgorithm2ELj256ELj1ELj10EEvPKT_Pi, .Lfunc_end17-_Z11rank_kernelIiLj4ELb0EL18RadixRankAlgorithm2ELj256ELj1ELj10EEvPKT_Pi
                                        ; -- End function
	.section	.AMDGPU.csdata,"",@progbits
; Kernel info:
; codeLenInByte = 996
; NumSgprs: 38
; NumVgprs: 15
; NumAgprs: 0
; TotalNumVgprs: 15
; ScratchSize: 0
; MemoryBound: 0
; FloatMode: 240
; IeeeMode: 1
; LDSByteSize: 1040 bytes/workgroup (compile time only)
; SGPRBlocks: 4
; VGPRBlocks: 1
; NumSGPRsForWavesPerEU: 38
; NumVGPRsForWavesPerEU: 15
; AccumOffset: 16
; Occupancy: 8
; WaveLimiterHint : 0
; COMPUTE_PGM_RSRC2:SCRATCH_EN: 0
; COMPUTE_PGM_RSRC2:USER_SGPR: 6
; COMPUTE_PGM_RSRC2:TRAP_HANDLER: 0
; COMPUTE_PGM_RSRC2:TGID_X_EN: 1
; COMPUTE_PGM_RSRC2:TGID_Y_EN: 0
; COMPUTE_PGM_RSRC2:TGID_Z_EN: 0
; COMPUTE_PGM_RSRC2:TIDIG_COMP_CNT: 2
; COMPUTE_PGM_RSRC3_GFX90A:ACCUM_OFFSET: 3
; COMPUTE_PGM_RSRC3_GFX90A:TG_SPLIT: 0
	.section	.text._Z11rank_kernelIiLj4ELb0EL18RadixRankAlgorithm0ELj256ELj4ELj10EEvPKT_Pi,"axG",@progbits,_Z11rank_kernelIiLj4ELb0EL18RadixRankAlgorithm0ELj256ELj4ELj10EEvPKT_Pi,comdat
	.protected	_Z11rank_kernelIiLj4ELb0EL18RadixRankAlgorithm0ELj256ELj4ELj10EEvPKT_Pi ; -- Begin function _Z11rank_kernelIiLj4ELb0EL18RadixRankAlgorithm0ELj256ELj4ELj10EEvPKT_Pi
	.globl	_Z11rank_kernelIiLj4ELb0EL18RadixRankAlgorithm0ELj256ELj4ELj10EEvPKT_Pi
	.p2align	8
	.type	_Z11rank_kernelIiLj4ELb0EL18RadixRankAlgorithm0ELj256ELj4ELj10EEvPKT_Pi,@function
_Z11rank_kernelIiLj4ELb0EL18RadixRankAlgorithm0ELj256ELj4ELj10EEvPKT_Pi: ; @_Z11rank_kernelIiLj4ELb0EL18RadixRankAlgorithm0ELj256ELj4ELj10EEvPKT_Pi
; %bb.0:
	s_load_dwordx4 s[20:23], s[4:5], 0x0
	s_lshl_b32 s26, s6, 10
	s_mov_b32 s27, 0
	s_lshl_b64 s[24:25], s[26:27], 2
	v_lshlrev_b32_e32 v1, 4, v0
	s_waitcnt lgkmcnt(0)
	s_add_u32 s0, s20, s24
	s_addc_u32 s1, s21, s25
	global_load_dwordx4 v[10:13], v1, s[0:1]
	v_mbcnt_lo_u32_b32 v1, -1, 0
	v_mbcnt_hi_u32_b32 v4, -1, v1
	v_or_b32_e32 v5, 63, v0
	v_cmp_eq_u32_e64 s[4:5], v5, v0
	v_add_u32_e32 v5, -1, v4
	v_and_b32_e32 v14, 64, v4
	v_cmp_lt_i32_e64 s[18:19], v5, v14
	v_lshrrev_b32_e32 v7, 4, v0
	v_and_b32_e32 v8, 15, v4
	v_and_b32_e32 v9, 16, v4
	v_cmp_lt_u32_e64 s[2:3], 31, v4
	v_cmp_eq_u32_e64 s[6:7], 0, v4
	v_and_b32_e32 v15, 3, v4
	v_cndmask_b32_e64 v4, v5, v4, s[18:19]
	v_mov_b32_e32 v3, 0
	v_lshlrev_b32_e32 v2, 2, v0
	v_lshlrev_b32_e32 v6, 5, v0
	v_cmp_gt_u32_e32 vcc, 4, v0
	v_cmp_lt_u32_e64 s[0:1], 63, v0
	v_or_b32_e32 v1, 0x100, v0
	v_and_b32_e32 v7, 12, v7
	v_cmp_eq_u32_e64 s[8:9], 0, v8
	v_cmp_lt_u32_e64 s[10:11], 1, v8
	v_cmp_lt_u32_e64 s[12:13], 3, v8
	;; [unrolled: 1-line block ×3, first 2 shown]
	v_cmp_eq_u32_e64 s[16:17], 0, v9
	v_cmp_eq_u32_e64 s[18:19], 0, v15
	v_cmp_lt_u32_e64 s[20:21], 1, v15
	v_lshlrev_b32_e32 v8, 2, v4
	s_movk_i32 s26, 0x700
	s_waitcnt vmcnt(0)
	v_xor_b32_e32 v9, 0x80000000, v10
	v_xor_b32_e32 v10, 0x80000000, v11
	;; [unrolled: 1-line block ×4, first 2 shown]
	s_branch .LBB18_2
.LBB18_1:                               ;   in Loop: Header=BB18_2 Depth=1
	s_add_i32 s27, s27, 1
	s_cmp_eq_u32 s27, 10
	s_cbranch_scc1 .LBB18_16
.LBB18_2:                               ; =>This Loop Header: Depth=1
                                        ;     Child Loop BB18_4 Depth 2
                                        ;       Child Loop BB18_6 Depth 3
	s_mov_b32 s33, 0
	s_branch .LBB18_4
.LBB18_3:                               ;   in Loop: Header=BB18_4 Depth=2
	s_or_b64 exec, exec, s[28:29]
	s_waitcnt lgkmcnt(0)
	v_add_u32_e32 v19, v20, v19
	ds_bpermute_b32 v19, v8, v19
	ds_read_b32 v22, v3 offset:8204
	s_add_i32 s28, s33, 4
	s_cmp_lt_u32 s33, 28
	s_mov_b32 s33, s28
	s_waitcnt lgkmcnt(1)
	v_cndmask_b32_e64 v19, v19, v20, s[6:7]
	ds_read2_b32 v[20:21], v6 offset1:1
	s_waitcnt lgkmcnt(1)
	v_lshl_add_u32 v19, v22, 16, v19
	ds_read2_b32 v[22:23], v6 offset0:2 offset1:3
	ds_read2_b32 v[24:25], v6 offset0:4 offset1:5
	ds_read_b32 v26, v6 offset:24
	s_waitcnt lgkmcnt(3)
	v_add_u32_e32 v20, v19, v20
	ds_write2_b32 v6, v19, v20 offset1:1
	v_add_u32_e32 v19, v21, v20
	s_waitcnt lgkmcnt(3)
	v_add_u32_e32 v20, v22, v19
	ds_write2_b32 v6, v19, v20 offset0:2 offset1:3
	v_add_u32_e32 v19, v23, v20
	s_waitcnt lgkmcnt(3)
	v_add_u32_e32 v20, v24, v19
	ds_write2_b32 v6, v19, v20 offset0:4 offset1:5
	;; [unrolled: 4-line block ×3, first 2 shown]
	s_waitcnt lgkmcnt(0)
	s_barrier
	s_cbranch_scc0 .LBB18_1
.LBB18_4:                               ;   Parent Loop BB18_2 Depth=1
                                        ; =>  This Loop Header: Depth=2
                                        ;       Child Loop BB18_6 Depth 3
	s_mov_b32 s36, 0
	s_mov_b64 s[28:29], 0
	v_pk_mov_b32 v[4:5], v[0:1], v[0:1] op_sel:[0,1]
	s_branch .LBB18_6
.LBB18_5:                               ;   in Loop: Header=BB18_6 Depth=3
	s_or_b64 exec, exec, s[34:35]
	s_add_i32 s36, s36, 2
	v_cmp_eq_u32_e64 s[30:31], 8, s36
	v_add_u32_e32 v5, 0x200, v5
	s_or_b64 s[28:29], s[30:31], s[28:29]
	v_add_u32_e32 v4, 0x200, v4
	s_andn2_b64 exec, exec, s[28:29]
	s_cbranch_execz .LBB18_10
.LBB18_6:                               ;   Parent Loop BB18_2 Depth=1
                                        ;     Parent Loop BB18_4 Depth=2
                                        ; =>    This Inner Loop Header: Depth=3
	s_or_b32 s30, s36, 1
	v_cmp_le_u32_e64 s[30:31], s30, 7
	v_cmp_le_u32_e64 s[38:39], s36, 7
	s_and_saveexec_b64 s[34:35], s[38:39]
	s_cbranch_execz .LBB18_8
; %bb.7:                                ;   in Loop: Header=BB18_6 Depth=3
	v_lshlrev_b32_e32 v13, 2, v4
	ds_write_b32 v13, v3
.LBB18_8:                               ;   in Loop: Header=BB18_6 Depth=3
	s_or_b64 exec, exec, s[34:35]
	s_and_saveexec_b64 s[34:35], s[30:31]
	s_cbranch_execz .LBB18_5
; %bb.9:                                ;   in Loop: Header=BB18_6 Depth=3
	v_lshlrev_b32_e32 v13, 2, v5
	ds_write_b32 v13, v3
	s_branch .LBB18_5
.LBB18_10:                              ;   in Loop: Header=BB18_4 Depth=2
	s_or_b64 exec, exec, s[28:29]
	s_sub_i32 s28, 28, s33
	v_lshlrev_b32_e32 v4, s28, v9
	v_lshrrev_b32_e32 v5, 20, v4
	v_and_or_b32 v5, v5, s26, v0
	v_alignbit_b32 v4, v5, v4, 31
	v_lshlrev_b32_e32 v5, 1, v4
	ds_read_u16 v4, v5
	v_lshlrev_b32_e32 v13, s28, v10
	v_lshrrev_b32_e32 v14, 20, v13
	v_and_or_b32 v14, v14, s26, v0
	v_alignbit_b32 v13, v14, v13, 31
	s_waitcnt lgkmcnt(0)
	v_add_u16_e32 v14, 1, v4
	ds_write_b16 v5, v14
	v_lshlrev_b32_e32 v14, 1, v13
	ds_read_u16 v13, v14
	v_lshlrev_b32_e32 v15, s28, v11
	v_lshrrev_b32_e32 v16, 20, v15
	v_and_or_b32 v16, v16, s26, v0
	v_alignbit_b32 v15, v16, v15, 31
	s_waitcnt lgkmcnt(0)
	v_add_u16_e32 v17, 1, v13
	ds_write_b16 v14, v17
	;; [unrolled: 9-line block ×3, first 2 shown]
	v_lshlrev_b32_e32 v18, 1, v17
	ds_read_u16 v17, v18
	s_waitcnt lgkmcnt(0)
	v_add_u16_e32 v19, 1, v17
	ds_write_b16 v18, v19
	s_waitcnt lgkmcnt(0)
	s_barrier
	ds_read2_b32 v[20:21], v6 offset1:1
	ds_read2_b32 v[22:23], v6 offset0:2 offset1:3
	ds_read2_b32 v[24:25], v6 offset0:4 offset1:5
	;; [unrolled: 1-line block ×3, first 2 shown]
	s_waitcnt lgkmcnt(3)
	v_add_u32_e32 v19, v21, v20
	s_waitcnt lgkmcnt(2)
	v_add3_u32 v19, v19, v22, v23
	s_waitcnt lgkmcnt(1)
	v_add3_u32 v19, v19, v24, v25
	;; [unrolled: 2-line block ×3, first 2 shown]
	s_nop 1
	v_mov_b32_dpp v20, v19 row_shr:1 row_mask:0xf bank_mask:0xf
	v_cndmask_b32_e64 v20, v20, 0, s[8:9]
	v_add_u32_e32 v19, v20, v19
	s_nop 1
	v_mov_b32_dpp v20, v19 row_shr:2 row_mask:0xf bank_mask:0xf
	v_cndmask_b32_e64 v20, 0, v20, s[10:11]
	v_add_u32_e32 v19, v19, v20
	;; [unrolled: 4-line block ×4, first 2 shown]
	s_nop 1
	v_mov_b32_dpp v20, v19 row_bcast:15 row_mask:0xf bank_mask:0xf
	v_cndmask_b32_e64 v20, v20, 0, s[16:17]
	v_add_u32_e32 v19, v19, v20
	s_nop 1
	v_mov_b32_dpp v20, v19 row_bcast:31 row_mask:0xf bank_mask:0xf
	v_cndmask_b32_e64 v20, 0, v20, s[2:3]
	v_add_u32_e32 v19, v19, v20
	s_and_saveexec_b64 s[28:29], s[4:5]
	s_cbranch_execz .LBB18_12
; %bb.11:                               ;   in Loop: Header=BB18_4 Depth=2
	ds_write_b32 v7, v19 offset:8192
.LBB18_12:                              ;   in Loop: Header=BB18_4 Depth=2
	s_or_b64 exec, exec, s[28:29]
	s_waitcnt lgkmcnt(0)
	s_barrier
	s_and_saveexec_b64 s[28:29], vcc
	s_cbranch_execz .LBB18_14
; %bb.13:                               ;   in Loop: Header=BB18_4 Depth=2
	ds_read_b32 v20, v2 offset:8192
	s_waitcnt lgkmcnt(0)
	s_nop 0
	v_mov_b32_dpp v21, v20 row_shr:1 row_mask:0xf bank_mask:0xf
	v_cndmask_b32_e64 v21, v21, 0, s[18:19]
	v_add_u32_e32 v20, v21, v20
	s_nop 1
	v_mov_b32_dpp v21, v20 row_shr:2 row_mask:0xf bank_mask:0xf
	v_cndmask_b32_e64 v21, 0, v21, s[20:21]
	v_add_u32_e32 v20, v20, v21
	ds_write_b32 v2, v20 offset:8192
.LBB18_14:                              ;   in Loop: Header=BB18_4 Depth=2
	s_or_b64 exec, exec, s[28:29]
	v_mov_b32_e32 v20, 0
	s_waitcnt lgkmcnt(0)
	s_barrier
	s_and_saveexec_b64 s[28:29], s[0:1]
	s_cbranch_execz .LBB18_3
; %bb.15:                               ;   in Loop: Header=BB18_4 Depth=2
	ds_read_b32 v20, v7 offset:8188
	s_branch .LBB18_3
.LBB18_16:
	ds_read_u16 v0, v5
	ds_read_u16 v1, v14
	;; [unrolled: 1-line block ×4, first 2 shown]
	s_add_u32 s0, s22, s24
	s_waitcnt lgkmcnt(3)
	v_add_u32_sdwa v4, v0, v4 dst_sel:DWORD dst_unused:UNUSED_PAD src0_sel:DWORD src1_sel:WORD_0
	s_waitcnt lgkmcnt(2)
	v_add_u32_sdwa v5, v1, v13 dst_sel:DWORD dst_unused:UNUSED_PAD src0_sel:DWORD src1_sel:WORD_0
	;; [unrolled: 2-line block ×4, first 2 shown]
	s_addc_u32 s1, s23, s25
	v_lshlrev_b32_e32 v0, 2, v2
	global_store_dwordx4 v0, v[4:7], s[0:1]
	s_endpgm
	.section	.rodata,"a",@progbits
	.p2align	6, 0x0
	.amdhsa_kernel _Z11rank_kernelIiLj4ELb0EL18RadixRankAlgorithm0ELj256ELj4ELj10EEvPKT_Pi
		.amdhsa_group_segment_fixed_size 8208
		.amdhsa_private_segment_fixed_size 0
		.amdhsa_kernarg_size 16
		.amdhsa_user_sgpr_count 6
		.amdhsa_user_sgpr_private_segment_buffer 1
		.amdhsa_user_sgpr_dispatch_ptr 0
		.amdhsa_user_sgpr_queue_ptr 0
		.amdhsa_user_sgpr_kernarg_segment_ptr 1
		.amdhsa_user_sgpr_dispatch_id 0
		.amdhsa_user_sgpr_flat_scratch_init 0
		.amdhsa_user_sgpr_kernarg_preload_length 0
		.amdhsa_user_sgpr_kernarg_preload_offset 0
		.amdhsa_user_sgpr_private_segment_size 0
		.amdhsa_uses_dynamic_stack 0
		.amdhsa_system_sgpr_private_segment_wavefront_offset 0
		.amdhsa_system_sgpr_workgroup_id_x 1
		.amdhsa_system_sgpr_workgroup_id_y 0
		.amdhsa_system_sgpr_workgroup_id_z 0
		.amdhsa_system_sgpr_workgroup_info 0
		.amdhsa_system_vgpr_workitem_id 0
		.amdhsa_next_free_vgpr 28
		.amdhsa_next_free_sgpr 40
		.amdhsa_accum_offset 28
		.amdhsa_reserve_vcc 1
		.amdhsa_reserve_flat_scratch 0
		.amdhsa_float_round_mode_32 0
		.amdhsa_float_round_mode_16_64 0
		.amdhsa_float_denorm_mode_32 3
		.amdhsa_float_denorm_mode_16_64 3
		.amdhsa_dx10_clamp 1
		.amdhsa_ieee_mode 1
		.amdhsa_fp16_overflow 0
		.amdhsa_tg_split 0
		.amdhsa_exception_fp_ieee_invalid_op 0
		.amdhsa_exception_fp_denorm_src 0
		.amdhsa_exception_fp_ieee_div_zero 0
		.amdhsa_exception_fp_ieee_overflow 0
		.amdhsa_exception_fp_ieee_underflow 0
		.amdhsa_exception_fp_ieee_inexact 0
		.amdhsa_exception_int_div_zero 0
	.end_amdhsa_kernel
	.section	.text._Z11rank_kernelIiLj4ELb0EL18RadixRankAlgorithm0ELj256ELj4ELj10EEvPKT_Pi,"axG",@progbits,_Z11rank_kernelIiLj4ELb0EL18RadixRankAlgorithm0ELj256ELj4ELj10EEvPKT_Pi,comdat
.Lfunc_end18:
	.size	_Z11rank_kernelIiLj4ELb0EL18RadixRankAlgorithm0ELj256ELj4ELj10EEvPKT_Pi, .Lfunc_end18-_Z11rank_kernelIiLj4ELb0EL18RadixRankAlgorithm0ELj256ELj4ELj10EEvPKT_Pi
                                        ; -- End function
	.section	.AMDGPU.csdata,"",@progbits
; Kernel info:
; codeLenInByte = 1292
; NumSgprs: 44
; NumVgprs: 28
; NumAgprs: 0
; TotalNumVgprs: 28
; ScratchSize: 0
; MemoryBound: 0
; FloatMode: 240
; IeeeMode: 1
; LDSByteSize: 8208 bytes/workgroup (compile time only)
; SGPRBlocks: 5
; VGPRBlocks: 3
; NumSGPRsForWavesPerEU: 44
; NumVGPRsForWavesPerEU: 28
; AccumOffset: 28
; Occupancy: 7
; WaveLimiterHint : 0
; COMPUTE_PGM_RSRC2:SCRATCH_EN: 0
; COMPUTE_PGM_RSRC2:USER_SGPR: 6
; COMPUTE_PGM_RSRC2:TRAP_HANDLER: 0
; COMPUTE_PGM_RSRC2:TGID_X_EN: 1
; COMPUTE_PGM_RSRC2:TGID_Y_EN: 0
; COMPUTE_PGM_RSRC2:TGID_Z_EN: 0
; COMPUTE_PGM_RSRC2:TIDIG_COMP_CNT: 0
; COMPUTE_PGM_RSRC3_GFX90A:ACCUM_OFFSET: 6
; COMPUTE_PGM_RSRC3_GFX90A:TG_SPLIT: 0
	.section	.text._Z11rank_kernelIiLj4ELb0EL18RadixRankAlgorithm1ELj256ELj4ELj10EEvPKT_Pi,"axG",@progbits,_Z11rank_kernelIiLj4ELb0EL18RadixRankAlgorithm1ELj256ELj4ELj10EEvPKT_Pi,comdat
	.protected	_Z11rank_kernelIiLj4ELb0EL18RadixRankAlgorithm1ELj256ELj4ELj10EEvPKT_Pi ; -- Begin function _Z11rank_kernelIiLj4ELb0EL18RadixRankAlgorithm1ELj256ELj4ELj10EEvPKT_Pi
	.globl	_Z11rank_kernelIiLj4ELb0EL18RadixRankAlgorithm1ELj256ELj4ELj10EEvPKT_Pi
	.p2align	8
	.type	_Z11rank_kernelIiLj4ELb0EL18RadixRankAlgorithm1ELj256ELj4ELj10EEvPKT_Pi,@function
_Z11rank_kernelIiLj4ELb0EL18RadixRankAlgorithm1ELj256ELj4ELj10EEvPKT_Pi: ; @_Z11rank_kernelIiLj4ELb0EL18RadixRankAlgorithm1ELj256ELj4ELj10EEvPKT_Pi
; %bb.0:
	s_load_dwordx4 s[20:23], s[4:5], 0x0
	s_lshl_b32 s26, s6, 10
	s_mov_b32 s27, 0
	s_lshl_b64 s[24:25], s[26:27], 2
	v_lshlrev_b32_e32 v1, 4, v0
	s_waitcnt lgkmcnt(0)
	s_add_u32 s0, s20, s24
	s_addc_u32 s1, s21, s25
	global_load_dwordx4 v[4:7], v1, s[0:1]
	v_mbcnt_lo_u32_b32 v1, -1, 0
	v_mbcnt_hi_u32_b32 v8, -1, v1
	v_or_b32_e32 v9, 63, v0
	v_cmp_eq_u32_e64 s[4:5], v9, v0
	v_add_u32_e32 v9, -1, v8
	v_and_b32_e32 v15, 64, v8
	v_lshrrev_b32_e32 v10, 4, v0
	v_cmp_lt_i32_e64 s[18:19], v9, v15
	v_and_b32_e32 v11, 15, v8
	v_and_b32_e32 v14, 16, v8
	v_cmp_lt_u32_e64 s[2:3], 31, v8
	v_cmp_eq_u32_e64 s[6:7], 0, v8
	v_and_b32_e32 v13, 12, v10
	v_and_b32_e32 v10, 3, v8
	v_cndmask_b32_e64 v8, v9, v8, s[18:19]
	v_mov_b32_e32 v3, 0
	v_lshlrev_b32_e32 v2, 2, v0
	v_lshlrev_b32_e32 v12, 5, v0
	v_cmp_gt_u32_e32 vcc, 4, v0
	v_cmp_lt_u32_e64 s[0:1], 63, v0
	v_or_b32_e32 v1, 0x100, v0
	v_cmp_eq_u32_e64 s[8:9], 0, v11
	v_cmp_lt_u32_e64 s[10:11], 1, v11
	v_cmp_lt_u32_e64 s[12:13], 3, v11
	;; [unrolled: 1-line block ×3, first 2 shown]
	v_cmp_eq_u32_e64 s[16:17], 0, v14
	v_cmp_eq_u32_e64 s[18:19], 0, v10
	v_cmp_lt_u32_e64 s[20:21], 1, v10
	v_lshlrev_b32_e32 v14, 2, v8
	s_movk_i32 s26, 0x700
	s_waitcnt vmcnt(0)
	v_xor_b32_e32 v15, 0x80000000, v4
	v_xor_b32_e32 v16, 0x80000000, v5
	;; [unrolled: 1-line block ×4, first 2 shown]
	s_branch .LBB19_2
.LBB19_1:                               ;   in Loop: Header=BB19_2 Depth=1
	s_add_i32 s27, s27, 1
	s_cmp_eq_u32 s27, 10
	s_cbranch_scc1 .LBB19_16
.LBB19_2:                               ; =>This Loop Header: Depth=1
                                        ;     Child Loop BB19_4 Depth 2
                                        ;       Child Loop BB19_6 Depth 3
	s_mov_b32 s33, 0
	s_branch .LBB19_4
.LBB19_3:                               ;   in Loop: Header=BB19_4 Depth=2
	s_or_b64 exec, exec, s[28:29]
	s_waitcnt lgkmcnt(0)
	v_add_u32_e32 v7, v27, v7
	ds_bpermute_b32 v7, v14, v7
	ds_read_b32 v28, v3 offset:8204
	s_add_i32 s28, s33, 4
	s_cmp_lt_u32 s33, 28
	s_mov_b32 s33, s28
	s_waitcnt lgkmcnt(1)
	v_cndmask_b32_e64 v7, v7, v27, s[6:7]
	s_waitcnt lgkmcnt(0)
	v_lshl_add_u32 v7, v28, 16, v7
	v_add_u32_e32 v10, v7, v10
	v_add_u32_e32 v11, v10, v11
	ds_write2_b32 v12, v7, v10 offset1:1
	v_add_u32_e32 v7, v11, v8
	v_add_u32_e32 v8, v7, v9
	;; [unrolled: 1-line block ×4, first 2 shown]
	ds_write2_b32 v12, v11, v7 offset0:2 offset1:3
	v_add_u32_e32 v6, v5, v6
	ds_write2_b32 v12, v8, v4 offset0:4 offset1:5
	ds_write2_b32 v12, v5, v6 offset0:6 offset1:7
	s_waitcnt lgkmcnt(0)
	s_barrier
	s_cbranch_scc0 .LBB19_1
.LBB19_4:                               ;   Parent Loop BB19_2 Depth=1
                                        ; =>  This Loop Header: Depth=2
                                        ;       Child Loop BB19_6 Depth 3
	s_mov_b32 s36, 0
	s_mov_b64 s[28:29], 0
	v_pk_mov_b32 v[4:5], v[0:1], v[0:1] op_sel:[0,1]
	s_branch .LBB19_6
.LBB19_5:                               ;   in Loop: Header=BB19_6 Depth=3
	s_or_b64 exec, exec, s[34:35]
	s_add_i32 s36, s36, 2
	v_cmp_eq_u32_e64 s[30:31], 8, s36
	v_add_u32_e32 v5, 0x200, v5
	s_or_b64 s[28:29], s[30:31], s[28:29]
	v_add_u32_e32 v4, 0x200, v4
	s_andn2_b64 exec, exec, s[28:29]
	s_cbranch_execz .LBB19_10
.LBB19_6:                               ;   Parent Loop BB19_2 Depth=1
                                        ;     Parent Loop BB19_4 Depth=2
                                        ; =>    This Inner Loop Header: Depth=3
	s_or_b32 s30, s36, 1
	v_cmp_le_u32_e64 s[30:31], s30, 7
	v_cmp_le_u32_e64 s[38:39], s36, 7
	s_and_saveexec_b64 s[34:35], s[38:39]
	s_cbranch_execz .LBB19_8
; %bb.7:                                ;   in Loop: Header=BB19_6 Depth=3
	v_lshlrev_b32_e32 v6, 2, v4
	ds_write_b32 v6, v3
.LBB19_8:                               ;   in Loop: Header=BB19_6 Depth=3
	s_or_b64 exec, exec, s[34:35]
	s_and_saveexec_b64 s[34:35], s[30:31]
	s_cbranch_execz .LBB19_5
; %bb.9:                                ;   in Loop: Header=BB19_6 Depth=3
	v_lshlrev_b32_e32 v6, 2, v5
	ds_write_b32 v6, v3
	s_branch .LBB19_5
.LBB19_10:                              ;   in Loop: Header=BB19_4 Depth=2
	s_or_b64 exec, exec, s[28:29]
	s_sub_i32 s28, 28, s33
	v_lshlrev_b32_e32 v4, s28, v15
	v_lshrrev_b32_e32 v5, 20, v4
	v_and_or_b32 v5, v5, s26, v0
	v_alignbit_b32 v4, v5, v4, 31
	v_lshlrev_b32_e32 v20, 1, v4
	ds_read_u16 v19, v20
	v_lshlrev_b32_e32 v4, s28, v16
	v_lshrrev_b32_e32 v5, 20, v4
	v_and_or_b32 v5, v5, s26, v0
	v_alignbit_b32 v4, v5, v4, 31
	s_waitcnt lgkmcnt(0)
	v_add_u16_e32 v5, 1, v19
	ds_write_b16 v20, v5
	v_lshlrev_b32_e32 v22, 1, v4
	ds_read_u16 v21, v22
	v_lshlrev_b32_e32 v4, s28, v17
	v_lshrrev_b32_e32 v5, 20, v4
	v_and_or_b32 v5, v5, s26, v0
	v_alignbit_b32 v4, v5, v4, 31
	s_waitcnt lgkmcnt(0)
	v_add_u16_e32 v6, 1, v21
	ds_write_b16 v22, v6
	;; [unrolled: 9-line block ×3, first 2 shown]
	v_lshlrev_b32_e32 v26, 1, v4
	ds_read_u16 v25, v26
	s_waitcnt lgkmcnt(0)
	v_add_u16_e32 v4, 1, v25
	ds_write_b16 v26, v4
	s_waitcnt lgkmcnt(0)
	s_barrier
	ds_read2_b32 v[10:11], v12 offset1:1
	ds_read2_b32 v[8:9], v12 offset0:2 offset1:3
	ds_read2_b32 v[4:5], v12 offset0:4 offset1:5
	;; [unrolled: 1-line block ×3, first 2 shown]
	s_waitcnt lgkmcnt(3)
	v_add_u32_e32 v27, v11, v10
	s_waitcnt lgkmcnt(2)
	v_add3_u32 v27, v27, v8, v9
	s_waitcnt lgkmcnt(1)
	v_add3_u32 v27, v27, v4, v5
	;; [unrolled: 2-line block ×3, first 2 shown]
	s_nop 1
	v_mov_b32_dpp v27, v7 row_shr:1 row_mask:0xf bank_mask:0xf
	v_cndmask_b32_e64 v27, v27, 0, s[8:9]
	v_add_u32_e32 v7, v27, v7
	s_nop 1
	v_mov_b32_dpp v27, v7 row_shr:2 row_mask:0xf bank_mask:0xf
	v_cndmask_b32_e64 v27, 0, v27, s[10:11]
	v_add_u32_e32 v7, v7, v27
	;; [unrolled: 4-line block ×4, first 2 shown]
	s_nop 1
	v_mov_b32_dpp v27, v7 row_bcast:15 row_mask:0xf bank_mask:0xf
	v_cndmask_b32_e64 v27, v27, 0, s[16:17]
	v_add_u32_e32 v7, v7, v27
	s_nop 1
	v_mov_b32_dpp v27, v7 row_bcast:31 row_mask:0xf bank_mask:0xf
	v_cndmask_b32_e64 v27, 0, v27, s[2:3]
	v_add_u32_e32 v7, v7, v27
	s_and_saveexec_b64 s[28:29], s[4:5]
	s_cbranch_execz .LBB19_12
; %bb.11:                               ;   in Loop: Header=BB19_4 Depth=2
	ds_write_b32 v13, v7 offset:8192
.LBB19_12:                              ;   in Loop: Header=BB19_4 Depth=2
	s_or_b64 exec, exec, s[28:29]
	s_waitcnt lgkmcnt(0)
	s_barrier
	s_and_saveexec_b64 s[28:29], vcc
	s_cbranch_execz .LBB19_14
; %bb.13:                               ;   in Loop: Header=BB19_4 Depth=2
	ds_read_b32 v27, v2 offset:8192
	s_waitcnt lgkmcnt(0)
	s_nop 0
	v_mov_b32_dpp v28, v27 row_shr:1 row_mask:0xf bank_mask:0xf
	v_cndmask_b32_e64 v28, v28, 0, s[18:19]
	v_add_u32_e32 v27, v28, v27
	s_nop 1
	v_mov_b32_dpp v28, v27 row_shr:2 row_mask:0xf bank_mask:0xf
	v_cndmask_b32_e64 v28, 0, v28, s[20:21]
	v_add_u32_e32 v27, v27, v28
	ds_write_b32 v2, v27 offset:8192
.LBB19_14:                              ;   in Loop: Header=BB19_4 Depth=2
	s_or_b64 exec, exec, s[28:29]
	v_mov_b32_e32 v27, 0
	s_waitcnt lgkmcnt(0)
	s_barrier
	s_and_saveexec_b64 s[28:29], s[0:1]
	s_cbranch_execz .LBB19_3
; %bb.15:                               ;   in Loop: Header=BB19_4 Depth=2
	ds_read_b32 v27, v13 offset:8188
	s_branch .LBB19_3
.LBB19_16:
	ds_read_u16 v0, v20
	ds_read_u16 v1, v22
	;; [unrolled: 1-line block ×4, first 2 shown]
	s_add_u32 s0, s22, s24
	s_waitcnt lgkmcnt(3)
	v_add_u32_sdwa v4, v0, v19 dst_sel:DWORD dst_unused:UNUSED_PAD src0_sel:DWORD src1_sel:WORD_0
	s_waitcnt lgkmcnt(2)
	v_add_u32_sdwa v5, v1, v21 dst_sel:DWORD dst_unused:UNUSED_PAD src0_sel:DWORD src1_sel:WORD_0
	;; [unrolled: 2-line block ×4, first 2 shown]
	s_addc_u32 s1, s23, s25
	v_lshlrev_b32_e32 v0, 2, v2
	global_store_dwordx4 v0, v[4:7], s[0:1]
	s_endpgm
	.section	.rodata,"a",@progbits
	.p2align	6, 0x0
	.amdhsa_kernel _Z11rank_kernelIiLj4ELb0EL18RadixRankAlgorithm1ELj256ELj4ELj10EEvPKT_Pi
		.amdhsa_group_segment_fixed_size 8208
		.amdhsa_private_segment_fixed_size 0
		.amdhsa_kernarg_size 16
		.amdhsa_user_sgpr_count 6
		.amdhsa_user_sgpr_private_segment_buffer 1
		.amdhsa_user_sgpr_dispatch_ptr 0
		.amdhsa_user_sgpr_queue_ptr 0
		.amdhsa_user_sgpr_kernarg_segment_ptr 1
		.amdhsa_user_sgpr_dispatch_id 0
		.amdhsa_user_sgpr_flat_scratch_init 0
		.amdhsa_user_sgpr_kernarg_preload_length 0
		.amdhsa_user_sgpr_kernarg_preload_offset 0
		.amdhsa_user_sgpr_private_segment_size 0
		.amdhsa_uses_dynamic_stack 0
		.amdhsa_system_sgpr_private_segment_wavefront_offset 0
		.amdhsa_system_sgpr_workgroup_id_x 1
		.amdhsa_system_sgpr_workgroup_id_y 0
		.amdhsa_system_sgpr_workgroup_id_z 0
		.amdhsa_system_sgpr_workgroup_info 0
		.amdhsa_system_vgpr_workitem_id 0
		.amdhsa_next_free_vgpr 29
		.amdhsa_next_free_sgpr 40
		.amdhsa_accum_offset 32
		.amdhsa_reserve_vcc 1
		.amdhsa_reserve_flat_scratch 0
		.amdhsa_float_round_mode_32 0
		.amdhsa_float_round_mode_16_64 0
		.amdhsa_float_denorm_mode_32 3
		.amdhsa_float_denorm_mode_16_64 3
		.amdhsa_dx10_clamp 1
		.amdhsa_ieee_mode 1
		.amdhsa_fp16_overflow 0
		.amdhsa_tg_split 0
		.amdhsa_exception_fp_ieee_invalid_op 0
		.amdhsa_exception_fp_denorm_src 0
		.amdhsa_exception_fp_ieee_div_zero 0
		.amdhsa_exception_fp_ieee_overflow 0
		.amdhsa_exception_fp_ieee_underflow 0
		.amdhsa_exception_fp_ieee_inexact 0
		.amdhsa_exception_int_div_zero 0
	.end_amdhsa_kernel
	.section	.text._Z11rank_kernelIiLj4ELb0EL18RadixRankAlgorithm1ELj256ELj4ELj10EEvPKT_Pi,"axG",@progbits,_Z11rank_kernelIiLj4ELb0EL18RadixRankAlgorithm1ELj256ELj4ELj10EEvPKT_Pi,comdat
.Lfunc_end19:
	.size	_Z11rank_kernelIiLj4ELb0EL18RadixRankAlgorithm1ELj256ELj4ELj10EEvPKT_Pi, .Lfunc_end19-_Z11rank_kernelIiLj4ELb0EL18RadixRankAlgorithm1ELj256ELj4ELj10EEvPKT_Pi
                                        ; -- End function
	.section	.AMDGPU.csdata,"",@progbits
; Kernel info:
; codeLenInByte = 1244
; NumSgprs: 44
; NumVgprs: 29
; NumAgprs: 0
; TotalNumVgprs: 29
; ScratchSize: 0
; MemoryBound: 0
; FloatMode: 240
; IeeeMode: 1
; LDSByteSize: 8208 bytes/workgroup (compile time only)
; SGPRBlocks: 5
; VGPRBlocks: 3
; NumSGPRsForWavesPerEU: 44
; NumVGPRsForWavesPerEU: 29
; AccumOffset: 32
; Occupancy: 7
; WaveLimiterHint : 0
; COMPUTE_PGM_RSRC2:SCRATCH_EN: 0
; COMPUTE_PGM_RSRC2:USER_SGPR: 6
; COMPUTE_PGM_RSRC2:TRAP_HANDLER: 0
; COMPUTE_PGM_RSRC2:TGID_X_EN: 1
; COMPUTE_PGM_RSRC2:TGID_Y_EN: 0
; COMPUTE_PGM_RSRC2:TGID_Z_EN: 0
; COMPUTE_PGM_RSRC2:TIDIG_COMP_CNT: 0
; COMPUTE_PGM_RSRC3_GFX90A:ACCUM_OFFSET: 7
; COMPUTE_PGM_RSRC3_GFX90A:TG_SPLIT: 0
	.section	.text._Z11rank_kernelIiLj4ELb0EL18RadixRankAlgorithm2ELj256ELj4ELj10EEvPKT_Pi,"axG",@progbits,_Z11rank_kernelIiLj4ELb0EL18RadixRankAlgorithm2ELj256ELj4ELj10EEvPKT_Pi,comdat
	.protected	_Z11rank_kernelIiLj4ELb0EL18RadixRankAlgorithm2ELj256ELj4ELj10EEvPKT_Pi ; -- Begin function _Z11rank_kernelIiLj4ELb0EL18RadixRankAlgorithm2ELj256ELj4ELj10EEvPKT_Pi
	.globl	_Z11rank_kernelIiLj4ELb0EL18RadixRankAlgorithm2ELj256ELj4ELj10EEvPKT_Pi
	.p2align	8
	.type	_Z11rank_kernelIiLj4ELb0EL18RadixRankAlgorithm2ELj256ELj4ELj10EEvPKT_Pi,@function
_Z11rank_kernelIiLj4ELb0EL18RadixRankAlgorithm2ELj256ELj4ELj10EEvPKT_Pi: ; @_Z11rank_kernelIiLj4ELb0EL18RadixRankAlgorithm2ELj256ELj4ELj10EEvPKT_Pi
; %bb.0:
	s_load_dwordx4 s[24:27], s[4:5], 0x0
	s_load_dword s22, s[4:5], 0x1c
	s_lshl_b32 s30, s6, 10
	s_mov_b32 s31, 0
	s_lshl_b64 s[28:29], s[30:31], 2
	s_waitcnt lgkmcnt(0)
	s_add_u32 s0, s24, s28
	v_and_b32_e32 v4, 0x3ff, v0
	s_addc_u32 s1, s25, s29
	v_lshlrev_b32_e32 v1, 4, v4
	global_load_dwordx4 v[8:11], v1, s[0:1]
	v_mbcnt_lo_u32_b32 v1, -1, 0
	v_mbcnt_hi_u32_b32 v1, -1, v1
	v_bfe_u32 v3, v0, 10, 10
	v_bfe_u32 v5, v0, 20, 10
	v_add_u32_e32 v13, -1, v1
	v_and_b32_e32 v14, 64, v1
	s_lshr_b32 s23, s22, 16
	v_and_b32_e32 v6, 15, v1
	v_or_b32_e32 v12, 63, v4
	v_lshrrev_b32_e32 v15, 4, v4
	v_cmp_lt_i32_e64 s[18:19], v13, v14
	s_and_b32 s22, s22, 0xffff
	v_mad_u32_u24 v3, v5, s23, v3
	v_lshlrev_b32_e32 v0, 2, v4
	v_and_b32_e32 v7, 16, v1
	v_cmp_lt_u32_e32 vcc, 31, v1
	v_cmp_gt_u32_e64 s[0:1], 4, v4
	v_cmp_lt_u32_e64 s[2:3], 63, v4
	v_cmp_eq_u32_e64 s[4:5], 0, v1
	v_and_b32_e32 v16, 3, v1
	v_cmp_eq_u32_e64 s[6:7], 0, v6
	v_cmp_lt_u32_e64 s[8:9], 1, v6
	v_cmp_lt_u32_e64 s[10:11], 3, v6
	;; [unrolled: 1-line block ×3, first 2 shown]
	v_cmp_eq_u32_e64 s[16:17], v12, v4
	v_cndmask_b32_e64 v6, v13, v1, s[18:19]
	v_and_b32_e32 v1, 12, v15
	v_mad_u64_u32 v[4:5], s[22:23], v3, s22, v[4:5]
	v_mov_b32_e32 v2, 0
	v_cmp_eq_u32_e64 s[14:15], 0, v7
	v_cmp_eq_u32_e64 s[18:19], 0, v16
	v_cmp_lt_u32_e64 s[20:21], 1, v16
	v_lshlrev_b32_e32 v6, 2, v6
	v_lshrrev_b32_e32 v7, 6, v4
	v_add_u32_e32 v12, -4, v1
	s_waitcnt vmcnt(0)
	v_xor_b32_e32 v8, 0x80000000, v8
	v_xor_b32_e32 v9, 0x80000000, v9
	v_xor_b32_e32 v10, 0x80000000, v10
	v_xor_b32_e32 v11, 0x80000000, v11
	s_branch .LBB20_2
.LBB20_1:                               ;   in Loop: Header=BB20_2 Depth=1
	s_add_i32 s31, s31, 1
	s_cmp_eq_u32 s31, 10
	s_cbranch_scc1 .LBB20_18
.LBB20_2:                               ; =>This Loop Header: Depth=1
                                        ;     Child Loop BB20_4 Depth 2
	s_mov_b32 s30, -4
	s_mov_b32 s33, 28
	s_branch .LBB20_4
.LBB20_3:                               ;   in Loop: Header=BB20_4 Depth=2
	s_or_b64 exec, exec, s[22:23]
	s_waitcnt lgkmcnt(0)
	v_add_u32_e32 v4, v5, v4
	ds_bpermute_b32 v4, v6, v4
	s_add_i32 s33, s33, -4
	s_add_i32 s30, s30, 4
	s_cmp_lt_u32 s30, 28
	s_waitcnt lgkmcnt(0)
	v_cndmask_b32_e64 v4, v4, v5, s[4:5]
	ds_write_b32 v0, v4 offset:16
	s_waitcnt lgkmcnt(0)
	s_barrier
	s_cbranch_scc0 .LBB20_1
.LBB20_4:                               ;   Parent Loop BB20_2 Depth=1
                                        ; =>  This Inner Loop Header: Depth=2
	v_lshlrev_b32_e32 v4, s33, v8
	v_lshrrev_b32_e32 v5, 28, v4
	v_mad_u32_u24 v3, v5, 5, v7
	v_lshl_add_u32 v13, v3, 2, 16
	v_bfe_u32 v3, v4, 28, 1
	v_add_co_u32_e64 v14, s[22:23], -1, v3
	v_addc_co_u32_e64 v15, s[22:23], 0, -1, s[22:23]
	v_cmp_ne_u32_e64 s[22:23], 0, v3
	v_xor_b32_e32 v3, s23, v15
	v_and_b32_e32 v15, exec_hi, v3
	v_lshlrev_b32_e32 v3, 30, v5
	v_xor_b32_e32 v14, s22, v14
	v_cmp_gt_i64_e64 s[22:23], 0, v[2:3]
	v_not_b32_e32 v3, v3
	v_ashrrev_i32_e32 v3, 31, v3
	v_and_b32_e32 v14, exec_lo, v14
	v_xor_b32_e32 v16, s23, v3
	v_xor_b32_e32 v3, s22, v3
	v_and_b32_e32 v14, v14, v3
	v_lshlrev_b32_e32 v3, 29, v5
	v_cmp_gt_i64_e64 s[22:23], 0, v[2:3]
	v_not_b32_e32 v3, v3
	v_ashrrev_i32_e32 v3, 31, v3
	v_xor_b32_e32 v5, s23, v3
	v_xor_b32_e32 v3, s22, v3
	v_and_b32_e32 v14, v14, v3
	v_and_b32_e32 v3, 0xf0000000, v4
	v_cmp_gt_i64_e64 s[22:23], 0, v[2:3]
	v_not_b32_e32 v3, v3
	v_and_b32_e32 v15, v15, v16
	v_ashrrev_i32_e32 v3, 31, v3
	v_and_b32_e32 v5, v15, v5
	v_xor_b32_e32 v4, s23, v3
	v_xor_b32_e32 v3, s22, v3
	v_and_b32_e32 v5, v5, v4
	v_and_b32_e32 v4, v14, v3
	v_mbcnt_lo_u32_b32 v3, v4, 0
	v_mbcnt_hi_u32_b32 v14, v5, v3
	v_cmp_eq_u32_e64 s[22:23], 0, v14
	v_cmp_ne_u64_e64 s[24:25], 0, v[4:5]
	s_and_b64 s[24:25], s[24:25], s[22:23]
	ds_write_b32 v0, v2 offset:16
	s_waitcnt lgkmcnt(0)
	s_barrier
	s_waitcnt lgkmcnt(0)
	; wave barrier
	s_and_saveexec_b64 s[22:23], s[24:25]
	s_cbranch_execz .LBB20_6
; %bb.5:                                ;   in Loop: Header=BB20_4 Depth=2
	v_bcnt_u32_b32 v3, v4, 0
	v_bcnt_u32_b32 v3, v5, v3
	ds_write_b32 v13, v3
.LBB20_6:                               ;   in Loop: Header=BB20_4 Depth=2
	s_or_b64 exec, exec, s[22:23]
	v_lshlrev_b32_e32 v4, s33, v9
	v_lshrrev_b32_e32 v5, 28, v4
	v_mul_u32_u24_e32 v3, 5, v5
	v_add_lshl_u32 v3, v7, v3, 2
	; wave barrier
	v_add_u32_e32 v16, 16, v3
	ds_read_b32 v15, v3 offset:16
	v_bfe_u32 v3, v4, 28, 1
	v_add_co_u32_e64 v17, s[22:23], -1, v3
	v_addc_co_u32_e64 v18, s[22:23], 0, -1, s[22:23]
	v_cmp_ne_u32_e64 s[22:23], 0, v3
	v_xor_b32_e32 v3, s23, v18
	v_and_b32_e32 v18, exec_hi, v3
	v_lshlrev_b32_e32 v3, 30, v5
	v_xor_b32_e32 v17, s22, v17
	v_cmp_gt_i64_e64 s[22:23], 0, v[2:3]
	v_not_b32_e32 v3, v3
	v_ashrrev_i32_e32 v3, 31, v3
	v_and_b32_e32 v17, exec_lo, v17
	v_xor_b32_e32 v19, s23, v3
	v_xor_b32_e32 v3, s22, v3
	v_and_b32_e32 v17, v17, v3
	v_lshlrev_b32_e32 v3, 29, v5
	v_cmp_gt_i64_e64 s[22:23], 0, v[2:3]
	v_not_b32_e32 v3, v3
	v_ashrrev_i32_e32 v3, 31, v3
	v_xor_b32_e32 v5, s23, v3
	v_xor_b32_e32 v3, s22, v3
	v_and_b32_e32 v17, v17, v3
	v_and_b32_e32 v3, 0xf0000000, v4
	v_cmp_gt_i64_e64 s[22:23], 0, v[2:3]
	v_not_b32_e32 v3, v3
	v_and_b32_e32 v18, v18, v19
	v_ashrrev_i32_e32 v3, 31, v3
	v_and_b32_e32 v5, v18, v5
	v_xor_b32_e32 v4, s23, v3
	v_xor_b32_e32 v3, s22, v3
	v_and_b32_e32 v5, v5, v4
	v_and_b32_e32 v4, v17, v3
	v_mbcnt_lo_u32_b32 v3, v4, 0
	v_mbcnt_hi_u32_b32 v17, v5, v3
	v_cmp_eq_u32_e64 s[22:23], 0, v17
	v_cmp_ne_u64_e64 s[24:25], 0, v[4:5]
	s_and_b64 s[24:25], s[24:25], s[22:23]
	; wave barrier
	s_and_saveexec_b64 s[22:23], s[24:25]
	s_cbranch_execz .LBB20_8
; %bb.7:                                ;   in Loop: Header=BB20_4 Depth=2
	v_bcnt_u32_b32 v3, v4, 0
	v_bcnt_u32_b32 v3, v5, v3
	s_waitcnt lgkmcnt(0)
	v_add_u32_e32 v3, v15, v3
	ds_write_b32 v16, v3
.LBB20_8:                               ;   in Loop: Header=BB20_4 Depth=2
	s_or_b64 exec, exec, s[22:23]
	v_lshlrev_b32_e32 v4, s33, v10
	v_lshrrev_b32_e32 v5, 28, v4
	v_mul_u32_u24_e32 v3, 5, v5
	v_add_lshl_u32 v3, v7, v3, 2
	; wave barrier
	v_add_u32_e32 v19, 16, v3
	ds_read_b32 v18, v3 offset:16
	v_bfe_u32 v3, v4, 28, 1
	v_add_co_u32_e64 v20, s[22:23], -1, v3
	v_addc_co_u32_e64 v21, s[22:23], 0, -1, s[22:23]
	v_cmp_ne_u32_e64 s[22:23], 0, v3
	v_xor_b32_e32 v3, s23, v21
	v_and_b32_e32 v21, exec_hi, v3
	v_lshlrev_b32_e32 v3, 30, v5
	v_xor_b32_e32 v20, s22, v20
	v_cmp_gt_i64_e64 s[22:23], 0, v[2:3]
	v_not_b32_e32 v3, v3
	v_ashrrev_i32_e32 v3, 31, v3
	v_and_b32_e32 v20, exec_lo, v20
	v_xor_b32_e32 v22, s23, v3
	v_xor_b32_e32 v3, s22, v3
	v_and_b32_e32 v20, v20, v3
	v_lshlrev_b32_e32 v3, 29, v5
	v_cmp_gt_i64_e64 s[22:23], 0, v[2:3]
	v_not_b32_e32 v3, v3
	v_ashrrev_i32_e32 v3, 31, v3
	v_xor_b32_e32 v5, s23, v3
	v_xor_b32_e32 v3, s22, v3
	v_and_b32_e32 v20, v20, v3
	v_and_b32_e32 v3, 0xf0000000, v4
	v_cmp_gt_i64_e64 s[22:23], 0, v[2:3]
	v_not_b32_e32 v3, v3
	v_and_b32_e32 v21, v21, v22
	v_ashrrev_i32_e32 v3, 31, v3
	v_and_b32_e32 v5, v21, v5
	v_xor_b32_e32 v4, s23, v3
	v_xor_b32_e32 v3, s22, v3
	v_and_b32_e32 v5, v5, v4
	v_and_b32_e32 v4, v20, v3
	v_mbcnt_lo_u32_b32 v3, v4, 0
	v_mbcnt_hi_u32_b32 v20, v5, v3
	v_cmp_eq_u32_e64 s[22:23], 0, v20
	v_cmp_ne_u64_e64 s[24:25], 0, v[4:5]
	s_and_b64 s[24:25], s[24:25], s[22:23]
	; wave barrier
	s_and_saveexec_b64 s[22:23], s[24:25]
	s_cbranch_execz .LBB20_10
; %bb.9:                                ;   in Loop: Header=BB20_4 Depth=2
	v_bcnt_u32_b32 v3, v4, 0
	v_bcnt_u32_b32 v3, v5, v3
	s_waitcnt lgkmcnt(0)
	v_add_u32_e32 v3, v18, v3
	ds_write_b32 v19, v3
.LBB20_10:                              ;   in Loop: Header=BB20_4 Depth=2
	s_or_b64 exec, exec, s[22:23]
	v_lshlrev_b32_e32 v4, s33, v11
	v_lshrrev_b32_e32 v5, 28, v4
	v_mul_u32_u24_e32 v3, 5, v5
	v_add_lshl_u32 v3, v7, v3, 2
	; wave barrier
	v_add_u32_e32 v22, 16, v3
	ds_read_b32 v21, v3 offset:16
	v_bfe_u32 v3, v4, 28, 1
	v_add_co_u32_e64 v23, s[22:23], -1, v3
	v_addc_co_u32_e64 v24, s[22:23], 0, -1, s[22:23]
	v_cmp_ne_u32_e64 s[22:23], 0, v3
	v_xor_b32_e32 v3, s23, v24
	v_and_b32_e32 v24, exec_hi, v3
	v_lshlrev_b32_e32 v3, 30, v5
	v_xor_b32_e32 v23, s22, v23
	v_cmp_gt_i64_e64 s[22:23], 0, v[2:3]
	v_not_b32_e32 v3, v3
	v_ashrrev_i32_e32 v3, 31, v3
	v_and_b32_e32 v23, exec_lo, v23
	v_xor_b32_e32 v25, s23, v3
	v_xor_b32_e32 v3, s22, v3
	v_and_b32_e32 v23, v23, v3
	v_lshlrev_b32_e32 v3, 29, v5
	v_cmp_gt_i64_e64 s[22:23], 0, v[2:3]
	v_not_b32_e32 v3, v3
	v_ashrrev_i32_e32 v3, 31, v3
	v_xor_b32_e32 v5, s23, v3
	v_xor_b32_e32 v3, s22, v3
	v_and_b32_e32 v23, v23, v3
	v_and_b32_e32 v3, 0xf0000000, v4
	v_cmp_gt_i64_e64 s[22:23], 0, v[2:3]
	v_not_b32_e32 v3, v3
	v_and_b32_e32 v24, v24, v25
	v_ashrrev_i32_e32 v3, 31, v3
	v_and_b32_e32 v5, v24, v5
	v_xor_b32_e32 v4, s23, v3
	v_xor_b32_e32 v3, s22, v3
	v_and_b32_e32 v5, v5, v4
	v_and_b32_e32 v4, v23, v3
	v_mbcnt_lo_u32_b32 v3, v4, 0
	v_mbcnt_hi_u32_b32 v3, v5, v3
	v_cmp_eq_u32_e64 s[22:23], 0, v3
	v_cmp_ne_u64_e64 s[24:25], 0, v[4:5]
	s_and_b64 s[24:25], s[24:25], s[22:23]
	; wave barrier
	s_and_saveexec_b64 s[22:23], s[24:25]
	s_cbranch_execz .LBB20_12
; %bb.11:                               ;   in Loop: Header=BB20_4 Depth=2
	v_bcnt_u32_b32 v4, v4, 0
	v_bcnt_u32_b32 v4, v5, v4
	s_waitcnt lgkmcnt(0)
	v_add_u32_e32 v4, v21, v4
	ds_write_b32 v22, v4
.LBB20_12:                              ;   in Loop: Header=BB20_4 Depth=2
	s_or_b64 exec, exec, s[22:23]
	; wave barrier
	s_waitcnt lgkmcnt(0)
	s_barrier
	ds_read_b32 v4, v0 offset:16
	s_waitcnt lgkmcnt(0)
	s_nop 0
	v_mov_b32_dpp v5, v4 row_shr:1 row_mask:0xf bank_mask:0xf
	v_cndmask_b32_e64 v5, v5, 0, s[6:7]
	v_add_u32_e32 v4, v5, v4
	s_nop 1
	v_mov_b32_dpp v5, v4 row_shr:2 row_mask:0xf bank_mask:0xf
	v_cndmask_b32_e64 v5, 0, v5, s[8:9]
	v_add_u32_e32 v4, v4, v5
	;; [unrolled: 4-line block ×4, first 2 shown]
	s_nop 1
	v_mov_b32_dpp v5, v4 row_bcast:15 row_mask:0xf bank_mask:0xf
	v_cndmask_b32_e64 v5, v5, 0, s[14:15]
	v_add_u32_e32 v4, v4, v5
	s_nop 1
	v_mov_b32_dpp v5, v4 row_bcast:31 row_mask:0xf bank_mask:0xf
	v_cndmask_b32_e32 v5, 0, v5, vcc
	v_add_u32_e32 v4, v4, v5
	s_and_saveexec_b64 s[22:23], s[16:17]
	s_xor_b64 s[22:23], exec, s[22:23]
	s_cbranch_execz .LBB20_14
; %bb.13:                               ;   in Loop: Header=BB20_4 Depth=2
	ds_write_b32 v1, v4
.LBB20_14:                              ;   in Loop: Header=BB20_4 Depth=2
	s_or_b64 exec, exec, s[22:23]
	s_waitcnt lgkmcnt(0)
	s_barrier
	s_and_saveexec_b64 s[22:23], s[0:1]
	s_cbranch_execz .LBB20_16
; %bb.15:                               ;   in Loop: Header=BB20_4 Depth=2
	ds_read_b32 v5, v0
	s_waitcnt lgkmcnt(0)
	s_nop 0
	v_mov_b32_dpp v23, v5 row_shr:1 row_mask:0xf bank_mask:0xf
	v_cndmask_b32_e64 v23, v23, 0, s[18:19]
	v_add_u32_e32 v5, v23, v5
	s_nop 1
	v_mov_b32_dpp v23, v5 row_shr:2 row_mask:0xf bank_mask:0xf
	v_cndmask_b32_e64 v23, 0, v23, s[20:21]
	v_add_u32_e32 v5, v5, v23
	ds_write_b32 v0, v5
.LBB20_16:                              ;   in Loop: Header=BB20_4 Depth=2
	s_or_b64 exec, exec, s[22:23]
	v_mov_b32_e32 v5, 0
	s_waitcnt lgkmcnt(0)
	s_barrier
	s_and_saveexec_b64 s[22:23], s[2:3]
	s_cbranch_execz .LBB20_3
; %bb.17:                               ;   in Loop: Header=BB20_4 Depth=2
	ds_read_b32 v5, v12
	s_branch .LBB20_3
.LBB20_18:
	ds_read_b32 v2, v22
	ds_read_b32 v4, v19
	;; [unrolled: 1-line block ×4, first 2 shown]
	s_add_u32 s0, s26, s28
	s_addc_u32 s1, s27, s29
	v_lshlrev_b32_e32 v6, 2, v0
	s_waitcnt lgkmcnt(1)
	v_add3_u32 v1, v17, v15, v1
	s_waitcnt lgkmcnt(0)
	v_add_u32_e32 v0, v5, v14
	v_add3_u32 v3, v3, v21, v2
	v_add3_u32 v2, v20, v18, v4
	global_store_dwordx4 v6, v[0:3], s[0:1]
	s_endpgm
	.section	.rodata,"a",@progbits
	.p2align	6, 0x0
	.amdhsa_kernel _Z11rank_kernelIiLj4ELb0EL18RadixRankAlgorithm2ELj256ELj4ELj10EEvPKT_Pi
		.amdhsa_group_segment_fixed_size 1040
		.amdhsa_private_segment_fixed_size 0
		.amdhsa_kernarg_size 272
		.amdhsa_user_sgpr_count 6
		.amdhsa_user_sgpr_private_segment_buffer 1
		.amdhsa_user_sgpr_dispatch_ptr 0
		.amdhsa_user_sgpr_queue_ptr 0
		.amdhsa_user_sgpr_kernarg_segment_ptr 1
		.amdhsa_user_sgpr_dispatch_id 0
		.amdhsa_user_sgpr_flat_scratch_init 0
		.amdhsa_user_sgpr_kernarg_preload_length 0
		.amdhsa_user_sgpr_kernarg_preload_offset 0
		.amdhsa_user_sgpr_private_segment_size 0
		.amdhsa_uses_dynamic_stack 0
		.amdhsa_system_sgpr_private_segment_wavefront_offset 0
		.amdhsa_system_sgpr_workgroup_id_x 1
		.amdhsa_system_sgpr_workgroup_id_y 0
		.amdhsa_system_sgpr_workgroup_id_z 0
		.amdhsa_system_sgpr_workgroup_info 0
		.amdhsa_system_vgpr_workitem_id 2
		.amdhsa_next_free_vgpr 26
		.amdhsa_next_free_sgpr 34
		.amdhsa_accum_offset 28
		.amdhsa_reserve_vcc 1
		.amdhsa_reserve_flat_scratch 0
		.amdhsa_float_round_mode_32 0
		.amdhsa_float_round_mode_16_64 0
		.amdhsa_float_denorm_mode_32 3
		.amdhsa_float_denorm_mode_16_64 3
		.amdhsa_dx10_clamp 1
		.amdhsa_ieee_mode 1
		.amdhsa_fp16_overflow 0
		.amdhsa_tg_split 0
		.amdhsa_exception_fp_ieee_invalid_op 0
		.amdhsa_exception_fp_denorm_src 0
		.amdhsa_exception_fp_ieee_div_zero 0
		.amdhsa_exception_fp_ieee_overflow 0
		.amdhsa_exception_fp_ieee_underflow 0
		.amdhsa_exception_fp_ieee_inexact 0
		.amdhsa_exception_int_div_zero 0
	.end_amdhsa_kernel
	.section	.text._Z11rank_kernelIiLj4ELb0EL18RadixRankAlgorithm2ELj256ELj4ELj10EEvPKT_Pi,"axG",@progbits,_Z11rank_kernelIiLj4ELb0EL18RadixRankAlgorithm2ELj256ELj4ELj10EEvPKT_Pi,comdat
.Lfunc_end20:
	.size	_Z11rank_kernelIiLj4ELb0EL18RadixRankAlgorithm2ELj256ELj4ELj10EEvPKT_Pi, .Lfunc_end20-_Z11rank_kernelIiLj4ELb0EL18RadixRankAlgorithm2ELj256ELj4ELj10EEvPKT_Pi
                                        ; -- End function
	.section	.AMDGPU.csdata,"",@progbits
; Kernel info:
; codeLenInByte = 1896
; NumSgprs: 38
; NumVgprs: 26
; NumAgprs: 0
; TotalNumVgprs: 26
; ScratchSize: 0
; MemoryBound: 0
; FloatMode: 240
; IeeeMode: 1
; LDSByteSize: 1040 bytes/workgroup (compile time only)
; SGPRBlocks: 4
; VGPRBlocks: 3
; NumSGPRsForWavesPerEU: 38
; NumVGPRsForWavesPerEU: 26
; AccumOffset: 28
; Occupancy: 8
; WaveLimiterHint : 0
; COMPUTE_PGM_RSRC2:SCRATCH_EN: 0
; COMPUTE_PGM_RSRC2:USER_SGPR: 6
; COMPUTE_PGM_RSRC2:TRAP_HANDLER: 0
; COMPUTE_PGM_RSRC2:TGID_X_EN: 1
; COMPUTE_PGM_RSRC2:TGID_Y_EN: 0
; COMPUTE_PGM_RSRC2:TGID_Z_EN: 0
; COMPUTE_PGM_RSRC2:TIDIG_COMP_CNT: 2
; COMPUTE_PGM_RSRC3_GFX90A:ACCUM_OFFSET: 6
; COMPUTE_PGM_RSRC3_GFX90A:TG_SPLIT: 0
	.section	.text._Z11rank_kernelIiLj4ELb0EL18RadixRankAlgorithm0ELj256ELj8ELj10EEvPKT_Pi,"axG",@progbits,_Z11rank_kernelIiLj4ELb0EL18RadixRankAlgorithm0ELj256ELj8ELj10EEvPKT_Pi,comdat
	.protected	_Z11rank_kernelIiLj4ELb0EL18RadixRankAlgorithm0ELj256ELj8ELj10EEvPKT_Pi ; -- Begin function _Z11rank_kernelIiLj4ELb0EL18RadixRankAlgorithm0ELj256ELj8ELj10EEvPKT_Pi
	.globl	_Z11rank_kernelIiLj4ELb0EL18RadixRankAlgorithm0ELj256ELj8ELj10EEvPKT_Pi
	.p2align	8
	.type	_Z11rank_kernelIiLj4ELb0EL18RadixRankAlgorithm0ELj256ELj8ELj10EEvPKT_Pi,@function
_Z11rank_kernelIiLj4ELb0EL18RadixRankAlgorithm0ELj256ELj8ELj10EEvPKT_Pi: ; @_Z11rank_kernelIiLj4ELb0EL18RadixRankAlgorithm0ELj256ELj8ELj10EEvPKT_Pi
; %bb.0:
	s_load_dwordx4 s[20:23], s[4:5], 0x0
	s_lshl_b32 s26, s6, 11
	s_mov_b32 s27, 0
	s_lshl_b64 s[24:25], s[26:27], 2
	v_lshlrev_b32_e32 v3, 5, v0
	s_waitcnt lgkmcnt(0)
	s_add_u32 s0, s20, s24
	s_addc_u32 s1, s21, s25
	global_load_dwordx4 v[10:13], v3, s[0:1]
	global_load_dwordx4 v[14:17], v3, s[0:1] offset:16
	v_mbcnt_lo_u32_b32 v1, -1, 0
	v_mbcnt_hi_u32_b32 v4, -1, v1
	v_or_b32_e32 v5, 63, v0
	v_cmp_eq_u32_e64 s[4:5], v5, v0
	v_add_u32_e32 v5, -1, v4
	v_and_b32_e32 v19, 64, v4
	v_cmp_lt_i32_e64 s[18:19], v5, v19
	v_lshrrev_b32_e32 v8, 4, v0
	v_and_b32_e32 v9, 15, v4
	v_and_b32_e32 v18, 16, v4
	v_cmp_lt_u32_e64 s[2:3], 31, v4
	v_cmp_eq_u32_e64 s[6:7], 0, v4
	v_and_b32_e32 v20, 3, v4
	v_cndmask_b32_e64 v4, v5, v4, s[18:19]
	v_mov_b32_e32 v6, 0
	v_lshlrev_b32_e32 v2, 3, v0
	v_cmp_gt_u32_e32 vcc, 4, v0
	v_cmp_lt_u32_e64 s[0:1], 63, v0
	v_lshlrev_b32_e32 v7, 2, v0
	v_or_b32_e32 v1, 0x100, v0
	v_and_b32_e32 v8, 12, v8
	v_cmp_eq_u32_e64 s[8:9], 0, v9
	v_cmp_lt_u32_e64 s[10:11], 1, v9
	v_cmp_lt_u32_e64 s[12:13], 3, v9
	;; [unrolled: 1-line block ×3, first 2 shown]
	v_cmp_eq_u32_e64 s[16:17], 0, v18
	v_cmp_eq_u32_e64 s[18:19], 0, v20
	v_cmp_lt_u32_e64 s[20:21], 1, v20
	v_lshlrev_b32_e32 v9, 2, v4
	s_movk_i32 s26, 0x700
	s_waitcnt vmcnt(1)
	v_xor_b32_e32 v10, 0x80000000, v10
	v_xor_b32_e32 v11, 0x80000000, v11
	v_xor_b32_e32 v12, 0x80000000, v12
	v_xor_b32_e32 v13, 0x80000000, v13
	s_waitcnt vmcnt(0)
	v_xor_b32_e32 v14, 0x80000000, v14
	v_xor_b32_e32 v15, 0x80000000, v15
	;; [unrolled: 1-line block ×4, first 2 shown]
	s_branch .LBB21_2
.LBB21_1:                               ;   in Loop: Header=BB21_2 Depth=1
	s_add_i32 s27, s27, 1
	s_cmp_eq_u32 s27, 10
	s_cbranch_scc1 .LBB21_16
.LBB21_2:                               ; =>This Loop Header: Depth=1
                                        ;     Child Loop BB21_4 Depth 2
                                        ;       Child Loop BB21_6 Depth 3
	s_mov_b32 s33, 0
	s_branch .LBB21_4
.LBB21_3:                               ;   in Loop: Header=BB21_4 Depth=2
	s_or_b64 exec, exec, s[28:29]
	s_waitcnt lgkmcnt(0)
	v_add_u32_e32 v32, v33, v32
	ds_bpermute_b32 v32, v9, v32
	ds_read_b32 v34, v6 offset:8204
	s_add_i32 s28, s33, 4
	s_cmp_lt_u32 s33, 28
	s_mov_b32 s33, s28
	s_waitcnt lgkmcnt(1)
	v_cndmask_b32_e64 v35, v32, v33, s[6:7]
	ds_read2_b32 v[32:33], v3 offset1:1
	s_waitcnt lgkmcnt(1)
	v_lshl_add_u32 v38, v34, 16, v35
	ds_read2_b32 v[34:35], v3 offset0:2 offset1:3
	ds_read2_b32 v[36:37], v3 offset0:4 offset1:5
	ds_read_b32 v39, v3 offset:24
	s_waitcnt lgkmcnt(3)
	v_add_u32_e32 v32, v38, v32
	ds_write2_b32 v3, v38, v32 offset1:1
	v_add_u32_e32 v32, v33, v32
	s_waitcnt lgkmcnt(3)
	v_add_u32_e32 v33, v34, v32
	ds_write2_b32 v3, v32, v33 offset0:2 offset1:3
	v_add_u32_e32 v32, v35, v33
	s_waitcnt lgkmcnt(3)
	v_add_u32_e32 v33, v36, v32
	ds_write2_b32 v3, v32, v33 offset0:4 offset1:5
	;; [unrolled: 4-line block ×3, first 2 shown]
	s_waitcnt lgkmcnt(0)
	s_barrier
	s_cbranch_scc0 .LBB21_1
.LBB21_4:                               ;   Parent Loop BB21_2 Depth=1
                                        ; =>  This Loop Header: Depth=2
                                        ;       Child Loop BB21_6 Depth 3
	s_mov_b32 s36, 0
	s_mov_b64 s[28:29], 0
	v_pk_mov_b32 v[4:5], v[0:1], v[0:1] op_sel:[0,1]
	s_branch .LBB21_6
.LBB21_5:                               ;   in Loop: Header=BB21_6 Depth=3
	s_or_b64 exec, exec, s[34:35]
	s_add_i32 s36, s36, 2
	v_cmp_eq_u32_e64 s[30:31], 8, s36
	v_add_u32_e32 v5, 0x200, v5
	s_or_b64 s[28:29], s[30:31], s[28:29]
	v_add_u32_e32 v4, 0x200, v4
	s_andn2_b64 exec, exec, s[28:29]
	s_cbranch_execz .LBB21_10
.LBB21_6:                               ;   Parent Loop BB21_2 Depth=1
                                        ;     Parent Loop BB21_4 Depth=2
                                        ; =>    This Inner Loop Header: Depth=3
	s_or_b32 s30, s36, 1
	v_cmp_le_u32_e64 s[30:31], s30, 7
	v_cmp_le_u32_e64 s[38:39], s36, 7
	s_and_saveexec_b64 s[34:35], s[38:39]
	s_cbranch_execz .LBB21_8
; %bb.7:                                ;   in Loop: Header=BB21_6 Depth=3
	v_lshlrev_b32_e32 v18, 2, v4
	ds_write_b32 v18, v6
.LBB21_8:                               ;   in Loop: Header=BB21_6 Depth=3
	s_or_b64 exec, exec, s[34:35]
	s_and_saveexec_b64 s[34:35], s[30:31]
	s_cbranch_execz .LBB21_5
; %bb.9:                                ;   in Loop: Header=BB21_6 Depth=3
	v_lshlrev_b32_e32 v18, 2, v5
	ds_write_b32 v18, v6
	s_branch .LBB21_5
.LBB21_10:                              ;   in Loop: Header=BB21_4 Depth=2
	s_or_b64 exec, exec, s[28:29]
	s_sub_i32 s28, 28, s33
	v_lshlrev_b32_e32 v4, s28, v10
	v_lshrrev_b32_e32 v5, 20, v4
	v_and_or_b32 v5, v5, s26, v0
	v_alignbit_b32 v4, v5, v4, 31
	v_lshlrev_b32_e32 v5, 1, v4
	ds_read_u16 v4, v5
	v_lshlrev_b32_e32 v18, s28, v11
	v_lshrrev_b32_e32 v19, 20, v18
	v_and_or_b32 v19, v19, s26, v0
	v_alignbit_b32 v18, v19, v18, 31
	s_waitcnt lgkmcnt(0)
	v_add_u16_e32 v19, 1, v4
	ds_write_b16 v5, v19
	v_lshlrev_b32_e32 v19, 1, v18
	ds_read_u16 v18, v19
	v_lshlrev_b32_e32 v20, s28, v12
	v_lshrrev_b32_e32 v21, 20, v20
	v_and_or_b32 v21, v21, s26, v0
	v_alignbit_b32 v20, v21, v20, 31
	s_waitcnt lgkmcnt(0)
	v_add_u16_e32 v22, 1, v18
	ds_write_b16 v19, v22
	;; [unrolled: 9-line block ×3, first 2 shown]
	v_lshlrev_b32_e32 v24, 1, v22
	ds_read_u16 v22, v24
	v_lshlrev_b32_e32 v23, s28, v14
	s_waitcnt lgkmcnt(0)
	v_add_u16_e32 v25, 1, v22
	ds_write_b16 v24, v25
	v_lshrrev_b32_e32 v25, 20, v23
	v_and_or_b32 v25, v25, s26, v0
	v_alignbit_b32 v23, v25, v23, 31
	v_lshlrev_b32_e32 v25, 1, v23
	ds_read_u16 v23, v25
	s_waitcnt lgkmcnt(0)
	v_add_u16_e32 v26, 1, v23
	ds_write_b16 v25, v26
	v_lshlrev_b32_e32 v26, s28, v15
	v_lshrrev_b32_e32 v27, 20, v26
	v_and_or_b32 v27, v27, s26, v0
	v_alignbit_b32 v26, v27, v26, 31
	v_lshlrev_b32_e32 v27, 1, v26
	ds_read_u16 v26, v27
	s_waitcnt lgkmcnt(0)
	v_add_u16_e32 v28, 1, v26
	ds_write_b16 v27, v28
	v_lshlrev_b32_e32 v28, s28, v16
	;; [unrolled: 9-line block ×3, first 2 shown]
	v_lshrrev_b32_e32 v31, 20, v29
	v_and_or_b32 v31, v31, s26, v0
	v_alignbit_b32 v29, v31, v29, 31
	v_lshlrev_b32_e32 v31, 1, v29
	ds_read_u16 v29, v31
	s_waitcnt lgkmcnt(0)
	v_add_u16_e32 v32, 1, v29
	ds_write_b16 v31, v32
	s_waitcnt lgkmcnt(0)
	s_barrier
	ds_read2_b32 v[32:33], v3 offset1:1
	ds_read2_b32 v[34:35], v3 offset0:2 offset1:3
	ds_read2_b32 v[36:37], v3 offset0:4 offset1:5
	;; [unrolled: 1-line block ×3, first 2 shown]
	s_waitcnt lgkmcnt(3)
	v_add_u32_e32 v32, v33, v32
	s_waitcnt lgkmcnt(2)
	v_add3_u32 v32, v32, v34, v35
	s_waitcnt lgkmcnt(1)
	v_add3_u32 v32, v32, v36, v37
	;; [unrolled: 2-line block ×3, first 2 shown]
	s_nop 1
	v_mov_b32_dpp v33, v32 row_shr:1 row_mask:0xf bank_mask:0xf
	v_cndmask_b32_e64 v33, v33, 0, s[8:9]
	v_add_u32_e32 v32, v33, v32
	s_nop 1
	v_mov_b32_dpp v33, v32 row_shr:2 row_mask:0xf bank_mask:0xf
	v_cndmask_b32_e64 v33, 0, v33, s[10:11]
	v_add_u32_e32 v32, v32, v33
	;; [unrolled: 4-line block ×4, first 2 shown]
	s_nop 1
	v_mov_b32_dpp v33, v32 row_bcast:15 row_mask:0xf bank_mask:0xf
	v_cndmask_b32_e64 v33, v33, 0, s[16:17]
	v_add_u32_e32 v32, v32, v33
	s_nop 1
	v_mov_b32_dpp v33, v32 row_bcast:31 row_mask:0xf bank_mask:0xf
	v_cndmask_b32_e64 v33, 0, v33, s[2:3]
	v_add_u32_e32 v32, v32, v33
	s_and_saveexec_b64 s[28:29], s[4:5]
	s_cbranch_execz .LBB21_12
; %bb.11:                               ;   in Loop: Header=BB21_4 Depth=2
	ds_write_b32 v8, v32 offset:8192
.LBB21_12:                              ;   in Loop: Header=BB21_4 Depth=2
	s_or_b64 exec, exec, s[28:29]
	s_waitcnt lgkmcnt(0)
	s_barrier
	s_and_saveexec_b64 s[28:29], vcc
	s_cbranch_execz .LBB21_14
; %bb.13:                               ;   in Loop: Header=BB21_4 Depth=2
	ds_read_b32 v33, v7 offset:8192
	s_waitcnt lgkmcnt(0)
	s_nop 0
	v_mov_b32_dpp v34, v33 row_shr:1 row_mask:0xf bank_mask:0xf
	v_cndmask_b32_e64 v34, v34, 0, s[18:19]
	v_add_u32_e32 v33, v34, v33
	s_nop 1
	v_mov_b32_dpp v34, v33 row_shr:2 row_mask:0xf bank_mask:0xf
	v_cndmask_b32_e64 v34, 0, v34, s[20:21]
	v_add_u32_e32 v33, v33, v34
	ds_write_b32 v7, v33 offset:8192
.LBB21_14:                              ;   in Loop: Header=BB21_4 Depth=2
	s_or_b64 exec, exec, s[28:29]
	v_mov_b32_e32 v33, 0
	s_waitcnt lgkmcnt(0)
	s_barrier
	s_and_saveexec_b64 s[28:29], s[0:1]
	s_cbranch_execz .LBB21_3
; %bb.15:                               ;   in Loop: Header=BB21_4 Depth=2
	ds_read_b32 v33, v8 offset:8188
	s_branch .LBB21_3
.LBB21_16:
	ds_read_u16 v0, v24
	ds_read_u16 v1, v21
	;; [unrolled: 1-line block ×8, first 2 shown]
	s_add_u32 s0, s22, s24
	s_waitcnt lgkmcnt(4)
	v_add_u32_sdwa v4, v5, v4 dst_sel:DWORD dst_unused:UNUSED_PAD src0_sel:DWORD src1_sel:WORD_0
	v_add_u32_sdwa v5, v3, v18 dst_sel:DWORD dst_unused:UNUSED_PAD src0_sel:DWORD src1_sel:WORD_0
	;; [unrolled: 1-line block ×4, first 2 shown]
	s_addc_u32 s1, s23, s25
	v_lshlrev_b32_e32 v0, 2, v2
	s_waitcnt lgkmcnt(0)
	v_add_u32_sdwa v8, v8, v23 dst_sel:DWORD dst_unused:UNUSED_PAD src0_sel:DWORD src1_sel:WORD_0
	v_add_u32_sdwa v9, v9, v26 dst_sel:DWORD dst_unused:UNUSED_PAD src0_sel:DWORD src1_sel:WORD_0
	;; [unrolled: 1-line block ×4, first 2 shown]
	global_store_dwordx4 v0, v[4:7], s[0:1]
	global_store_dwordx4 v0, v[8:11], s[0:1] offset:16
	s_endpgm
	.section	.rodata,"a",@progbits
	.p2align	6, 0x0
	.amdhsa_kernel _Z11rank_kernelIiLj4ELb0EL18RadixRankAlgorithm0ELj256ELj8ELj10EEvPKT_Pi
		.amdhsa_group_segment_fixed_size 8208
		.amdhsa_private_segment_fixed_size 0
		.amdhsa_kernarg_size 16
		.amdhsa_user_sgpr_count 6
		.amdhsa_user_sgpr_private_segment_buffer 1
		.amdhsa_user_sgpr_dispatch_ptr 0
		.amdhsa_user_sgpr_queue_ptr 0
		.amdhsa_user_sgpr_kernarg_segment_ptr 1
		.amdhsa_user_sgpr_dispatch_id 0
		.amdhsa_user_sgpr_flat_scratch_init 0
		.amdhsa_user_sgpr_kernarg_preload_length 0
		.amdhsa_user_sgpr_kernarg_preload_offset 0
		.amdhsa_user_sgpr_private_segment_size 0
		.amdhsa_uses_dynamic_stack 0
		.amdhsa_system_sgpr_private_segment_wavefront_offset 0
		.amdhsa_system_sgpr_workgroup_id_x 1
		.amdhsa_system_sgpr_workgroup_id_y 0
		.amdhsa_system_sgpr_workgroup_id_z 0
		.amdhsa_system_sgpr_workgroup_info 0
		.amdhsa_system_vgpr_workitem_id 0
		.amdhsa_next_free_vgpr 40
		.amdhsa_next_free_sgpr 40
		.amdhsa_accum_offset 40
		.amdhsa_reserve_vcc 1
		.amdhsa_reserve_flat_scratch 0
		.amdhsa_float_round_mode_32 0
		.amdhsa_float_round_mode_16_64 0
		.amdhsa_float_denorm_mode_32 3
		.amdhsa_float_denorm_mode_16_64 3
		.amdhsa_dx10_clamp 1
		.amdhsa_ieee_mode 1
		.amdhsa_fp16_overflow 0
		.amdhsa_tg_split 0
		.amdhsa_exception_fp_ieee_invalid_op 0
		.amdhsa_exception_fp_denorm_src 0
		.amdhsa_exception_fp_ieee_div_zero 0
		.amdhsa_exception_fp_ieee_overflow 0
		.amdhsa_exception_fp_ieee_underflow 0
		.amdhsa_exception_fp_ieee_inexact 0
		.amdhsa_exception_int_div_zero 0
	.end_amdhsa_kernel
	.section	.text._Z11rank_kernelIiLj4ELb0EL18RadixRankAlgorithm0ELj256ELj8ELj10EEvPKT_Pi,"axG",@progbits,_Z11rank_kernelIiLj4ELb0EL18RadixRankAlgorithm0ELj256ELj8ELj10EEvPKT_Pi,comdat
.Lfunc_end21:
	.size	_Z11rank_kernelIiLj4ELb0EL18RadixRankAlgorithm0ELj256ELj8ELj10EEvPKT_Pi, .Lfunc_end21-_Z11rank_kernelIiLj4ELb0EL18RadixRankAlgorithm0ELj256ELj8ELj10EEvPKT_Pi
                                        ; -- End function
	.section	.AMDGPU.csdata,"",@progbits
; Kernel info:
; codeLenInByte = 1608
; NumSgprs: 44
; NumVgprs: 40
; NumAgprs: 0
; TotalNumVgprs: 40
; ScratchSize: 0
; MemoryBound: 0
; FloatMode: 240
; IeeeMode: 1
; LDSByteSize: 8208 bytes/workgroup (compile time only)
; SGPRBlocks: 5
; VGPRBlocks: 4
; NumSGPRsForWavesPerEU: 44
; NumVGPRsForWavesPerEU: 40
; AccumOffset: 40
; Occupancy: 7
; WaveLimiterHint : 0
; COMPUTE_PGM_RSRC2:SCRATCH_EN: 0
; COMPUTE_PGM_RSRC2:USER_SGPR: 6
; COMPUTE_PGM_RSRC2:TRAP_HANDLER: 0
; COMPUTE_PGM_RSRC2:TGID_X_EN: 1
; COMPUTE_PGM_RSRC2:TGID_Y_EN: 0
; COMPUTE_PGM_RSRC2:TGID_Z_EN: 0
; COMPUTE_PGM_RSRC2:TIDIG_COMP_CNT: 0
; COMPUTE_PGM_RSRC3_GFX90A:ACCUM_OFFSET: 9
; COMPUTE_PGM_RSRC3_GFX90A:TG_SPLIT: 0
	.section	.text._Z11rank_kernelIiLj4ELb0EL18RadixRankAlgorithm1ELj256ELj8ELj10EEvPKT_Pi,"axG",@progbits,_Z11rank_kernelIiLj4ELb0EL18RadixRankAlgorithm1ELj256ELj8ELj10EEvPKT_Pi,comdat
	.protected	_Z11rank_kernelIiLj4ELb0EL18RadixRankAlgorithm1ELj256ELj8ELj10EEvPKT_Pi ; -- Begin function _Z11rank_kernelIiLj4ELb0EL18RadixRankAlgorithm1ELj256ELj8ELj10EEvPKT_Pi
	.globl	_Z11rank_kernelIiLj4ELb0EL18RadixRankAlgorithm1ELj256ELj8ELj10EEvPKT_Pi
	.p2align	8
	.type	_Z11rank_kernelIiLj4ELb0EL18RadixRankAlgorithm1ELj256ELj8ELj10EEvPKT_Pi,@function
_Z11rank_kernelIiLj4ELb0EL18RadixRankAlgorithm1ELj256ELj8ELj10EEvPKT_Pi: ; @_Z11rank_kernelIiLj4ELb0EL18RadixRankAlgorithm1ELj256ELj8ELj10EEvPKT_Pi
; %bb.0:
	s_load_dwordx4 s[20:23], s[4:5], 0x0
	s_lshl_b32 s26, s6, 11
	s_mov_b32 s27, 0
	s_lshl_b64 s[24:25], s[26:27], 2
	v_lshlrev_b32_e32 v3, 5, v0
	s_waitcnt lgkmcnt(0)
	s_add_u32 s0, s20, s24
	s_addc_u32 s1, s21, s25
	global_load_dwordx4 v[4:7], v3, s[0:1]
	global_load_dwordx4 v[8:11], v3, s[0:1] offset:16
	v_mbcnt_lo_u32_b32 v1, -1, 0
	v_mbcnt_hi_u32_b32 v15, -1, v1
	v_add_u32_e32 v19, -1, v15
	v_and_b32_e32 v20, 64, v15
	v_or_b32_e32 v14, 63, v0
	v_lshrrev_b32_e32 v16, 4, v0
	v_cmp_lt_i32_e64 s[18:19], v19, v20
	v_and_b32_e32 v17, 15, v15
	v_and_b32_e32 v18, 16, v15
	v_cmp_lt_u32_e64 s[2:3], 31, v15
	v_cmp_eq_u32_e64 s[4:5], v14, v0
	v_cmp_eq_u32_e64 s[6:7], 0, v15
	v_and_b32_e32 v14, 12, v16
	v_and_b32_e32 v16, 3, v15
	v_cndmask_b32_e64 v15, v19, v15, s[18:19]
	v_mov_b32_e32 v12, 0
	v_lshlrev_b32_e32 v2, 3, v0
	v_cmp_gt_u32_e32 vcc, 4, v0
	v_cmp_lt_u32_e64 s[0:1], 63, v0
	v_lshlrev_b32_e32 v13, 2, v0
	v_or_b32_e32 v1, 0x100, v0
	v_cmp_eq_u32_e64 s[8:9], 0, v17
	v_cmp_lt_u32_e64 s[10:11], 1, v17
	v_cmp_lt_u32_e64 s[12:13], 3, v17
	;; [unrolled: 1-line block ×3, first 2 shown]
	v_cmp_eq_u32_e64 s[16:17], 0, v18
	v_cmp_eq_u32_e64 s[18:19], 0, v16
	v_cmp_lt_u32_e64 s[20:21], 1, v16
	v_lshlrev_b32_e32 v15, 2, v15
	s_movk_i32 s26, 0x700
	s_waitcnt vmcnt(1)
	v_xor_b32_e32 v16, 0x80000000, v4
	v_xor_b32_e32 v17, 0x80000000, v5
	;; [unrolled: 1-line block ×4, first 2 shown]
	s_waitcnt vmcnt(0)
	v_xor_b32_e32 v20, 0x80000000, v8
	v_xor_b32_e32 v21, 0x80000000, v9
	;; [unrolled: 1-line block ×4, first 2 shown]
	s_branch .LBB22_2
.LBB22_1:                               ;   in Loop: Header=BB22_2 Depth=1
	s_add_i32 s27, s27, 1
	s_cmp_eq_u32 s27, 10
	s_cbranch_scc1 .LBB22_16
.LBB22_2:                               ; =>This Loop Header: Depth=1
                                        ;     Child Loop BB22_4 Depth 2
                                        ;       Child Loop BB22_6 Depth 3
	s_mov_b32 s33, 0
	s_branch .LBB22_4
.LBB22_3:                               ;   in Loop: Header=BB22_4 Depth=2
	s_or_b64 exec, exec, s[28:29]
	s_waitcnt lgkmcnt(0)
	v_add_u32_e32 v7, v40, v7
	ds_bpermute_b32 v7, v15, v7
	ds_read_b32 v41, v12 offset:8204
	s_add_i32 s28, s33, 4
	s_cmp_lt_u32 s33, 28
	s_mov_b32 s33, s28
	s_waitcnt lgkmcnt(1)
	v_cndmask_b32_e64 v7, v7, v40, s[6:7]
	s_waitcnt lgkmcnt(0)
	v_lshl_add_u32 v7, v41, 16, v7
	v_add_u32_e32 v10, v7, v10
	v_add_u32_e32 v11, v10, v11
	ds_write2_b32 v3, v7, v10 offset1:1
	v_add_u32_e32 v7, v11, v8
	v_add_u32_e32 v8, v7, v9
	;; [unrolled: 1-line block ×4, first 2 shown]
	ds_write2_b32 v3, v11, v7 offset0:2 offset1:3
	v_add_u32_e32 v6, v5, v6
	ds_write2_b32 v3, v8, v4 offset0:4 offset1:5
	ds_write2_b32 v3, v5, v6 offset0:6 offset1:7
	s_waitcnt lgkmcnt(0)
	s_barrier
	s_cbranch_scc0 .LBB22_1
.LBB22_4:                               ;   Parent Loop BB22_2 Depth=1
                                        ; =>  This Loop Header: Depth=2
                                        ;       Child Loop BB22_6 Depth 3
	s_mov_b32 s36, 0
	s_mov_b64 s[28:29], 0
	v_pk_mov_b32 v[4:5], v[0:1], v[0:1] op_sel:[0,1]
	s_branch .LBB22_6
.LBB22_5:                               ;   in Loop: Header=BB22_6 Depth=3
	s_or_b64 exec, exec, s[34:35]
	s_add_i32 s36, s36, 2
	v_cmp_eq_u32_e64 s[30:31], 8, s36
	v_add_u32_e32 v5, 0x200, v5
	s_or_b64 s[28:29], s[30:31], s[28:29]
	v_add_u32_e32 v4, 0x200, v4
	s_andn2_b64 exec, exec, s[28:29]
	s_cbranch_execz .LBB22_10
.LBB22_6:                               ;   Parent Loop BB22_2 Depth=1
                                        ;     Parent Loop BB22_4 Depth=2
                                        ; =>    This Inner Loop Header: Depth=3
	s_or_b32 s30, s36, 1
	v_cmp_le_u32_e64 s[30:31], s30, 7
	v_cmp_le_u32_e64 s[38:39], s36, 7
	s_and_saveexec_b64 s[34:35], s[38:39]
	s_cbranch_execz .LBB22_8
; %bb.7:                                ;   in Loop: Header=BB22_6 Depth=3
	v_lshlrev_b32_e32 v6, 2, v4
	ds_write_b32 v6, v12
.LBB22_8:                               ;   in Loop: Header=BB22_6 Depth=3
	s_or_b64 exec, exec, s[34:35]
	s_and_saveexec_b64 s[34:35], s[30:31]
	s_cbranch_execz .LBB22_5
; %bb.9:                                ;   in Loop: Header=BB22_6 Depth=3
	v_lshlrev_b32_e32 v6, 2, v5
	ds_write_b32 v6, v12
	s_branch .LBB22_5
.LBB22_10:                              ;   in Loop: Header=BB22_4 Depth=2
	s_or_b64 exec, exec, s[28:29]
	s_sub_i32 s28, 28, s33
	v_lshlrev_b32_e32 v4, s28, v16
	v_lshrrev_b32_e32 v5, 20, v4
	v_and_or_b32 v5, v5, s26, v0
	v_alignbit_b32 v4, v5, v4, 31
	v_lshlrev_b32_e32 v25, 1, v4
	ds_read_u16 v24, v25
	v_lshlrev_b32_e32 v4, s28, v17
	v_lshrrev_b32_e32 v5, 20, v4
	v_and_or_b32 v5, v5, s26, v0
	v_alignbit_b32 v4, v5, v4, 31
	s_waitcnt lgkmcnt(0)
	v_add_u16_e32 v5, 1, v24
	ds_write_b16 v25, v5
	v_lshlrev_b32_e32 v27, 1, v4
	ds_read_u16 v26, v27
	v_lshlrev_b32_e32 v4, s28, v18
	v_lshrrev_b32_e32 v5, 20, v4
	v_and_or_b32 v5, v5, s26, v0
	v_alignbit_b32 v4, v5, v4, 31
	s_waitcnt lgkmcnt(0)
	v_add_u16_e32 v6, 1, v26
	ds_write_b16 v27, v6
	;; [unrolled: 9-line block ×3, first 2 shown]
	v_lshlrev_b32_e32 v32, 1, v4
	ds_read_u16 v30, v32
	v_lshlrev_b32_e32 v4, s28, v20
	s_waitcnt lgkmcnt(0)
	v_add_u16_e32 v5, 1, v30
	ds_write_b16 v32, v5
	v_lshrrev_b32_e32 v5, 20, v4
	v_and_or_b32 v5, v5, s26, v0
	v_alignbit_b32 v4, v5, v4, 31
	v_lshlrev_b32_e32 v33, 1, v4
	ds_read_u16 v31, v33
	s_waitcnt lgkmcnt(0)
	v_add_u16_e32 v4, 1, v31
	ds_write_b16 v33, v4
	v_lshlrev_b32_e32 v4, s28, v21
	v_lshrrev_b32_e32 v5, 20, v4
	v_and_or_b32 v5, v5, s26, v0
	v_alignbit_b32 v4, v5, v4, 31
	v_lshlrev_b32_e32 v35, 1, v4
	ds_read_u16 v34, v35
	s_waitcnt lgkmcnt(0)
	v_add_u16_e32 v4, 1, v34
	ds_write_b16 v35, v4
	v_lshlrev_b32_e32 v4, s28, v22
	;; [unrolled: 9-line block ×3, first 2 shown]
	v_lshrrev_b32_e32 v5, 20, v4
	v_and_or_b32 v5, v5, s26, v0
	v_alignbit_b32 v4, v5, v4, 31
	v_lshlrev_b32_e32 v39, 1, v4
	ds_read_u16 v37, v39
	s_waitcnt lgkmcnt(0)
	v_add_u16_e32 v4, 1, v37
	ds_write_b16 v39, v4
	s_waitcnt lgkmcnt(0)
	s_barrier
	ds_read2_b32 v[10:11], v3 offset1:1
	ds_read2_b32 v[8:9], v3 offset0:2 offset1:3
	ds_read2_b32 v[4:5], v3 offset0:4 offset1:5
	ds_read2_b32 v[6:7], v3 offset0:6 offset1:7
	s_waitcnt lgkmcnt(3)
	v_add_u32_e32 v40, v11, v10
	s_waitcnt lgkmcnt(2)
	v_add3_u32 v40, v40, v8, v9
	s_waitcnt lgkmcnt(1)
	v_add3_u32 v40, v40, v4, v5
	;; [unrolled: 2-line block ×3, first 2 shown]
	s_nop 1
	v_mov_b32_dpp v40, v7 row_shr:1 row_mask:0xf bank_mask:0xf
	v_cndmask_b32_e64 v40, v40, 0, s[8:9]
	v_add_u32_e32 v7, v40, v7
	s_nop 1
	v_mov_b32_dpp v40, v7 row_shr:2 row_mask:0xf bank_mask:0xf
	v_cndmask_b32_e64 v40, 0, v40, s[10:11]
	v_add_u32_e32 v7, v7, v40
	;; [unrolled: 4-line block ×4, first 2 shown]
	s_nop 1
	v_mov_b32_dpp v40, v7 row_bcast:15 row_mask:0xf bank_mask:0xf
	v_cndmask_b32_e64 v40, v40, 0, s[16:17]
	v_add_u32_e32 v7, v7, v40
	s_nop 1
	v_mov_b32_dpp v40, v7 row_bcast:31 row_mask:0xf bank_mask:0xf
	v_cndmask_b32_e64 v40, 0, v40, s[2:3]
	v_add_u32_e32 v7, v7, v40
	s_and_saveexec_b64 s[28:29], s[4:5]
	s_cbranch_execz .LBB22_12
; %bb.11:                               ;   in Loop: Header=BB22_4 Depth=2
	ds_write_b32 v14, v7 offset:8192
.LBB22_12:                              ;   in Loop: Header=BB22_4 Depth=2
	s_or_b64 exec, exec, s[28:29]
	s_waitcnt lgkmcnt(0)
	s_barrier
	s_and_saveexec_b64 s[28:29], vcc
	s_cbranch_execz .LBB22_14
; %bb.13:                               ;   in Loop: Header=BB22_4 Depth=2
	ds_read_b32 v40, v13 offset:8192
	s_waitcnt lgkmcnt(0)
	s_nop 0
	v_mov_b32_dpp v41, v40 row_shr:1 row_mask:0xf bank_mask:0xf
	v_cndmask_b32_e64 v41, v41, 0, s[18:19]
	v_add_u32_e32 v40, v41, v40
	s_nop 1
	v_mov_b32_dpp v41, v40 row_shr:2 row_mask:0xf bank_mask:0xf
	v_cndmask_b32_e64 v41, 0, v41, s[20:21]
	v_add_u32_e32 v40, v40, v41
	ds_write_b32 v13, v40 offset:8192
.LBB22_14:                              ;   in Loop: Header=BB22_4 Depth=2
	s_or_b64 exec, exec, s[28:29]
	v_mov_b32_e32 v40, 0
	s_waitcnt lgkmcnt(0)
	s_barrier
	s_and_saveexec_b64 s[28:29], s[0:1]
	s_cbranch_execz .LBB22_3
; %bb.15:                               ;   in Loop: Header=BB22_4 Depth=2
	ds_read_b32 v40, v14 offset:8188
	s_branch .LBB22_3
.LBB22_16:
	ds_read_u16 v0, v32
	ds_read_u16 v1, v29
	;; [unrolled: 1-line block ×8, first 2 shown]
	s_add_u32 s0, s22, s24
	s_waitcnt lgkmcnt(4)
	v_add_u32_sdwa v4, v4, v24 dst_sel:DWORD dst_unused:UNUSED_PAD src0_sel:DWORD src1_sel:WORD_0
	v_add_u32_sdwa v5, v3, v26 dst_sel:DWORD dst_unused:UNUSED_PAD src0_sel:DWORD src1_sel:WORD_0
	;; [unrolled: 1-line block ×4, first 2 shown]
	s_addc_u32 s1, s23, s25
	v_lshlrev_b32_e32 v0, 2, v2
	s_waitcnt lgkmcnt(0)
	v_add_u32_sdwa v8, v8, v31 dst_sel:DWORD dst_unused:UNUSED_PAD src0_sel:DWORD src1_sel:WORD_0
	v_add_u32_sdwa v9, v9, v34 dst_sel:DWORD dst_unused:UNUSED_PAD src0_sel:DWORD src1_sel:WORD_0
	v_add_u32_sdwa v10, v10, v36 dst_sel:DWORD dst_unused:UNUSED_PAD src0_sel:DWORD src1_sel:WORD_0
	v_add_u32_sdwa v11, v11, v37 dst_sel:DWORD dst_unused:UNUSED_PAD src0_sel:DWORD src1_sel:WORD_0
	global_store_dwordx4 v0, v[4:7], s[0:1]
	global_store_dwordx4 v0, v[8:11], s[0:1] offset:16
	s_endpgm
	.section	.rodata,"a",@progbits
	.p2align	6, 0x0
	.amdhsa_kernel _Z11rank_kernelIiLj4ELb0EL18RadixRankAlgorithm1ELj256ELj8ELj10EEvPKT_Pi
		.amdhsa_group_segment_fixed_size 8208
		.amdhsa_private_segment_fixed_size 0
		.amdhsa_kernarg_size 16
		.amdhsa_user_sgpr_count 6
		.amdhsa_user_sgpr_private_segment_buffer 1
		.amdhsa_user_sgpr_dispatch_ptr 0
		.amdhsa_user_sgpr_queue_ptr 0
		.amdhsa_user_sgpr_kernarg_segment_ptr 1
		.amdhsa_user_sgpr_dispatch_id 0
		.amdhsa_user_sgpr_flat_scratch_init 0
		.amdhsa_user_sgpr_kernarg_preload_length 0
		.amdhsa_user_sgpr_kernarg_preload_offset 0
		.amdhsa_user_sgpr_private_segment_size 0
		.amdhsa_uses_dynamic_stack 0
		.amdhsa_system_sgpr_private_segment_wavefront_offset 0
		.amdhsa_system_sgpr_workgroup_id_x 1
		.amdhsa_system_sgpr_workgroup_id_y 0
		.amdhsa_system_sgpr_workgroup_id_z 0
		.amdhsa_system_sgpr_workgroup_info 0
		.amdhsa_system_vgpr_workitem_id 0
		.amdhsa_next_free_vgpr 42
		.amdhsa_next_free_sgpr 40
		.amdhsa_accum_offset 44
		.amdhsa_reserve_vcc 1
		.amdhsa_reserve_flat_scratch 0
		.amdhsa_float_round_mode_32 0
		.amdhsa_float_round_mode_16_64 0
		.amdhsa_float_denorm_mode_32 3
		.amdhsa_float_denorm_mode_16_64 3
		.amdhsa_dx10_clamp 1
		.amdhsa_ieee_mode 1
		.amdhsa_fp16_overflow 0
		.amdhsa_tg_split 0
		.amdhsa_exception_fp_ieee_invalid_op 0
		.amdhsa_exception_fp_denorm_src 0
		.amdhsa_exception_fp_ieee_div_zero 0
		.amdhsa_exception_fp_ieee_overflow 0
		.amdhsa_exception_fp_ieee_underflow 0
		.amdhsa_exception_fp_ieee_inexact 0
		.amdhsa_exception_int_div_zero 0
	.end_amdhsa_kernel
	.section	.text._Z11rank_kernelIiLj4ELb0EL18RadixRankAlgorithm1ELj256ELj8ELj10EEvPKT_Pi,"axG",@progbits,_Z11rank_kernelIiLj4ELb0EL18RadixRankAlgorithm1ELj256ELj8ELj10EEvPKT_Pi,comdat
.Lfunc_end22:
	.size	_Z11rank_kernelIiLj4ELb0EL18RadixRankAlgorithm1ELj256ELj8ELj10EEvPKT_Pi, .Lfunc_end22-_Z11rank_kernelIiLj4ELb0EL18RadixRankAlgorithm1ELj256ELj8ELj10EEvPKT_Pi
                                        ; -- End function
	.section	.AMDGPU.csdata,"",@progbits
; Kernel info:
; codeLenInByte = 1560
; NumSgprs: 44
; NumVgprs: 42
; NumAgprs: 0
; TotalNumVgprs: 42
; ScratchSize: 0
; MemoryBound: 0
; FloatMode: 240
; IeeeMode: 1
; LDSByteSize: 8208 bytes/workgroup (compile time only)
; SGPRBlocks: 5
; VGPRBlocks: 5
; NumSGPRsForWavesPerEU: 44
; NumVGPRsForWavesPerEU: 42
; AccumOffset: 44
; Occupancy: 7
; WaveLimiterHint : 0
; COMPUTE_PGM_RSRC2:SCRATCH_EN: 0
; COMPUTE_PGM_RSRC2:USER_SGPR: 6
; COMPUTE_PGM_RSRC2:TRAP_HANDLER: 0
; COMPUTE_PGM_RSRC2:TGID_X_EN: 1
; COMPUTE_PGM_RSRC2:TGID_Y_EN: 0
; COMPUTE_PGM_RSRC2:TGID_Z_EN: 0
; COMPUTE_PGM_RSRC2:TIDIG_COMP_CNT: 0
; COMPUTE_PGM_RSRC3_GFX90A:ACCUM_OFFSET: 10
; COMPUTE_PGM_RSRC3_GFX90A:TG_SPLIT: 0
	.section	.text._Z11rank_kernelIiLj4ELb0EL18RadixRankAlgorithm2ELj256ELj8ELj10EEvPKT_Pi,"axG",@progbits,_Z11rank_kernelIiLj4ELb0EL18RadixRankAlgorithm2ELj256ELj8ELj10EEvPKT_Pi,comdat
	.protected	_Z11rank_kernelIiLj4ELb0EL18RadixRankAlgorithm2ELj256ELj8ELj10EEvPKT_Pi ; -- Begin function _Z11rank_kernelIiLj4ELb0EL18RadixRankAlgorithm2ELj256ELj8ELj10EEvPKT_Pi
	.globl	_Z11rank_kernelIiLj4ELb0EL18RadixRankAlgorithm2ELj256ELj8ELj10EEvPKT_Pi
	.p2align	8
	.type	_Z11rank_kernelIiLj4ELb0EL18RadixRankAlgorithm2ELj256ELj8ELj10EEvPKT_Pi,@function
_Z11rank_kernelIiLj4ELb0EL18RadixRankAlgorithm2ELj256ELj8ELj10EEvPKT_Pi: ; @_Z11rank_kernelIiLj4ELb0EL18RadixRankAlgorithm2ELj256ELj8ELj10EEvPKT_Pi
; %bb.0:
	s_load_dwordx4 s[24:27], s[4:5], 0x0
	s_load_dword s22, s[4:5], 0x1c
	s_lshl_b32 s30, s6, 11
	s_mov_b32 s31, 0
	s_lshl_b64 s[28:29], s[30:31], 2
	s_waitcnt lgkmcnt(0)
	s_add_u32 s0, s24, s28
	v_and_b32_e32 v4, 0x3ff, v0
	s_addc_u32 s1, s25, s29
	v_lshlrev_b32_e32 v1, 5, v4
	global_load_dwordx4 v[10:13], v1, s[0:1]
	global_load_dwordx4 v[14:17], v1, s[0:1] offset:16
	v_mbcnt_lo_u32_b32 v1, -1, 0
	v_mbcnt_hi_u32_b32 v6, -1, v1
	v_bfe_u32 v3, v0, 10, 10
	v_bfe_u32 v5, v0, 20, 10
	v_add_u32_e32 v18, -1, v6
	v_and_b32_e32 v19, 64, v6
	s_lshr_b32 s23, s22, 16
	v_and_b32_e32 v7, 15, v6
	v_or_b32_e32 v9, 63, v4
	v_lshrrev_b32_e32 v20, 4, v4
	v_cmp_lt_i32_e64 s[18:19], v18, v19
	s_and_b32 s22, s22, 0xffff
	v_mad_u32_u24 v3, v5, s23, v3
	v_lshlrev_b32_e32 v0, 3, v4
	v_lshlrev_b32_e32 v1, 2, v4
	v_and_b32_e32 v8, 16, v6
	v_cmp_lt_u32_e32 vcc, 31, v6
	v_cmp_gt_u32_e64 s[0:1], 4, v4
	v_cmp_lt_u32_e64 s[2:3], 63, v4
	v_cmp_eq_u32_e64 s[4:5], 0, v6
	v_and_b32_e32 v21, 3, v6
	v_cmp_eq_u32_e64 s[6:7], 0, v7
	v_cmp_lt_u32_e64 s[8:9], 1, v7
	v_cmp_lt_u32_e64 s[10:11], 3, v7
	;; [unrolled: 1-line block ×3, first 2 shown]
	v_cmp_eq_u32_e64 s[16:17], v9, v4
	v_cndmask_b32_e64 v7, v18, v6, s[18:19]
	v_and_b32_e32 v6, 12, v20
	v_mad_u64_u32 v[4:5], s[22:23], v3, s22, v[4:5]
	v_mov_b32_e32 v2, 0
	v_cmp_eq_u32_e64 s[14:15], 0, v8
	v_cmp_eq_u32_e64 s[18:19], 0, v21
	v_cmp_lt_u32_e64 s[20:21], 1, v21
	v_lshlrev_b32_e32 v7, 2, v7
	v_lshrrev_b32_e32 v8, 6, v4
	s_waitcnt vmcnt(1)
	v_xor_b32_e32 v9, 0x80000000, v10
	v_xor_b32_e32 v10, 0x80000000, v11
	;; [unrolled: 1-line block ×4, first 2 shown]
	s_waitcnt vmcnt(0)
	v_xor_b32_e32 v13, 0x80000000, v14
	v_xor_b32_e32 v14, 0x80000000, v15
	;; [unrolled: 1-line block ×4, first 2 shown]
	v_add_u32_e32 v17, -4, v6
	s_branch .LBB23_2
.LBB23_1:                               ;   in Loop: Header=BB23_2 Depth=1
	s_add_i32 s31, s31, 1
	s_cmp_eq_u32 s31, 10
	s_cbranch_scc1 .LBB23_26
.LBB23_2:                               ; =>This Loop Header: Depth=1
                                        ;     Child Loop BB23_4 Depth 2
	s_mov_b32 s30, -4
	s_mov_b32 s33, 28
	s_branch .LBB23_4
.LBB23_3:                               ;   in Loop: Header=BB23_4 Depth=2
	s_or_b64 exec, exec, s[22:23]
	s_waitcnt lgkmcnt(0)
	v_add_u32_e32 v4, v5, v4
	ds_bpermute_b32 v4, v7, v4
	s_add_i32 s33, s33, -4
	s_add_i32 s30, s30, 4
	s_cmp_lt_u32 s30, 28
	s_waitcnt lgkmcnt(0)
	v_cndmask_b32_e64 v4, v4, v5, s[4:5]
	ds_write_b32 v1, v4 offset:16
	s_waitcnt lgkmcnt(0)
	s_barrier
	s_cbranch_scc0 .LBB23_1
.LBB23_4:                               ;   Parent Loop BB23_2 Depth=1
                                        ; =>  This Inner Loop Header: Depth=2
	v_lshlrev_b32_e32 v4, s33, v9
	v_lshrrev_b32_e32 v5, 28, v4
	v_mad_u32_u24 v3, v5, 5, v8
	v_lshl_add_u32 v18, v3, 2, 16
	v_bfe_u32 v3, v4, 28, 1
	v_add_co_u32_e64 v19, s[22:23], -1, v3
	v_addc_co_u32_e64 v20, s[22:23], 0, -1, s[22:23]
	v_cmp_ne_u32_e64 s[22:23], 0, v3
	v_xor_b32_e32 v3, s23, v20
	v_and_b32_e32 v20, exec_hi, v3
	v_lshlrev_b32_e32 v3, 30, v5
	v_xor_b32_e32 v19, s22, v19
	v_cmp_gt_i64_e64 s[22:23], 0, v[2:3]
	v_not_b32_e32 v3, v3
	v_ashrrev_i32_e32 v3, 31, v3
	v_and_b32_e32 v19, exec_lo, v19
	v_xor_b32_e32 v21, s23, v3
	v_xor_b32_e32 v3, s22, v3
	v_and_b32_e32 v19, v19, v3
	v_lshlrev_b32_e32 v3, 29, v5
	v_cmp_gt_i64_e64 s[22:23], 0, v[2:3]
	v_not_b32_e32 v3, v3
	v_ashrrev_i32_e32 v3, 31, v3
	v_xor_b32_e32 v5, s23, v3
	v_xor_b32_e32 v3, s22, v3
	v_and_b32_e32 v19, v19, v3
	v_and_b32_e32 v3, 0xf0000000, v4
	v_cmp_gt_i64_e64 s[22:23], 0, v[2:3]
	v_not_b32_e32 v3, v3
	v_and_b32_e32 v20, v20, v21
	v_ashrrev_i32_e32 v3, 31, v3
	v_and_b32_e32 v5, v20, v5
	v_xor_b32_e32 v4, s23, v3
	v_xor_b32_e32 v3, s22, v3
	v_and_b32_e32 v5, v5, v4
	v_and_b32_e32 v4, v19, v3
	v_mbcnt_lo_u32_b32 v3, v4, 0
	v_mbcnt_hi_u32_b32 v19, v5, v3
	v_cmp_eq_u32_e64 s[22:23], 0, v19
	v_cmp_ne_u64_e64 s[24:25], 0, v[4:5]
	s_and_b64 s[24:25], s[24:25], s[22:23]
	ds_write_b32 v1, v2 offset:16
	s_waitcnt lgkmcnt(0)
	s_barrier
	s_waitcnt lgkmcnt(0)
	; wave barrier
	s_and_saveexec_b64 s[22:23], s[24:25]
	s_cbranch_execz .LBB23_6
; %bb.5:                                ;   in Loop: Header=BB23_4 Depth=2
	v_bcnt_u32_b32 v3, v4, 0
	v_bcnt_u32_b32 v3, v5, v3
	ds_write_b32 v18, v3
.LBB23_6:                               ;   in Loop: Header=BB23_4 Depth=2
	s_or_b64 exec, exec, s[22:23]
	v_lshlrev_b32_e32 v4, s33, v10
	v_lshrrev_b32_e32 v5, 28, v4
	v_mul_u32_u24_e32 v3, 5, v5
	v_add_lshl_u32 v3, v8, v3, 2
	; wave barrier
	v_add_u32_e32 v21, 16, v3
	ds_read_b32 v20, v3 offset:16
	v_bfe_u32 v3, v4, 28, 1
	v_add_co_u32_e64 v22, s[22:23], -1, v3
	v_addc_co_u32_e64 v23, s[22:23], 0, -1, s[22:23]
	v_cmp_ne_u32_e64 s[22:23], 0, v3
	v_xor_b32_e32 v3, s23, v23
	v_and_b32_e32 v23, exec_hi, v3
	v_lshlrev_b32_e32 v3, 30, v5
	v_xor_b32_e32 v22, s22, v22
	v_cmp_gt_i64_e64 s[22:23], 0, v[2:3]
	v_not_b32_e32 v3, v3
	v_ashrrev_i32_e32 v3, 31, v3
	v_and_b32_e32 v22, exec_lo, v22
	v_xor_b32_e32 v24, s23, v3
	v_xor_b32_e32 v3, s22, v3
	v_and_b32_e32 v22, v22, v3
	v_lshlrev_b32_e32 v3, 29, v5
	v_cmp_gt_i64_e64 s[22:23], 0, v[2:3]
	v_not_b32_e32 v3, v3
	v_ashrrev_i32_e32 v3, 31, v3
	v_xor_b32_e32 v5, s23, v3
	v_xor_b32_e32 v3, s22, v3
	v_and_b32_e32 v22, v22, v3
	v_and_b32_e32 v3, 0xf0000000, v4
	v_cmp_gt_i64_e64 s[22:23], 0, v[2:3]
	v_not_b32_e32 v3, v3
	v_and_b32_e32 v23, v23, v24
	v_ashrrev_i32_e32 v3, 31, v3
	v_and_b32_e32 v5, v23, v5
	v_xor_b32_e32 v4, s23, v3
	v_xor_b32_e32 v3, s22, v3
	v_and_b32_e32 v5, v5, v4
	v_and_b32_e32 v4, v22, v3
	v_mbcnt_lo_u32_b32 v3, v4, 0
	v_mbcnt_hi_u32_b32 v22, v5, v3
	v_cmp_eq_u32_e64 s[22:23], 0, v22
	v_cmp_ne_u64_e64 s[24:25], 0, v[4:5]
	s_and_b64 s[24:25], s[24:25], s[22:23]
	; wave barrier
	s_and_saveexec_b64 s[22:23], s[24:25]
	s_cbranch_execz .LBB23_8
; %bb.7:                                ;   in Loop: Header=BB23_4 Depth=2
	v_bcnt_u32_b32 v3, v4, 0
	v_bcnt_u32_b32 v3, v5, v3
	s_waitcnt lgkmcnt(0)
	v_add_u32_e32 v3, v20, v3
	ds_write_b32 v21, v3
.LBB23_8:                               ;   in Loop: Header=BB23_4 Depth=2
	s_or_b64 exec, exec, s[22:23]
	v_lshlrev_b32_e32 v4, s33, v11
	v_lshrrev_b32_e32 v5, 28, v4
	v_mul_u32_u24_e32 v3, 5, v5
	v_add_lshl_u32 v3, v8, v3, 2
	; wave barrier
	v_add_u32_e32 v24, 16, v3
	ds_read_b32 v23, v3 offset:16
	v_bfe_u32 v3, v4, 28, 1
	v_add_co_u32_e64 v25, s[22:23], -1, v3
	v_addc_co_u32_e64 v26, s[22:23], 0, -1, s[22:23]
	v_cmp_ne_u32_e64 s[22:23], 0, v3
	v_xor_b32_e32 v3, s23, v26
	v_and_b32_e32 v26, exec_hi, v3
	v_lshlrev_b32_e32 v3, 30, v5
	v_xor_b32_e32 v25, s22, v25
	v_cmp_gt_i64_e64 s[22:23], 0, v[2:3]
	v_not_b32_e32 v3, v3
	v_ashrrev_i32_e32 v3, 31, v3
	v_and_b32_e32 v25, exec_lo, v25
	v_xor_b32_e32 v27, s23, v3
	v_xor_b32_e32 v3, s22, v3
	v_and_b32_e32 v25, v25, v3
	v_lshlrev_b32_e32 v3, 29, v5
	v_cmp_gt_i64_e64 s[22:23], 0, v[2:3]
	v_not_b32_e32 v3, v3
	v_ashrrev_i32_e32 v3, 31, v3
	v_xor_b32_e32 v5, s23, v3
	v_xor_b32_e32 v3, s22, v3
	v_and_b32_e32 v25, v25, v3
	v_and_b32_e32 v3, 0xf0000000, v4
	v_cmp_gt_i64_e64 s[22:23], 0, v[2:3]
	v_not_b32_e32 v3, v3
	v_and_b32_e32 v26, v26, v27
	v_ashrrev_i32_e32 v3, 31, v3
	v_and_b32_e32 v5, v26, v5
	v_xor_b32_e32 v4, s23, v3
	v_xor_b32_e32 v3, s22, v3
	v_and_b32_e32 v5, v5, v4
	v_and_b32_e32 v4, v25, v3
	v_mbcnt_lo_u32_b32 v3, v4, 0
	v_mbcnt_hi_u32_b32 v25, v5, v3
	v_cmp_eq_u32_e64 s[22:23], 0, v25
	v_cmp_ne_u64_e64 s[24:25], 0, v[4:5]
	s_and_b64 s[24:25], s[24:25], s[22:23]
	; wave barrier
	s_and_saveexec_b64 s[22:23], s[24:25]
	s_cbranch_execz .LBB23_10
; %bb.9:                                ;   in Loop: Header=BB23_4 Depth=2
	v_bcnt_u32_b32 v3, v4, 0
	v_bcnt_u32_b32 v3, v5, v3
	s_waitcnt lgkmcnt(0)
	v_add_u32_e32 v3, v23, v3
	ds_write_b32 v24, v3
.LBB23_10:                              ;   in Loop: Header=BB23_4 Depth=2
	s_or_b64 exec, exec, s[22:23]
	v_lshlrev_b32_e32 v4, s33, v12
	v_lshrrev_b32_e32 v5, 28, v4
	v_mul_u32_u24_e32 v3, 5, v5
	v_add_lshl_u32 v3, v8, v3, 2
	; wave barrier
	v_add_u32_e32 v27, 16, v3
	ds_read_b32 v26, v3 offset:16
	v_bfe_u32 v3, v4, 28, 1
	v_add_co_u32_e64 v28, s[22:23], -1, v3
	v_addc_co_u32_e64 v29, s[22:23], 0, -1, s[22:23]
	v_cmp_ne_u32_e64 s[22:23], 0, v3
	v_xor_b32_e32 v3, s23, v29
	v_and_b32_e32 v29, exec_hi, v3
	v_lshlrev_b32_e32 v3, 30, v5
	v_xor_b32_e32 v28, s22, v28
	v_cmp_gt_i64_e64 s[22:23], 0, v[2:3]
	v_not_b32_e32 v3, v3
	v_ashrrev_i32_e32 v3, 31, v3
	v_and_b32_e32 v28, exec_lo, v28
	v_xor_b32_e32 v30, s23, v3
	v_xor_b32_e32 v3, s22, v3
	v_and_b32_e32 v28, v28, v3
	v_lshlrev_b32_e32 v3, 29, v5
	v_cmp_gt_i64_e64 s[22:23], 0, v[2:3]
	v_not_b32_e32 v3, v3
	v_ashrrev_i32_e32 v3, 31, v3
	v_xor_b32_e32 v5, s23, v3
	v_xor_b32_e32 v3, s22, v3
	v_and_b32_e32 v28, v28, v3
	v_and_b32_e32 v3, 0xf0000000, v4
	v_cmp_gt_i64_e64 s[22:23], 0, v[2:3]
	v_not_b32_e32 v3, v3
	v_and_b32_e32 v29, v29, v30
	v_ashrrev_i32_e32 v3, 31, v3
	v_and_b32_e32 v5, v29, v5
	v_xor_b32_e32 v4, s23, v3
	v_xor_b32_e32 v3, s22, v3
	v_and_b32_e32 v5, v5, v4
	v_and_b32_e32 v4, v28, v3
	v_mbcnt_lo_u32_b32 v3, v4, 0
	v_mbcnt_hi_u32_b32 v28, v5, v3
	v_cmp_eq_u32_e64 s[22:23], 0, v28
	v_cmp_ne_u64_e64 s[24:25], 0, v[4:5]
	s_and_b64 s[24:25], s[24:25], s[22:23]
	; wave barrier
	s_and_saveexec_b64 s[22:23], s[24:25]
	s_cbranch_execz .LBB23_12
; %bb.11:                               ;   in Loop: Header=BB23_4 Depth=2
	v_bcnt_u32_b32 v3, v4, 0
	v_bcnt_u32_b32 v3, v5, v3
	s_waitcnt lgkmcnt(0)
	v_add_u32_e32 v3, v26, v3
	ds_write_b32 v27, v3
.LBB23_12:                              ;   in Loop: Header=BB23_4 Depth=2
	s_or_b64 exec, exec, s[22:23]
	v_lshlrev_b32_e32 v4, s33, v13
	v_lshrrev_b32_e32 v5, 28, v4
	v_mul_u32_u24_e32 v3, 5, v5
	v_add_lshl_u32 v3, v8, v3, 2
	; wave barrier
	v_add_u32_e32 v30, 16, v3
	ds_read_b32 v29, v3 offset:16
	v_bfe_u32 v3, v4, 28, 1
	v_add_co_u32_e64 v31, s[22:23], -1, v3
	v_addc_co_u32_e64 v32, s[22:23], 0, -1, s[22:23]
	v_cmp_ne_u32_e64 s[22:23], 0, v3
	v_xor_b32_e32 v3, s23, v32
	v_and_b32_e32 v32, exec_hi, v3
	v_lshlrev_b32_e32 v3, 30, v5
	v_xor_b32_e32 v31, s22, v31
	v_cmp_gt_i64_e64 s[22:23], 0, v[2:3]
	v_not_b32_e32 v3, v3
	v_ashrrev_i32_e32 v3, 31, v3
	v_and_b32_e32 v31, exec_lo, v31
	v_xor_b32_e32 v33, s23, v3
	v_xor_b32_e32 v3, s22, v3
	v_and_b32_e32 v31, v31, v3
	v_lshlrev_b32_e32 v3, 29, v5
	v_cmp_gt_i64_e64 s[22:23], 0, v[2:3]
	v_not_b32_e32 v3, v3
	v_ashrrev_i32_e32 v3, 31, v3
	v_xor_b32_e32 v5, s23, v3
	v_xor_b32_e32 v3, s22, v3
	v_and_b32_e32 v31, v31, v3
	v_and_b32_e32 v3, 0xf0000000, v4
	v_cmp_gt_i64_e64 s[22:23], 0, v[2:3]
	v_not_b32_e32 v3, v3
	v_and_b32_e32 v32, v32, v33
	v_ashrrev_i32_e32 v3, 31, v3
	v_and_b32_e32 v5, v32, v5
	v_xor_b32_e32 v4, s23, v3
	v_xor_b32_e32 v3, s22, v3
	v_and_b32_e32 v5, v5, v4
	v_and_b32_e32 v4, v31, v3
	v_mbcnt_lo_u32_b32 v3, v4, 0
	v_mbcnt_hi_u32_b32 v31, v5, v3
	v_cmp_eq_u32_e64 s[22:23], 0, v31
	v_cmp_ne_u64_e64 s[24:25], 0, v[4:5]
	s_and_b64 s[24:25], s[24:25], s[22:23]
	; wave barrier
	s_and_saveexec_b64 s[22:23], s[24:25]
	s_cbranch_execz .LBB23_14
; %bb.13:                               ;   in Loop: Header=BB23_4 Depth=2
	v_bcnt_u32_b32 v3, v4, 0
	v_bcnt_u32_b32 v3, v5, v3
	s_waitcnt lgkmcnt(0)
	v_add_u32_e32 v3, v29, v3
	ds_write_b32 v30, v3
.LBB23_14:                              ;   in Loop: Header=BB23_4 Depth=2
	;; [unrolled: 55-line block ×5, first 2 shown]
	s_or_b64 exec, exec, s[22:23]
	; wave barrier
	s_waitcnt lgkmcnt(0)
	s_barrier
	ds_read_b32 v4, v1 offset:16
	s_waitcnt lgkmcnt(0)
	s_nop 0
	v_mov_b32_dpp v5, v4 row_shr:1 row_mask:0xf bank_mask:0xf
	v_cndmask_b32_e64 v5, v5, 0, s[6:7]
	v_add_u32_e32 v4, v5, v4
	s_nop 1
	v_mov_b32_dpp v5, v4 row_shr:2 row_mask:0xf bank_mask:0xf
	v_cndmask_b32_e64 v5, 0, v5, s[8:9]
	v_add_u32_e32 v4, v4, v5
	;; [unrolled: 4-line block ×4, first 2 shown]
	s_nop 1
	v_mov_b32_dpp v5, v4 row_bcast:15 row_mask:0xf bank_mask:0xf
	v_cndmask_b32_e64 v5, v5, 0, s[14:15]
	v_add_u32_e32 v4, v4, v5
	s_nop 1
	v_mov_b32_dpp v5, v4 row_bcast:31 row_mask:0xf bank_mask:0xf
	v_cndmask_b32_e32 v5, 0, v5, vcc
	v_add_u32_e32 v4, v4, v5
	s_and_saveexec_b64 s[22:23], s[16:17]
	s_xor_b64 s[22:23], exec, s[22:23]
	s_cbranch_execz .LBB23_22
; %bb.21:                               ;   in Loop: Header=BB23_4 Depth=2
	ds_write_b32 v6, v4
.LBB23_22:                              ;   in Loop: Header=BB23_4 Depth=2
	s_or_b64 exec, exec, s[22:23]
	s_waitcnt lgkmcnt(0)
	s_barrier
	s_and_saveexec_b64 s[22:23], s[0:1]
	s_cbranch_execz .LBB23_24
; %bb.23:                               ;   in Loop: Header=BB23_4 Depth=2
	ds_read_b32 v5, v1
	s_waitcnt lgkmcnt(0)
	s_nop 0
	v_mov_b32_dpp v40, v5 row_shr:1 row_mask:0xf bank_mask:0xf
	v_cndmask_b32_e64 v40, v40, 0, s[18:19]
	v_add_u32_e32 v5, v40, v5
	s_nop 1
	v_mov_b32_dpp v40, v5 row_shr:2 row_mask:0xf bank_mask:0xf
	v_cndmask_b32_e64 v40, 0, v40, s[20:21]
	v_add_u32_e32 v5, v5, v40
	ds_write_b32 v1, v5
.LBB23_24:                              ;   in Loop: Header=BB23_4 Depth=2
	s_or_b64 exec, exec, s[22:23]
	v_mov_b32_e32 v5, 0
	s_waitcnt lgkmcnt(0)
	s_barrier
	s_and_saveexec_b64 s[22:23], s[2:3]
	s_cbranch_execz .LBB23_3
; %bb.25:                               ;   in Loop: Header=BB23_4 Depth=2
	ds_read_b32 v5, v17
	s_branch .LBB23_3
.LBB23_26:
	ds_read_b32 v2, v39
	ds_read_b32 v8, v36
	;; [unrolled: 1-line block ×8, first 2 shown]
	s_add_u32 s0, s26, s28
	s_addc_u32 s1, s27, s29
	v_lshlrev_b32_e32 v11, 2, v0
	s_waitcnt lgkmcnt(1)
	v_add3_u32 v5, v22, v20, v4
	s_waitcnt lgkmcnt(0)
	v_add_u32_e32 v4, v7, v19
	v_add3_u32 v7, v28, v26, v6
	v_add3_u32 v6, v25, v23, v10
	;; [unrolled: 1-line block ×6, first 2 shown]
	global_store_dwordx4 v11, v[4:7], s[0:1]
	global_store_dwordx4 v11, v[0:3], s[0:1] offset:16
	s_endpgm
	.section	.rodata,"a",@progbits
	.p2align	6, 0x0
	.amdhsa_kernel _Z11rank_kernelIiLj4ELb0EL18RadixRankAlgorithm2ELj256ELj8ELj10EEvPKT_Pi
		.amdhsa_group_segment_fixed_size 1040
		.amdhsa_private_segment_fixed_size 0
		.amdhsa_kernarg_size 272
		.amdhsa_user_sgpr_count 6
		.amdhsa_user_sgpr_private_segment_buffer 1
		.amdhsa_user_sgpr_dispatch_ptr 0
		.amdhsa_user_sgpr_queue_ptr 0
		.amdhsa_user_sgpr_kernarg_segment_ptr 1
		.amdhsa_user_sgpr_dispatch_id 0
		.amdhsa_user_sgpr_flat_scratch_init 0
		.amdhsa_user_sgpr_kernarg_preload_length 0
		.amdhsa_user_sgpr_kernarg_preload_offset 0
		.amdhsa_user_sgpr_private_segment_size 0
		.amdhsa_uses_dynamic_stack 0
		.amdhsa_system_sgpr_private_segment_wavefront_offset 0
		.amdhsa_system_sgpr_workgroup_id_x 1
		.amdhsa_system_sgpr_workgroup_id_y 0
		.amdhsa_system_sgpr_workgroup_id_z 0
		.amdhsa_system_sgpr_workgroup_info 0
		.amdhsa_system_vgpr_workitem_id 2
		.amdhsa_next_free_vgpr 43
		.amdhsa_next_free_sgpr 34
		.amdhsa_accum_offset 44
		.amdhsa_reserve_vcc 1
		.amdhsa_reserve_flat_scratch 0
		.amdhsa_float_round_mode_32 0
		.amdhsa_float_round_mode_16_64 0
		.amdhsa_float_denorm_mode_32 3
		.amdhsa_float_denorm_mode_16_64 3
		.amdhsa_dx10_clamp 1
		.amdhsa_ieee_mode 1
		.amdhsa_fp16_overflow 0
		.amdhsa_tg_split 0
		.amdhsa_exception_fp_ieee_invalid_op 0
		.amdhsa_exception_fp_denorm_src 0
		.amdhsa_exception_fp_ieee_div_zero 0
		.amdhsa_exception_fp_ieee_overflow 0
		.amdhsa_exception_fp_ieee_underflow 0
		.amdhsa_exception_fp_ieee_inexact 0
		.amdhsa_exception_int_div_zero 0
	.end_amdhsa_kernel
	.section	.text._Z11rank_kernelIiLj4ELb0EL18RadixRankAlgorithm2ELj256ELj8ELj10EEvPKT_Pi,"axG",@progbits,_Z11rank_kernelIiLj4ELb0EL18RadixRankAlgorithm2ELj256ELj8ELj10EEvPKT_Pi,comdat
.Lfunc_end23:
	.size	_Z11rank_kernelIiLj4ELb0EL18RadixRankAlgorithm2ELj256ELj8ELj10EEvPKT_Pi, .Lfunc_end23-_Z11rank_kernelIiLj4ELb0EL18RadixRankAlgorithm2ELj256ELj8ELj10EEvPKT_Pi
                                        ; -- End function
	.section	.AMDGPU.csdata,"",@progbits
; Kernel info:
; codeLenInByte = 3104
; NumSgprs: 38
; NumVgprs: 43
; NumAgprs: 0
; TotalNumVgprs: 43
; ScratchSize: 0
; MemoryBound: 0
; FloatMode: 240
; IeeeMode: 1
; LDSByteSize: 1040 bytes/workgroup (compile time only)
; SGPRBlocks: 4
; VGPRBlocks: 5
; NumSGPRsForWavesPerEU: 38
; NumVGPRsForWavesPerEU: 43
; AccumOffset: 44
; Occupancy: 8
; WaveLimiterHint : 0
; COMPUTE_PGM_RSRC2:SCRATCH_EN: 0
; COMPUTE_PGM_RSRC2:USER_SGPR: 6
; COMPUTE_PGM_RSRC2:TRAP_HANDLER: 0
; COMPUTE_PGM_RSRC2:TGID_X_EN: 1
; COMPUTE_PGM_RSRC2:TGID_Y_EN: 0
; COMPUTE_PGM_RSRC2:TGID_Z_EN: 0
; COMPUTE_PGM_RSRC2:TIDIG_COMP_CNT: 2
; COMPUTE_PGM_RSRC3_GFX90A:ACCUM_OFFSET: 10
; COMPUTE_PGM_RSRC3_GFX90A:TG_SPLIT: 0
	.section	.text._Z11rank_kernelIiLj4ELb0EL18RadixRankAlgorithm0ELj256ELj16ELj10EEvPKT_Pi,"axG",@progbits,_Z11rank_kernelIiLj4ELb0EL18RadixRankAlgorithm0ELj256ELj16ELj10EEvPKT_Pi,comdat
	.protected	_Z11rank_kernelIiLj4ELb0EL18RadixRankAlgorithm0ELj256ELj16ELj10EEvPKT_Pi ; -- Begin function _Z11rank_kernelIiLj4ELb0EL18RadixRankAlgorithm0ELj256ELj16ELj10EEvPKT_Pi
	.globl	_Z11rank_kernelIiLj4ELb0EL18RadixRankAlgorithm0ELj256ELj16ELj10EEvPKT_Pi
	.p2align	8
	.type	_Z11rank_kernelIiLj4ELb0EL18RadixRankAlgorithm0ELj256ELj16ELj10EEvPKT_Pi,@function
_Z11rank_kernelIiLj4ELb0EL18RadixRankAlgorithm0ELj256ELj16ELj10EEvPKT_Pi: ; @_Z11rank_kernelIiLj4ELb0EL18RadixRankAlgorithm0ELj256ELj16ELj10EEvPKT_Pi
; %bb.0:
	s_load_dwordx4 s[20:23], s[4:5], 0x0
	s_lshl_b32 s26, s6, 12
	s_mov_b32 s27, 0
	s_lshl_b64 s[24:25], s[26:27], 2
	v_lshlrev_b32_e32 v1, 6, v0
	s_waitcnt lgkmcnt(0)
	s_add_u32 s0, s20, s24
	s_addc_u32 s1, s21, s25
	global_load_dwordx4 v[10:13], v1, s[0:1]
	global_load_dwordx4 v[14:17], v1, s[0:1] offset:16
	global_load_dwordx4 v[18:21], v1, s[0:1] offset:32
	;; [unrolled: 1-line block ×3, first 2 shown]
	v_mbcnt_lo_u32_b32 v1, -1, 0
	v_mbcnt_hi_u32_b32 v4, -1, v1
	v_or_b32_e32 v5, 63, v0
	v_cmp_eq_u32_e64 s[4:5], v5, v0
	v_add_u32_e32 v5, -1, v4
	v_and_b32_e32 v27, 64, v4
	v_cmp_lt_i32_e64 s[18:19], v5, v27
	v_lshrrev_b32_e32 v8, 4, v0
	v_and_b32_e32 v9, 15, v4
	v_and_b32_e32 v26, 16, v4
	v_cmp_lt_u32_e64 s[2:3], 31, v4
	v_cmp_eq_u32_e64 s[6:7], 0, v4
	v_and_b32_e32 v28, 3, v4
	v_cndmask_b32_e64 v4, v5, v4, s[18:19]
	v_mov_b32_e32 v3, 0
	v_lshlrev_b32_e32 v2, 4, v0
	v_lshlrev_b32_e32 v6, 5, v0
	v_cmp_gt_u32_e32 vcc, 4, v0
	v_cmp_lt_u32_e64 s[0:1], 63, v0
	v_lshlrev_b32_e32 v7, 2, v0
	v_or_b32_e32 v1, 0x100, v0
	v_and_b32_e32 v8, 12, v8
	v_cmp_eq_u32_e64 s[8:9], 0, v9
	v_cmp_lt_u32_e64 s[10:11], 1, v9
	v_cmp_lt_u32_e64 s[12:13], 3, v9
	;; [unrolled: 1-line block ×3, first 2 shown]
	v_cmp_eq_u32_e64 s[16:17], 0, v26
	v_cmp_eq_u32_e64 s[18:19], 0, v28
	v_cmp_lt_u32_e64 s[20:21], 1, v28
	v_lshlrev_b32_e32 v9, 2, v4
	s_movk_i32 s26, 0x700
	s_waitcnt vmcnt(3)
	v_xor_b32_e32 v10, 0x80000000, v10
	v_xor_b32_e32 v11, 0x80000000, v11
	v_xor_b32_e32 v12, 0x80000000, v12
	v_xor_b32_e32 v13, 0x80000000, v13
	s_waitcnt vmcnt(2)
	v_xor_b32_e32 v14, 0x80000000, v14
	v_xor_b32_e32 v15, 0x80000000, v15
	v_xor_b32_e32 v16, 0x80000000, v16
	v_xor_b32_e32 v17, 0x80000000, v17
	;; [unrolled: 5-line block ×4, first 2 shown]
	s_branch .LBB24_2
.LBB24_1:                               ;   in Loop: Header=BB24_2 Depth=1
	s_add_i32 s27, s27, 1
	s_cmp_eq_u32 s27, 10
	s_cbranch_scc1 .LBB24_16
.LBB24_2:                               ; =>This Loop Header: Depth=1
                                        ;     Child Loop BB24_4 Depth 2
                                        ;       Child Loop BB24_6 Depth 3
	s_mov_b32 s33, 0
	s_branch .LBB24_4
.LBB24_3:                               ;   in Loop: Header=BB24_4 Depth=2
	s_or_b64 exec, exec, s[28:29]
	s_waitcnt lgkmcnt(0)
	v_add_u32_e32 v56, v57, v56
	ds_bpermute_b32 v56, v9, v56
	ds_read_b32 v58, v3 offset:8204
	s_add_i32 s28, s33, 4
	s_cmp_lt_u32 s33, 28
	s_mov_b32 s33, s28
	s_waitcnt lgkmcnt(1)
	v_cndmask_b32_e64 v59, v56, v57, s[6:7]
	ds_read2_b32 v[56:57], v6 offset1:1
	s_waitcnt lgkmcnt(1)
	v_lshl_add_u32 v62, v58, 16, v59
	ds_read2_b32 v[58:59], v6 offset0:2 offset1:3
	ds_read2_b32 v[60:61], v6 offset0:4 offset1:5
	ds_read_b32 v63, v6 offset:24
	s_waitcnt lgkmcnt(3)
	v_add_u32_e32 v56, v62, v56
	ds_write2_b32 v6, v62, v56 offset1:1
	v_add_u32_e32 v56, v57, v56
	s_waitcnt lgkmcnt(3)
	v_add_u32_e32 v57, v58, v56
	ds_write2_b32 v6, v56, v57 offset0:2 offset1:3
	v_add_u32_e32 v56, v59, v57
	s_waitcnt lgkmcnt(3)
	v_add_u32_e32 v57, v60, v56
	ds_write2_b32 v6, v56, v57 offset0:4 offset1:5
	;; [unrolled: 4-line block ×3, first 2 shown]
	s_waitcnt lgkmcnt(0)
	s_barrier
	s_cbranch_scc0 .LBB24_1
.LBB24_4:                               ;   Parent Loop BB24_2 Depth=1
                                        ; =>  This Loop Header: Depth=2
                                        ;       Child Loop BB24_6 Depth 3
	s_mov_b32 s36, 0
	s_mov_b64 s[28:29], 0
	v_pk_mov_b32 v[4:5], v[0:1], v[0:1] op_sel:[0,1]
	s_branch .LBB24_6
.LBB24_5:                               ;   in Loop: Header=BB24_6 Depth=3
	s_or_b64 exec, exec, s[34:35]
	s_add_i32 s36, s36, 2
	v_cmp_eq_u32_e64 s[30:31], 8, s36
	v_add_u32_e32 v5, 0x200, v5
	s_or_b64 s[28:29], s[30:31], s[28:29]
	v_add_u32_e32 v4, 0x200, v4
	s_andn2_b64 exec, exec, s[28:29]
	s_cbranch_execz .LBB24_10
.LBB24_6:                               ;   Parent Loop BB24_2 Depth=1
                                        ;     Parent Loop BB24_4 Depth=2
                                        ; =>    This Inner Loop Header: Depth=3
	s_or_b32 s30, s36, 1
	v_cmp_le_u32_e64 s[30:31], s30, 7
	v_cmp_le_u32_e64 s[38:39], s36, 7
	s_and_saveexec_b64 s[34:35], s[38:39]
	s_cbranch_execz .LBB24_8
; %bb.7:                                ;   in Loop: Header=BB24_6 Depth=3
	v_lshlrev_b32_e32 v26, 2, v4
	ds_write_b32 v26, v3
.LBB24_8:                               ;   in Loop: Header=BB24_6 Depth=3
	s_or_b64 exec, exec, s[34:35]
	s_and_saveexec_b64 s[34:35], s[30:31]
	s_cbranch_execz .LBB24_5
; %bb.9:                                ;   in Loop: Header=BB24_6 Depth=3
	v_lshlrev_b32_e32 v26, 2, v5
	ds_write_b32 v26, v3
	s_branch .LBB24_5
.LBB24_10:                              ;   in Loop: Header=BB24_4 Depth=2
	s_or_b64 exec, exec, s[28:29]
	s_sub_i32 s28, 28, s33
	v_lshlrev_b32_e32 v4, s28, v10
	v_lshrrev_b32_e32 v5, 20, v4
	v_and_or_b32 v5, v5, s26, v0
	v_alignbit_b32 v4, v5, v4, 31
	v_lshlrev_b32_e32 v26, 1, v4
	ds_read_u16 v4, v26
	v_lshlrev_b32_e32 v5, s28, v11
	v_lshrrev_b32_e32 v27, 20, v5
	v_and_or_b32 v27, v27, s26, v0
	v_alignbit_b32 v5, v27, v5, 31
	s_waitcnt lgkmcnt(0)
	v_add_u16_e32 v27, 1, v4
	ds_write_b16 v26, v27
	v_lshlrev_b32_e32 v28, 1, v5
	ds_read_u16 v5, v28
	v_lshlrev_b32_e32 v27, s28, v12
	v_lshrrev_b32_e32 v29, 20, v27
	v_and_or_b32 v29, v29, s26, v0
	v_alignbit_b32 v27, v29, v27, 31
	s_waitcnt lgkmcnt(0)
	v_add_u16_e32 v30, 1, v5
	ds_write_b16 v28, v30
	;; [unrolled: 9-line block ×3, first 2 shown]
	v_lshlrev_b32_e32 v32, 1, v29
	ds_read_u16 v29, v32
	v_lshlrev_b32_e32 v31, s28, v14
	s_waitcnt lgkmcnt(0)
	v_add_u16_e32 v33, 1, v29
	ds_write_b16 v32, v33
	v_lshrrev_b32_e32 v33, 20, v31
	v_and_or_b32 v33, v33, s26, v0
	v_alignbit_b32 v31, v33, v31, 31
	v_lshlrev_b32_e32 v34, 1, v31
	ds_read_u16 v31, v34
	s_waitcnt lgkmcnt(0)
	v_add_u16_e32 v33, 1, v31
	ds_write_b16 v34, v33
	v_lshlrev_b32_e32 v33, s28, v15
	v_lshrrev_b32_e32 v35, 20, v33
	v_and_or_b32 v35, v35, s26, v0
	v_alignbit_b32 v33, v35, v33, 31
	v_lshlrev_b32_e32 v36, 1, v33
	ds_read_u16 v33, v36
	s_waitcnt lgkmcnt(0)
	v_add_u16_e32 v35, 1, v33
	ds_write_b16 v36, v35
	v_lshlrev_b32_e32 v35, s28, v16
	;; [unrolled: 9-line block ×11, first 2 shown]
	v_lshrrev_b32_e32 v55, 20, v53
	v_and_or_b32 v55, v55, s26, v0
	v_alignbit_b32 v53, v55, v53, 31
	v_lshlrev_b32_e32 v55, 1, v53
	ds_read_u16 v53, v55
	s_waitcnt lgkmcnt(0)
	v_add_u16_e32 v56, 1, v53
	ds_write_b16 v55, v56
	s_waitcnt lgkmcnt(0)
	s_barrier
	ds_read2_b32 v[56:57], v6 offset1:1
	ds_read2_b32 v[58:59], v6 offset0:2 offset1:3
	ds_read2_b32 v[60:61], v6 offset0:4 offset1:5
	;; [unrolled: 1-line block ×3, first 2 shown]
	s_waitcnt lgkmcnt(3)
	v_add_u32_e32 v56, v57, v56
	s_waitcnt lgkmcnt(2)
	v_add3_u32 v56, v56, v58, v59
	s_waitcnt lgkmcnt(1)
	v_add3_u32 v56, v56, v60, v61
	;; [unrolled: 2-line block ×3, first 2 shown]
	s_nop 1
	v_mov_b32_dpp v57, v56 row_shr:1 row_mask:0xf bank_mask:0xf
	v_cndmask_b32_e64 v57, v57, 0, s[8:9]
	v_add_u32_e32 v56, v57, v56
	s_nop 1
	v_mov_b32_dpp v57, v56 row_shr:2 row_mask:0xf bank_mask:0xf
	v_cndmask_b32_e64 v57, 0, v57, s[10:11]
	v_add_u32_e32 v56, v56, v57
	;; [unrolled: 4-line block ×4, first 2 shown]
	s_nop 1
	v_mov_b32_dpp v57, v56 row_bcast:15 row_mask:0xf bank_mask:0xf
	v_cndmask_b32_e64 v57, v57, 0, s[16:17]
	v_add_u32_e32 v56, v56, v57
	s_nop 1
	v_mov_b32_dpp v57, v56 row_bcast:31 row_mask:0xf bank_mask:0xf
	v_cndmask_b32_e64 v57, 0, v57, s[2:3]
	v_add_u32_e32 v56, v56, v57
	s_and_saveexec_b64 s[28:29], s[4:5]
	s_cbranch_execz .LBB24_12
; %bb.11:                               ;   in Loop: Header=BB24_4 Depth=2
	ds_write_b32 v8, v56 offset:8192
.LBB24_12:                              ;   in Loop: Header=BB24_4 Depth=2
	s_or_b64 exec, exec, s[28:29]
	s_waitcnt lgkmcnt(0)
	s_barrier
	s_and_saveexec_b64 s[28:29], vcc
	s_cbranch_execz .LBB24_14
; %bb.13:                               ;   in Loop: Header=BB24_4 Depth=2
	ds_read_b32 v57, v7 offset:8192
	s_waitcnt lgkmcnt(0)
	s_nop 0
	v_mov_b32_dpp v58, v57 row_shr:1 row_mask:0xf bank_mask:0xf
	v_cndmask_b32_e64 v58, v58, 0, s[18:19]
	v_add_u32_e32 v57, v58, v57
	s_nop 1
	v_mov_b32_dpp v58, v57 row_shr:2 row_mask:0xf bank_mask:0xf
	v_cndmask_b32_e64 v58, 0, v58, s[20:21]
	v_add_u32_e32 v57, v57, v58
	ds_write_b32 v7, v57 offset:8192
.LBB24_14:                              ;   in Loop: Header=BB24_4 Depth=2
	s_or_b64 exec, exec, s[28:29]
	v_mov_b32_e32 v57, 0
	s_waitcnt lgkmcnt(0)
	s_barrier
	s_and_saveexec_b64 s[28:29], s[0:1]
	s_cbranch_execz .LBB24_3
; %bb.15:                               ;   in Loop: Header=BB24_4 Depth=2
	ds_read_b32 v57, v8 offset:8188
	s_branch .LBB24_3
.LBB24_16:
	ds_read_u16 v0, v55
	ds_read_u16 v1, v54
	;; [unrolled: 1-line block ×16, first 2 shown]
	s_add_u32 s0, s22, s24
	s_waitcnt lgkmcnt(14)
	v_add_u32_sdwa v9, v0, v53 dst_sel:DWORD dst_unused:UNUSED_PAD src0_sel:DWORD src1_sel:WORD_0
	s_waitcnt lgkmcnt(11)
	v_add_u32_sdwa v13, v10, v45 dst_sel:DWORD dst_unused:UNUSED_PAD src0_sel:DWORD src1_sel:WORD_0
	;; [unrolled: 2-line block ×13, first 2 shown]
	s_addc_u32 s1, s23, s25
	v_lshlrev_b32_e32 v0, 2, v2
	v_add_u32_sdwa v8, v1, v51 dst_sel:DWORD dst_unused:UNUSED_PAD src0_sel:DWORD src1_sel:WORD_0
	v_add_u32_sdwa v7, v3, v49 dst_sel:DWORD dst_unused:UNUSED_PAD src0_sel:DWORD src1_sel:WORD_0
	;; [unrolled: 1-line block ×3, first 2 shown]
	global_store_dwordx4 v0, v[18:21], s[0:1]
	global_store_dwordx4 v0, v[14:17], s[0:1] offset:16
	global_store_dwordx4 v0, v[10:13], s[0:1] offset:32
	;; [unrolled: 1-line block ×3, first 2 shown]
	s_endpgm
	.section	.rodata,"a",@progbits
	.p2align	6, 0x0
	.amdhsa_kernel _Z11rank_kernelIiLj4ELb0EL18RadixRankAlgorithm0ELj256ELj16ELj10EEvPKT_Pi
		.amdhsa_group_segment_fixed_size 8208
		.amdhsa_private_segment_fixed_size 0
		.amdhsa_kernarg_size 16
		.amdhsa_user_sgpr_count 6
		.amdhsa_user_sgpr_private_segment_buffer 1
		.amdhsa_user_sgpr_dispatch_ptr 0
		.amdhsa_user_sgpr_queue_ptr 0
		.amdhsa_user_sgpr_kernarg_segment_ptr 1
		.amdhsa_user_sgpr_dispatch_id 0
		.amdhsa_user_sgpr_flat_scratch_init 0
		.amdhsa_user_sgpr_kernarg_preload_length 0
		.amdhsa_user_sgpr_kernarg_preload_offset 0
		.amdhsa_user_sgpr_private_segment_size 0
		.amdhsa_uses_dynamic_stack 0
		.amdhsa_system_sgpr_private_segment_wavefront_offset 0
		.amdhsa_system_sgpr_workgroup_id_x 1
		.amdhsa_system_sgpr_workgroup_id_y 0
		.amdhsa_system_sgpr_workgroup_id_z 0
		.amdhsa_system_sgpr_workgroup_info 0
		.amdhsa_system_vgpr_workitem_id 0
		.amdhsa_next_free_vgpr 64
		.amdhsa_next_free_sgpr 40
		.amdhsa_accum_offset 64
		.amdhsa_reserve_vcc 1
		.amdhsa_reserve_flat_scratch 0
		.amdhsa_float_round_mode_32 0
		.amdhsa_float_round_mode_16_64 0
		.amdhsa_float_denorm_mode_32 3
		.amdhsa_float_denorm_mode_16_64 3
		.amdhsa_dx10_clamp 1
		.amdhsa_ieee_mode 1
		.amdhsa_fp16_overflow 0
		.amdhsa_tg_split 0
		.amdhsa_exception_fp_ieee_invalid_op 0
		.amdhsa_exception_fp_denorm_src 0
		.amdhsa_exception_fp_ieee_div_zero 0
		.amdhsa_exception_fp_ieee_overflow 0
		.amdhsa_exception_fp_ieee_underflow 0
		.amdhsa_exception_fp_ieee_inexact 0
		.amdhsa_exception_int_div_zero 0
	.end_amdhsa_kernel
	.section	.text._Z11rank_kernelIiLj4ELb0EL18RadixRankAlgorithm0ELj256ELj16ELj10EEvPKT_Pi,"axG",@progbits,_Z11rank_kernelIiLj4ELb0EL18RadixRankAlgorithm0ELj256ELj16ELj10EEvPKT_Pi,comdat
.Lfunc_end24:
	.size	_Z11rank_kernelIiLj4ELb0EL18RadixRankAlgorithm0ELj256ELj16ELj10EEvPKT_Pi, .Lfunc_end24-_Z11rank_kernelIiLj4ELb0EL18RadixRankAlgorithm0ELj256ELj16ELj10EEvPKT_Pi
                                        ; -- End function
	.section	.AMDGPU.csdata,"",@progbits
; Kernel info:
; codeLenInByte = 2304
; NumSgprs: 44
; NumVgprs: 64
; NumAgprs: 0
; TotalNumVgprs: 64
; ScratchSize: 0
; MemoryBound: 0
; FloatMode: 240
; IeeeMode: 1
; LDSByteSize: 8208 bytes/workgroup (compile time only)
; SGPRBlocks: 5
; VGPRBlocks: 7
; NumSGPRsForWavesPerEU: 44
; NumVGPRsForWavesPerEU: 64
; AccumOffset: 64
; Occupancy: 7
; WaveLimiterHint : 0
; COMPUTE_PGM_RSRC2:SCRATCH_EN: 0
; COMPUTE_PGM_RSRC2:USER_SGPR: 6
; COMPUTE_PGM_RSRC2:TRAP_HANDLER: 0
; COMPUTE_PGM_RSRC2:TGID_X_EN: 1
; COMPUTE_PGM_RSRC2:TGID_Y_EN: 0
; COMPUTE_PGM_RSRC2:TGID_Z_EN: 0
; COMPUTE_PGM_RSRC2:TIDIG_COMP_CNT: 0
; COMPUTE_PGM_RSRC3_GFX90A:ACCUM_OFFSET: 15
; COMPUTE_PGM_RSRC3_GFX90A:TG_SPLIT: 0
	.section	.text._Z11rank_kernelIiLj4ELb0EL18RadixRankAlgorithm1ELj256ELj16ELj10EEvPKT_Pi,"axG",@progbits,_Z11rank_kernelIiLj4ELb0EL18RadixRankAlgorithm1ELj256ELj16ELj10EEvPKT_Pi,comdat
	.protected	_Z11rank_kernelIiLj4ELb0EL18RadixRankAlgorithm1ELj256ELj16ELj10EEvPKT_Pi ; -- Begin function _Z11rank_kernelIiLj4ELb0EL18RadixRankAlgorithm1ELj256ELj16ELj10EEvPKT_Pi
	.globl	_Z11rank_kernelIiLj4ELb0EL18RadixRankAlgorithm1ELj256ELj16ELj10EEvPKT_Pi
	.p2align	8
	.type	_Z11rank_kernelIiLj4ELb0EL18RadixRankAlgorithm1ELj256ELj16ELj10EEvPKT_Pi,@function
_Z11rank_kernelIiLj4ELb0EL18RadixRankAlgorithm1ELj256ELj16ELj10EEvPKT_Pi: ; @_Z11rank_kernelIiLj4ELb0EL18RadixRankAlgorithm1ELj256ELj16ELj10EEvPKT_Pi
; %bb.0:
	s_load_dwordx4 s[20:23], s[4:5], 0x0
	s_lshl_b32 s26, s6, 12
	s_mov_b32 s27, 0
	s_lshl_b64 s[24:25], s[26:27], 2
	v_lshlrev_b32_e32 v1, 6, v0
	s_waitcnt lgkmcnt(0)
	s_add_u32 s0, s20, s24
	s_addc_u32 s1, s21, s25
	global_load_dwordx4 v[4:7], v1, s[0:1]
	global_load_dwordx4 v[8:11], v1, s[0:1] offset:16
	global_load_dwordx4 v[24:27], v1, s[0:1] offset:32
	;; [unrolled: 1-line block ×3, first 2 shown]
	v_mbcnt_lo_u32_b32 v1, -1, 0
	v_mbcnt_hi_u32_b32 v15, -1, v1
	v_add_u32_e32 v19, -1, v15
	v_and_b32_e32 v20, 64, v15
	v_or_b32_e32 v14, 63, v0
	v_lshrrev_b32_e32 v16, 4, v0
	v_cmp_lt_i32_e64 s[18:19], v19, v20
	v_and_b32_e32 v17, 15, v15
	v_and_b32_e32 v18, 16, v15
	v_cmp_lt_u32_e64 s[2:3], 31, v15
	v_cmp_eq_u32_e64 s[4:5], v14, v0
	v_cmp_eq_u32_e64 s[6:7], 0, v15
	v_and_b32_e32 v14, 12, v16
	v_and_b32_e32 v16, 3, v15
	v_cndmask_b32_e64 v15, v19, v15, s[18:19]
	v_mov_b32_e32 v3, 0
	v_lshlrev_b32_e32 v2, 4, v0
	v_lshlrev_b32_e32 v12, 5, v0
	v_cmp_gt_u32_e32 vcc, 4, v0
	v_cmp_lt_u32_e64 s[0:1], 63, v0
	v_lshlrev_b32_e32 v13, 2, v0
	v_or_b32_e32 v1, 0x100, v0
	v_cmp_eq_u32_e64 s[8:9], 0, v17
	v_cmp_lt_u32_e64 s[10:11], 1, v17
	v_cmp_lt_u32_e64 s[12:13], 3, v17
	;; [unrolled: 1-line block ×3, first 2 shown]
	v_cmp_eq_u32_e64 s[16:17], 0, v18
	v_cmp_eq_u32_e64 s[18:19], 0, v16
	v_cmp_lt_u32_e64 s[20:21], 1, v16
	v_lshlrev_b32_e32 v15, 2, v15
	s_movk_i32 s26, 0x700
	s_waitcnt vmcnt(3)
	v_xor_b32_e32 v16, 0x80000000, v4
	v_xor_b32_e32 v17, 0x80000000, v5
	v_xor_b32_e32 v18, 0x80000000, v6
	v_xor_b32_e32 v19, 0x80000000, v7
	s_waitcnt vmcnt(2)
	v_xor_b32_e32 v20, 0x80000000, v8
	v_xor_b32_e32 v21, 0x80000000, v9
	v_xor_b32_e32 v22, 0x80000000, v10
	v_xor_b32_e32 v23, 0x80000000, v11
	s_waitcnt vmcnt(1)
	v_xor_b32_e32 v24, 0x80000000, v24
	v_xor_b32_e32 v25, 0x80000000, v25
	v_xor_b32_e32 v26, 0x80000000, v26
	v_xor_b32_e32 v27, 0x80000000, v27
	s_waitcnt vmcnt(0)
	v_xor_b32_e32 v28, 0x80000000, v28
	v_xor_b32_e32 v29, 0x80000000, v29
	v_xor_b32_e32 v30, 0x80000000, v30
	v_xor_b32_e32 v31, 0x80000000, v31
	s_branch .LBB25_2
.LBB25_1:                               ;   in Loop: Header=BB25_2 Depth=1
	s_add_i32 s27, s27, 1
	s_cmp_eq_u32 s27, 10
	s_cbranch_scc1 .LBB25_16
.LBB25_2:                               ; =>This Loop Header: Depth=1
                                        ;     Child Loop BB25_4 Depth 2
                                        ;       Child Loop BB25_6 Depth 3
	s_mov_b32 s33, 0
	s_branch .LBB25_4
.LBB25_3:                               ;   in Loop: Header=BB25_4 Depth=2
	s_or_b64 exec, exec, s[28:29]
	s_waitcnt lgkmcnt(0)
	v_add_u32_e32 v7, v64, v7
	ds_bpermute_b32 v7, v15, v7
	ds_read_b32 v65, v3 offset:8204
	s_add_i32 s28, s33, 4
	s_cmp_lt_u32 s33, 28
	s_mov_b32 s33, s28
	s_waitcnt lgkmcnt(1)
	v_cndmask_b32_e64 v7, v7, v64, s[6:7]
	s_waitcnt lgkmcnt(0)
	v_lshl_add_u32 v7, v65, 16, v7
	v_add_u32_e32 v10, v7, v10
	v_add_u32_e32 v11, v10, v11
	ds_write2_b32 v12, v7, v10 offset1:1
	v_add_u32_e32 v7, v11, v8
	v_add_u32_e32 v8, v7, v9
	;; [unrolled: 1-line block ×4, first 2 shown]
	ds_write2_b32 v12, v11, v7 offset0:2 offset1:3
	v_add_u32_e32 v6, v5, v6
	ds_write2_b32 v12, v8, v4 offset0:4 offset1:5
	ds_write2_b32 v12, v5, v6 offset0:6 offset1:7
	s_waitcnt lgkmcnt(0)
	s_barrier
	s_cbranch_scc0 .LBB25_1
.LBB25_4:                               ;   Parent Loop BB25_2 Depth=1
                                        ; =>  This Loop Header: Depth=2
                                        ;       Child Loop BB25_6 Depth 3
	s_mov_b32 s36, 0
	s_mov_b64 s[28:29], 0
	v_pk_mov_b32 v[4:5], v[0:1], v[0:1] op_sel:[0,1]
	s_branch .LBB25_6
.LBB25_5:                               ;   in Loop: Header=BB25_6 Depth=3
	s_or_b64 exec, exec, s[34:35]
	s_add_i32 s36, s36, 2
	v_cmp_eq_u32_e64 s[30:31], 8, s36
	v_add_u32_e32 v5, 0x200, v5
	s_or_b64 s[28:29], s[30:31], s[28:29]
	v_add_u32_e32 v4, 0x200, v4
	s_andn2_b64 exec, exec, s[28:29]
	s_cbranch_execz .LBB25_10
.LBB25_6:                               ;   Parent Loop BB25_2 Depth=1
                                        ;     Parent Loop BB25_4 Depth=2
                                        ; =>    This Inner Loop Header: Depth=3
	s_or_b32 s30, s36, 1
	v_cmp_le_u32_e64 s[30:31], s30, 7
	v_cmp_le_u32_e64 s[38:39], s36, 7
	s_and_saveexec_b64 s[34:35], s[38:39]
	s_cbranch_execz .LBB25_8
; %bb.7:                                ;   in Loop: Header=BB25_6 Depth=3
	v_lshlrev_b32_e32 v6, 2, v4
	ds_write_b32 v6, v3
.LBB25_8:                               ;   in Loop: Header=BB25_6 Depth=3
	s_or_b64 exec, exec, s[34:35]
	s_and_saveexec_b64 s[34:35], s[30:31]
	s_cbranch_execz .LBB25_5
; %bb.9:                                ;   in Loop: Header=BB25_6 Depth=3
	v_lshlrev_b32_e32 v6, 2, v5
	ds_write_b32 v6, v3
	s_branch .LBB25_5
.LBB25_10:                              ;   in Loop: Header=BB25_4 Depth=2
	s_or_b64 exec, exec, s[28:29]
	s_sub_i32 s28, 28, s33
	v_lshlrev_b32_e32 v4, s28, v16
	v_lshrrev_b32_e32 v5, 20, v4
	v_and_or_b32 v5, v5, s26, v0
	v_alignbit_b32 v4, v5, v4, 31
	v_lshlrev_b32_e32 v34, 1, v4
	ds_read_u16 v32, v34
	v_lshlrev_b32_e32 v4, s28, v17
	v_lshrrev_b32_e32 v5, 20, v4
	v_and_or_b32 v5, v5, s26, v0
	v_alignbit_b32 v4, v5, v4, 31
	s_waitcnt lgkmcnt(0)
	v_add_u16_e32 v5, 1, v32
	ds_write_b16 v34, v5
	v_lshlrev_b32_e32 v36, 1, v4
	ds_read_u16 v33, v36
	v_lshlrev_b32_e32 v4, s28, v18
	v_lshrrev_b32_e32 v5, 20, v4
	v_and_or_b32 v5, v5, s26, v0
	v_alignbit_b32 v4, v5, v4, 31
	s_waitcnt lgkmcnt(0)
	v_add_u16_e32 v6, 1, v33
	ds_write_b16 v36, v6
	;; [unrolled: 9-line block ×3, first 2 shown]
	v_lshlrev_b32_e32 v40, 1, v4
	ds_read_u16 v37, v40
	v_lshlrev_b32_e32 v4, s28, v20
	s_waitcnt lgkmcnt(0)
	v_add_u16_e32 v5, 1, v37
	ds_write_b16 v40, v5
	v_lshrrev_b32_e32 v5, 20, v4
	v_and_or_b32 v5, v5, s26, v0
	v_alignbit_b32 v4, v5, v4, 31
	v_lshlrev_b32_e32 v42, 1, v4
	ds_read_u16 v39, v42
	s_waitcnt lgkmcnt(0)
	v_add_u16_e32 v4, 1, v39
	ds_write_b16 v42, v4
	v_lshlrev_b32_e32 v4, s28, v21
	v_lshrrev_b32_e32 v5, 20, v4
	v_and_or_b32 v5, v5, s26, v0
	v_alignbit_b32 v4, v5, v4, 31
	v_lshlrev_b32_e32 v44, 1, v4
	ds_read_u16 v41, v44
	s_waitcnt lgkmcnt(0)
	v_add_u16_e32 v4, 1, v41
	ds_write_b16 v44, v4
	v_lshlrev_b32_e32 v4, s28, v22
	;; [unrolled: 9-line block ×11, first 2 shown]
	v_lshrrev_b32_e32 v5, 20, v4
	v_and_or_b32 v5, v5, s26, v0
	v_alignbit_b32 v4, v5, v4, 31
	v_lshlrev_b32_e32 v63, 1, v4
	ds_read_u16 v61, v63
	s_waitcnt lgkmcnt(0)
	v_add_u16_e32 v4, 1, v61
	ds_write_b16 v63, v4
	s_waitcnt lgkmcnt(0)
	s_barrier
	ds_read2_b32 v[10:11], v12 offset1:1
	ds_read2_b32 v[8:9], v12 offset0:2 offset1:3
	ds_read2_b32 v[4:5], v12 offset0:4 offset1:5
	;; [unrolled: 1-line block ×3, first 2 shown]
	s_waitcnt lgkmcnt(3)
	v_add_u32_e32 v64, v11, v10
	s_waitcnt lgkmcnt(2)
	v_add3_u32 v64, v64, v8, v9
	s_waitcnt lgkmcnt(1)
	v_add3_u32 v64, v64, v4, v5
	;; [unrolled: 2-line block ×3, first 2 shown]
	s_nop 1
	v_mov_b32_dpp v64, v7 row_shr:1 row_mask:0xf bank_mask:0xf
	v_cndmask_b32_e64 v64, v64, 0, s[8:9]
	v_add_u32_e32 v7, v64, v7
	s_nop 1
	v_mov_b32_dpp v64, v7 row_shr:2 row_mask:0xf bank_mask:0xf
	v_cndmask_b32_e64 v64, 0, v64, s[10:11]
	v_add_u32_e32 v7, v7, v64
	;; [unrolled: 4-line block ×4, first 2 shown]
	s_nop 1
	v_mov_b32_dpp v64, v7 row_bcast:15 row_mask:0xf bank_mask:0xf
	v_cndmask_b32_e64 v64, v64, 0, s[16:17]
	v_add_u32_e32 v7, v7, v64
	s_nop 1
	v_mov_b32_dpp v64, v7 row_bcast:31 row_mask:0xf bank_mask:0xf
	v_cndmask_b32_e64 v64, 0, v64, s[2:3]
	v_add_u32_e32 v7, v7, v64
	s_and_saveexec_b64 s[28:29], s[4:5]
	s_cbranch_execz .LBB25_12
; %bb.11:                               ;   in Loop: Header=BB25_4 Depth=2
	ds_write_b32 v14, v7 offset:8192
.LBB25_12:                              ;   in Loop: Header=BB25_4 Depth=2
	s_or_b64 exec, exec, s[28:29]
	s_waitcnt lgkmcnt(0)
	s_barrier
	s_and_saveexec_b64 s[28:29], vcc
	s_cbranch_execz .LBB25_14
; %bb.13:                               ;   in Loop: Header=BB25_4 Depth=2
	ds_read_b32 v64, v13 offset:8192
	s_waitcnt lgkmcnt(0)
	s_nop 0
	v_mov_b32_dpp v65, v64 row_shr:1 row_mask:0xf bank_mask:0xf
	v_cndmask_b32_e64 v65, v65, 0, s[18:19]
	v_add_u32_e32 v64, v65, v64
	s_nop 1
	v_mov_b32_dpp v65, v64 row_shr:2 row_mask:0xf bank_mask:0xf
	v_cndmask_b32_e64 v65, 0, v65, s[20:21]
	v_add_u32_e32 v64, v64, v65
	ds_write_b32 v13, v64 offset:8192
.LBB25_14:                              ;   in Loop: Header=BB25_4 Depth=2
	s_or_b64 exec, exec, s[28:29]
	v_mov_b32_e32 v64, 0
	s_waitcnt lgkmcnt(0)
	s_barrier
	s_and_saveexec_b64 s[28:29], s[0:1]
	s_cbranch_execz .LBB25_3
; %bb.15:                               ;   in Loop: Header=BB25_4 Depth=2
	ds_read_b32 v64, v14 offset:8188
	s_branch .LBB25_3
.LBB25_16:
	ds_read_u16 v0, v63
	ds_read_u16 v1, v62
	;; [unrolled: 1-line block ×16, first 2 shown]
	s_add_u32 s0, s22, s24
	s_waitcnt lgkmcnt(14)
	v_add_u32_sdwa v7, v0, v61 dst_sel:DWORD dst_unused:UNUSED_PAD src0_sel:DWORD src1_sel:WORD_0
	s_waitcnt lgkmcnt(11)
	v_add_u32_sdwa v11, v8, v53 dst_sel:DWORD dst_unused:UNUSED_PAD src0_sel:DWORD src1_sel:WORD_0
	;; [unrolled: 2-line block ×13, first 2 shown]
	s_addc_u32 s1, s23, s25
	v_lshlrev_b32_e32 v0, 2, v2
	v_add_u32_sdwa v6, v1, v59 dst_sel:DWORD dst_unused:UNUSED_PAD src0_sel:DWORD src1_sel:WORD_0
	v_add_u32_sdwa v5, v3, v57 dst_sel:DWORD dst_unused:UNUSED_PAD src0_sel:DWORD src1_sel:WORD_0
	;; [unrolled: 1-line block ×3, first 2 shown]
	global_store_dwordx4 v0, v[16:19], s[0:1]
	global_store_dwordx4 v0, v[12:15], s[0:1] offset:16
	global_store_dwordx4 v0, v[8:11], s[0:1] offset:32
	;; [unrolled: 1-line block ×3, first 2 shown]
	s_endpgm
	.section	.rodata,"a",@progbits
	.p2align	6, 0x0
	.amdhsa_kernel _Z11rank_kernelIiLj4ELb0EL18RadixRankAlgorithm1ELj256ELj16ELj10EEvPKT_Pi
		.amdhsa_group_segment_fixed_size 8208
		.amdhsa_private_segment_fixed_size 0
		.amdhsa_kernarg_size 16
		.amdhsa_user_sgpr_count 6
		.amdhsa_user_sgpr_private_segment_buffer 1
		.amdhsa_user_sgpr_dispatch_ptr 0
		.amdhsa_user_sgpr_queue_ptr 0
		.amdhsa_user_sgpr_kernarg_segment_ptr 1
		.amdhsa_user_sgpr_dispatch_id 0
		.amdhsa_user_sgpr_flat_scratch_init 0
		.amdhsa_user_sgpr_kernarg_preload_length 0
		.amdhsa_user_sgpr_kernarg_preload_offset 0
		.amdhsa_user_sgpr_private_segment_size 0
		.amdhsa_uses_dynamic_stack 0
		.amdhsa_system_sgpr_private_segment_wavefront_offset 0
		.amdhsa_system_sgpr_workgroup_id_x 1
		.amdhsa_system_sgpr_workgroup_id_y 0
		.amdhsa_system_sgpr_workgroup_id_z 0
		.amdhsa_system_sgpr_workgroup_info 0
		.amdhsa_system_vgpr_workitem_id 0
		.amdhsa_next_free_vgpr 66
		.amdhsa_next_free_sgpr 40
		.amdhsa_accum_offset 68
		.amdhsa_reserve_vcc 1
		.amdhsa_reserve_flat_scratch 0
		.amdhsa_float_round_mode_32 0
		.amdhsa_float_round_mode_16_64 0
		.amdhsa_float_denorm_mode_32 3
		.amdhsa_float_denorm_mode_16_64 3
		.amdhsa_dx10_clamp 1
		.amdhsa_ieee_mode 1
		.amdhsa_fp16_overflow 0
		.amdhsa_tg_split 0
		.amdhsa_exception_fp_ieee_invalid_op 0
		.amdhsa_exception_fp_denorm_src 0
		.amdhsa_exception_fp_ieee_div_zero 0
		.amdhsa_exception_fp_ieee_overflow 0
		.amdhsa_exception_fp_ieee_underflow 0
		.amdhsa_exception_fp_ieee_inexact 0
		.amdhsa_exception_int_div_zero 0
	.end_amdhsa_kernel
	.section	.text._Z11rank_kernelIiLj4ELb0EL18RadixRankAlgorithm1ELj256ELj16ELj10EEvPKT_Pi,"axG",@progbits,_Z11rank_kernelIiLj4ELb0EL18RadixRankAlgorithm1ELj256ELj16ELj10EEvPKT_Pi,comdat
.Lfunc_end25:
	.size	_Z11rank_kernelIiLj4ELb0EL18RadixRankAlgorithm1ELj256ELj16ELj10EEvPKT_Pi, .Lfunc_end25-_Z11rank_kernelIiLj4ELb0EL18RadixRankAlgorithm1ELj256ELj16ELj10EEvPKT_Pi
                                        ; -- End function
	.section	.AMDGPU.csdata,"",@progbits
; Kernel info:
; codeLenInByte = 2256
; NumSgprs: 44
; NumVgprs: 66
; NumAgprs: 0
; TotalNumVgprs: 66
; ScratchSize: 0
; MemoryBound: 0
; FloatMode: 240
; IeeeMode: 1
; LDSByteSize: 8208 bytes/workgroup (compile time only)
; SGPRBlocks: 5
; VGPRBlocks: 8
; NumSGPRsForWavesPerEU: 44
; NumVGPRsForWavesPerEU: 66
; AccumOffset: 68
; Occupancy: 7
; WaveLimiterHint : 0
; COMPUTE_PGM_RSRC2:SCRATCH_EN: 0
; COMPUTE_PGM_RSRC2:USER_SGPR: 6
; COMPUTE_PGM_RSRC2:TRAP_HANDLER: 0
; COMPUTE_PGM_RSRC2:TGID_X_EN: 1
; COMPUTE_PGM_RSRC2:TGID_Y_EN: 0
; COMPUTE_PGM_RSRC2:TGID_Z_EN: 0
; COMPUTE_PGM_RSRC2:TIDIG_COMP_CNT: 0
; COMPUTE_PGM_RSRC3_GFX90A:ACCUM_OFFSET: 16
; COMPUTE_PGM_RSRC3_GFX90A:TG_SPLIT: 0
	.section	.text._Z11rank_kernelIiLj4ELb0EL18RadixRankAlgorithm2ELj256ELj16ELj10EEvPKT_Pi,"axG",@progbits,_Z11rank_kernelIiLj4ELb0EL18RadixRankAlgorithm2ELj256ELj16ELj10EEvPKT_Pi,comdat
	.protected	_Z11rank_kernelIiLj4ELb0EL18RadixRankAlgorithm2ELj256ELj16ELj10EEvPKT_Pi ; -- Begin function _Z11rank_kernelIiLj4ELb0EL18RadixRankAlgorithm2ELj256ELj16ELj10EEvPKT_Pi
	.globl	_Z11rank_kernelIiLj4ELb0EL18RadixRankAlgorithm2ELj256ELj16ELj10EEvPKT_Pi
	.p2align	8
	.type	_Z11rank_kernelIiLj4ELb0EL18RadixRankAlgorithm2ELj256ELj16ELj10EEvPKT_Pi,@function
_Z11rank_kernelIiLj4ELb0EL18RadixRankAlgorithm2ELj256ELj16ELj10EEvPKT_Pi: ; @_Z11rank_kernelIiLj4ELb0EL18RadixRankAlgorithm2ELj256ELj16ELj10EEvPKT_Pi
; %bb.0:
	s_load_dwordx4 s[24:27], s[4:5], 0x0
	s_load_dword s22, s[4:5], 0x1c
	s_lshl_b32 s30, s6, 12
	s_mov_b32 s31, 0
	s_lshl_b64 s[28:29], s[30:31], 2
	s_waitcnt lgkmcnt(0)
	s_add_u32 s0, s24, s28
	v_and_b32_e32 v4, 0x3ff, v0
	s_addc_u32 s1, s25, s29
	v_lshlrev_b32_e32 v1, 6, v4
	global_load_dwordx4 v[10:13], v1, s[0:1]
	global_load_dwordx4 v[14:17], v1, s[0:1] offset:16
	global_load_dwordx4 v[18:21], v1, s[0:1] offset:32
	;; [unrolled: 1-line block ×3, first 2 shown]
	v_mbcnt_lo_u32_b32 v1, -1, 0
	v_mbcnt_hi_u32_b32 v6, -1, v1
	v_bfe_u32 v3, v0, 10, 10
	v_bfe_u32 v5, v0, 20, 10
	v_add_u32_e32 v26, -1, v6
	v_and_b32_e32 v27, 64, v6
	s_lshr_b32 s23, s22, 16
	v_and_b32_e32 v7, 15, v6
	v_or_b32_e32 v9, 63, v4
	v_lshrrev_b32_e32 v28, 4, v4
	v_cmp_lt_i32_e64 s[18:19], v26, v27
	s_and_b32 s22, s22, 0xffff
	v_mad_u32_u24 v3, v5, s23, v3
	v_lshlrev_b32_e32 v0, 4, v4
	v_lshlrev_b32_e32 v1, 2, v4
	v_and_b32_e32 v8, 16, v6
	v_cmp_lt_u32_e32 vcc, 31, v6
	v_cmp_gt_u32_e64 s[0:1], 4, v4
	v_cmp_lt_u32_e64 s[2:3], 63, v4
	v_cmp_eq_u32_e64 s[4:5], 0, v6
	v_and_b32_e32 v29, 3, v6
	v_cmp_eq_u32_e64 s[6:7], 0, v7
	v_cmp_lt_u32_e64 s[8:9], 1, v7
	v_cmp_lt_u32_e64 s[10:11], 3, v7
	;; [unrolled: 1-line block ×3, first 2 shown]
	v_cmp_eq_u32_e64 s[16:17], v9, v4
	v_cndmask_b32_e64 v7, v26, v6, s[18:19]
	v_and_b32_e32 v6, 12, v28
	v_mad_u64_u32 v[4:5], s[22:23], v3, s22, v[4:5]
	v_mov_b32_e32 v2, 0
	v_cmp_eq_u32_e64 s[14:15], 0, v8
	v_cmp_eq_u32_e64 s[18:19], 0, v29
	v_cmp_lt_u32_e64 s[20:21], 1, v29
	v_lshlrev_b32_e32 v7, 2, v7
	v_lshrrev_b32_e32 v8, 6, v4
	s_waitcnt vmcnt(3)
	v_xor_b32_e32 v9, 0x80000000, v10
	v_xor_b32_e32 v10, 0x80000000, v11
	v_xor_b32_e32 v11, 0x80000000, v12
	v_xor_b32_e32 v12, 0x80000000, v13
	s_waitcnt vmcnt(2)
	v_xor_b32_e32 v13, 0x80000000, v14
	v_xor_b32_e32 v14, 0x80000000, v15
	v_xor_b32_e32 v15, 0x80000000, v16
	v_xor_b32_e32 v16, 0x80000000, v17
	;; [unrolled: 5-line block ×4, first 2 shown]
	v_add_u32_e32 v25, -4, v6
	s_branch .LBB26_2
.LBB26_1:                               ;   in Loop: Header=BB26_2 Depth=1
	s_add_i32 s31, s31, 1
	s_cmp_eq_u32 s31, 10
	s_cbranch_scc1 .LBB26_42
.LBB26_2:                               ; =>This Loop Header: Depth=1
                                        ;     Child Loop BB26_4 Depth 2
	s_mov_b32 s30, -4
	s_mov_b32 s33, 28
	s_branch .LBB26_4
.LBB26_3:                               ;   in Loop: Header=BB26_4 Depth=2
	s_or_b64 exec, exec, s[22:23]
	s_waitcnt lgkmcnt(0)
	v_add_u32_e32 v4, v5, v4
	ds_bpermute_b32 v4, v7, v4
	s_add_i32 s33, s33, -4
	s_add_i32 s30, s30, 4
	s_cmp_lt_u32 s30, 28
	s_waitcnt lgkmcnt(0)
	v_cndmask_b32_e64 v4, v4, v5, s[4:5]
	ds_write_b32 v1, v4 offset:16
	s_waitcnt lgkmcnt(0)
	s_barrier
	s_cbranch_scc0 .LBB26_1
.LBB26_4:                               ;   Parent Loop BB26_2 Depth=1
                                        ; =>  This Inner Loop Header: Depth=2
	v_lshlrev_b32_e32 v4, s33, v9
	v_lshrrev_b32_e32 v5, 28, v4
	v_mad_u32_u24 v3, v5, 5, v8
	v_lshl_add_u32 v26, v3, 2, 16
	v_bfe_u32 v3, v4, 28, 1
	v_add_co_u32_e64 v27, s[22:23], -1, v3
	v_addc_co_u32_e64 v28, s[22:23], 0, -1, s[22:23]
	v_cmp_ne_u32_e64 s[22:23], 0, v3
	v_xor_b32_e32 v3, s23, v28
	v_and_b32_e32 v28, exec_hi, v3
	v_lshlrev_b32_e32 v3, 30, v5
	v_xor_b32_e32 v27, s22, v27
	v_cmp_gt_i64_e64 s[22:23], 0, v[2:3]
	v_not_b32_e32 v3, v3
	v_ashrrev_i32_e32 v3, 31, v3
	v_and_b32_e32 v27, exec_lo, v27
	v_xor_b32_e32 v29, s23, v3
	v_xor_b32_e32 v3, s22, v3
	v_and_b32_e32 v27, v27, v3
	v_lshlrev_b32_e32 v3, 29, v5
	v_cmp_gt_i64_e64 s[22:23], 0, v[2:3]
	v_not_b32_e32 v3, v3
	v_ashrrev_i32_e32 v3, 31, v3
	v_xor_b32_e32 v5, s23, v3
	v_xor_b32_e32 v3, s22, v3
	v_and_b32_e32 v27, v27, v3
	v_and_b32_e32 v3, 0xf0000000, v4
	v_cmp_gt_i64_e64 s[22:23], 0, v[2:3]
	v_not_b32_e32 v3, v3
	v_and_b32_e32 v28, v28, v29
	v_ashrrev_i32_e32 v3, 31, v3
	v_and_b32_e32 v5, v28, v5
	v_xor_b32_e32 v4, s23, v3
	v_xor_b32_e32 v3, s22, v3
	v_and_b32_e32 v5, v5, v4
	v_and_b32_e32 v4, v27, v3
	v_mbcnt_lo_u32_b32 v3, v4, 0
	v_mbcnt_hi_u32_b32 v27, v5, v3
	v_cmp_eq_u32_e64 s[22:23], 0, v27
	v_cmp_ne_u64_e64 s[24:25], 0, v[4:5]
	s_and_b64 s[24:25], s[24:25], s[22:23]
	ds_write_b32 v1, v2 offset:16
	s_waitcnt lgkmcnt(0)
	s_barrier
	s_waitcnt lgkmcnt(0)
	; wave barrier
	s_and_saveexec_b64 s[22:23], s[24:25]
	s_cbranch_execz .LBB26_6
; %bb.5:                                ;   in Loop: Header=BB26_4 Depth=2
	v_bcnt_u32_b32 v3, v4, 0
	v_bcnt_u32_b32 v3, v5, v3
	ds_write_b32 v26, v3
.LBB26_6:                               ;   in Loop: Header=BB26_4 Depth=2
	s_or_b64 exec, exec, s[22:23]
	v_lshlrev_b32_e32 v4, s33, v10
	v_lshrrev_b32_e32 v5, 28, v4
	v_mul_u32_u24_e32 v3, 5, v5
	v_add_lshl_u32 v3, v8, v3, 2
	; wave barrier
	v_add_u32_e32 v29, 16, v3
	ds_read_b32 v28, v3 offset:16
	v_bfe_u32 v3, v4, 28, 1
	v_add_co_u32_e64 v30, s[22:23], -1, v3
	v_addc_co_u32_e64 v31, s[22:23], 0, -1, s[22:23]
	v_cmp_ne_u32_e64 s[22:23], 0, v3
	v_xor_b32_e32 v3, s23, v31
	v_and_b32_e32 v31, exec_hi, v3
	v_lshlrev_b32_e32 v3, 30, v5
	v_xor_b32_e32 v30, s22, v30
	v_cmp_gt_i64_e64 s[22:23], 0, v[2:3]
	v_not_b32_e32 v3, v3
	v_ashrrev_i32_e32 v3, 31, v3
	v_and_b32_e32 v30, exec_lo, v30
	v_xor_b32_e32 v32, s23, v3
	v_xor_b32_e32 v3, s22, v3
	v_and_b32_e32 v30, v30, v3
	v_lshlrev_b32_e32 v3, 29, v5
	v_cmp_gt_i64_e64 s[22:23], 0, v[2:3]
	v_not_b32_e32 v3, v3
	v_ashrrev_i32_e32 v3, 31, v3
	v_xor_b32_e32 v5, s23, v3
	v_xor_b32_e32 v3, s22, v3
	v_and_b32_e32 v30, v30, v3
	v_and_b32_e32 v3, 0xf0000000, v4
	v_cmp_gt_i64_e64 s[22:23], 0, v[2:3]
	v_not_b32_e32 v3, v3
	v_and_b32_e32 v31, v31, v32
	v_ashrrev_i32_e32 v3, 31, v3
	v_and_b32_e32 v5, v31, v5
	v_xor_b32_e32 v4, s23, v3
	v_xor_b32_e32 v3, s22, v3
	v_and_b32_e32 v5, v5, v4
	v_and_b32_e32 v4, v30, v3
	v_mbcnt_lo_u32_b32 v3, v4, 0
	v_mbcnt_hi_u32_b32 v30, v5, v3
	v_cmp_eq_u32_e64 s[22:23], 0, v30
	v_cmp_ne_u64_e64 s[24:25], 0, v[4:5]
	s_and_b64 s[24:25], s[24:25], s[22:23]
	; wave barrier
	s_and_saveexec_b64 s[22:23], s[24:25]
	s_cbranch_execz .LBB26_8
; %bb.7:                                ;   in Loop: Header=BB26_4 Depth=2
	v_bcnt_u32_b32 v3, v4, 0
	v_bcnt_u32_b32 v3, v5, v3
	s_waitcnt lgkmcnt(0)
	v_add_u32_e32 v3, v28, v3
	ds_write_b32 v29, v3
.LBB26_8:                               ;   in Loop: Header=BB26_4 Depth=2
	s_or_b64 exec, exec, s[22:23]
	v_lshlrev_b32_e32 v4, s33, v11
	v_lshrrev_b32_e32 v5, 28, v4
	v_mul_u32_u24_e32 v3, 5, v5
	v_add_lshl_u32 v3, v8, v3, 2
	; wave barrier
	v_add_u32_e32 v32, 16, v3
	ds_read_b32 v31, v3 offset:16
	v_bfe_u32 v3, v4, 28, 1
	v_add_co_u32_e64 v33, s[22:23], -1, v3
	v_addc_co_u32_e64 v34, s[22:23], 0, -1, s[22:23]
	v_cmp_ne_u32_e64 s[22:23], 0, v3
	v_xor_b32_e32 v3, s23, v34
	v_and_b32_e32 v34, exec_hi, v3
	v_lshlrev_b32_e32 v3, 30, v5
	v_xor_b32_e32 v33, s22, v33
	v_cmp_gt_i64_e64 s[22:23], 0, v[2:3]
	v_not_b32_e32 v3, v3
	v_ashrrev_i32_e32 v3, 31, v3
	v_and_b32_e32 v33, exec_lo, v33
	v_xor_b32_e32 v35, s23, v3
	v_xor_b32_e32 v3, s22, v3
	v_and_b32_e32 v33, v33, v3
	v_lshlrev_b32_e32 v3, 29, v5
	v_cmp_gt_i64_e64 s[22:23], 0, v[2:3]
	v_not_b32_e32 v3, v3
	v_ashrrev_i32_e32 v3, 31, v3
	v_xor_b32_e32 v5, s23, v3
	v_xor_b32_e32 v3, s22, v3
	v_and_b32_e32 v33, v33, v3
	v_and_b32_e32 v3, 0xf0000000, v4
	v_cmp_gt_i64_e64 s[22:23], 0, v[2:3]
	v_not_b32_e32 v3, v3
	v_and_b32_e32 v34, v34, v35
	v_ashrrev_i32_e32 v3, 31, v3
	v_and_b32_e32 v5, v34, v5
	v_xor_b32_e32 v4, s23, v3
	v_xor_b32_e32 v3, s22, v3
	v_and_b32_e32 v5, v5, v4
	v_and_b32_e32 v4, v33, v3
	v_mbcnt_lo_u32_b32 v3, v4, 0
	v_mbcnt_hi_u32_b32 v33, v5, v3
	v_cmp_eq_u32_e64 s[22:23], 0, v33
	v_cmp_ne_u64_e64 s[24:25], 0, v[4:5]
	s_and_b64 s[24:25], s[24:25], s[22:23]
	; wave barrier
	s_and_saveexec_b64 s[22:23], s[24:25]
	s_cbranch_execz .LBB26_10
; %bb.9:                                ;   in Loop: Header=BB26_4 Depth=2
	v_bcnt_u32_b32 v3, v4, 0
	v_bcnt_u32_b32 v3, v5, v3
	s_waitcnt lgkmcnt(0)
	v_add_u32_e32 v3, v31, v3
	ds_write_b32 v32, v3
.LBB26_10:                              ;   in Loop: Header=BB26_4 Depth=2
	s_or_b64 exec, exec, s[22:23]
	v_lshlrev_b32_e32 v4, s33, v12
	v_lshrrev_b32_e32 v5, 28, v4
	v_mul_u32_u24_e32 v3, 5, v5
	v_add_lshl_u32 v3, v8, v3, 2
	; wave barrier
	v_add_u32_e32 v35, 16, v3
	ds_read_b32 v34, v3 offset:16
	v_bfe_u32 v3, v4, 28, 1
	v_add_co_u32_e64 v36, s[22:23], -1, v3
	v_addc_co_u32_e64 v37, s[22:23], 0, -1, s[22:23]
	v_cmp_ne_u32_e64 s[22:23], 0, v3
	v_xor_b32_e32 v3, s23, v37
	v_and_b32_e32 v37, exec_hi, v3
	v_lshlrev_b32_e32 v3, 30, v5
	v_xor_b32_e32 v36, s22, v36
	v_cmp_gt_i64_e64 s[22:23], 0, v[2:3]
	v_not_b32_e32 v3, v3
	v_ashrrev_i32_e32 v3, 31, v3
	v_and_b32_e32 v36, exec_lo, v36
	v_xor_b32_e32 v38, s23, v3
	v_xor_b32_e32 v3, s22, v3
	v_and_b32_e32 v36, v36, v3
	v_lshlrev_b32_e32 v3, 29, v5
	v_cmp_gt_i64_e64 s[22:23], 0, v[2:3]
	v_not_b32_e32 v3, v3
	v_ashrrev_i32_e32 v3, 31, v3
	v_xor_b32_e32 v5, s23, v3
	v_xor_b32_e32 v3, s22, v3
	v_and_b32_e32 v36, v36, v3
	v_and_b32_e32 v3, 0xf0000000, v4
	v_cmp_gt_i64_e64 s[22:23], 0, v[2:3]
	v_not_b32_e32 v3, v3
	v_and_b32_e32 v37, v37, v38
	v_ashrrev_i32_e32 v3, 31, v3
	v_and_b32_e32 v5, v37, v5
	v_xor_b32_e32 v4, s23, v3
	v_xor_b32_e32 v3, s22, v3
	v_and_b32_e32 v5, v5, v4
	v_and_b32_e32 v4, v36, v3
	v_mbcnt_lo_u32_b32 v3, v4, 0
	v_mbcnt_hi_u32_b32 v36, v5, v3
	v_cmp_eq_u32_e64 s[22:23], 0, v36
	v_cmp_ne_u64_e64 s[24:25], 0, v[4:5]
	s_and_b64 s[24:25], s[24:25], s[22:23]
	; wave barrier
	s_and_saveexec_b64 s[22:23], s[24:25]
	s_cbranch_execz .LBB26_12
; %bb.11:                               ;   in Loop: Header=BB26_4 Depth=2
	v_bcnt_u32_b32 v3, v4, 0
	v_bcnt_u32_b32 v3, v5, v3
	s_waitcnt lgkmcnt(0)
	v_add_u32_e32 v3, v34, v3
	ds_write_b32 v35, v3
.LBB26_12:                              ;   in Loop: Header=BB26_4 Depth=2
	s_or_b64 exec, exec, s[22:23]
	v_lshlrev_b32_e32 v4, s33, v13
	v_lshrrev_b32_e32 v5, 28, v4
	v_mul_u32_u24_e32 v3, 5, v5
	v_add_lshl_u32 v3, v8, v3, 2
	; wave barrier
	v_add_u32_e32 v38, 16, v3
	ds_read_b32 v37, v3 offset:16
	v_bfe_u32 v3, v4, 28, 1
	v_add_co_u32_e64 v39, s[22:23], -1, v3
	v_addc_co_u32_e64 v40, s[22:23], 0, -1, s[22:23]
	v_cmp_ne_u32_e64 s[22:23], 0, v3
	v_xor_b32_e32 v3, s23, v40
	v_and_b32_e32 v40, exec_hi, v3
	v_lshlrev_b32_e32 v3, 30, v5
	v_xor_b32_e32 v39, s22, v39
	v_cmp_gt_i64_e64 s[22:23], 0, v[2:3]
	v_not_b32_e32 v3, v3
	v_ashrrev_i32_e32 v3, 31, v3
	v_and_b32_e32 v39, exec_lo, v39
	v_xor_b32_e32 v41, s23, v3
	v_xor_b32_e32 v3, s22, v3
	v_and_b32_e32 v39, v39, v3
	v_lshlrev_b32_e32 v3, 29, v5
	v_cmp_gt_i64_e64 s[22:23], 0, v[2:3]
	v_not_b32_e32 v3, v3
	v_ashrrev_i32_e32 v3, 31, v3
	v_xor_b32_e32 v5, s23, v3
	v_xor_b32_e32 v3, s22, v3
	v_and_b32_e32 v39, v39, v3
	v_and_b32_e32 v3, 0xf0000000, v4
	v_cmp_gt_i64_e64 s[22:23], 0, v[2:3]
	v_not_b32_e32 v3, v3
	v_and_b32_e32 v40, v40, v41
	v_ashrrev_i32_e32 v3, 31, v3
	v_and_b32_e32 v5, v40, v5
	v_xor_b32_e32 v4, s23, v3
	v_xor_b32_e32 v3, s22, v3
	v_and_b32_e32 v5, v5, v4
	v_and_b32_e32 v4, v39, v3
	v_mbcnt_lo_u32_b32 v3, v4, 0
	v_mbcnt_hi_u32_b32 v39, v5, v3
	v_cmp_eq_u32_e64 s[22:23], 0, v39
	v_cmp_ne_u64_e64 s[24:25], 0, v[4:5]
	s_and_b64 s[24:25], s[24:25], s[22:23]
	; wave barrier
	s_and_saveexec_b64 s[22:23], s[24:25]
	s_cbranch_execz .LBB26_14
; %bb.13:                               ;   in Loop: Header=BB26_4 Depth=2
	v_bcnt_u32_b32 v3, v4, 0
	v_bcnt_u32_b32 v3, v5, v3
	s_waitcnt lgkmcnt(0)
	v_add_u32_e32 v3, v37, v3
	ds_write_b32 v38, v3
.LBB26_14:                              ;   in Loop: Header=BB26_4 Depth=2
	;; [unrolled: 55-line block ×13, first 2 shown]
	s_or_b64 exec, exec, s[22:23]
	; wave barrier
	s_waitcnt lgkmcnt(0)
	s_barrier
	ds_read_b32 v4, v1 offset:16
	s_waitcnt lgkmcnt(0)
	s_nop 0
	v_mov_b32_dpp v5, v4 row_shr:1 row_mask:0xf bank_mask:0xf
	v_cndmask_b32_e64 v5, v5, 0, s[6:7]
	v_add_u32_e32 v4, v5, v4
	s_nop 1
	v_mov_b32_dpp v5, v4 row_shr:2 row_mask:0xf bank_mask:0xf
	v_cndmask_b32_e64 v5, 0, v5, s[8:9]
	v_add_u32_e32 v4, v4, v5
	;; [unrolled: 4-line block ×4, first 2 shown]
	s_nop 1
	v_mov_b32_dpp v5, v4 row_bcast:15 row_mask:0xf bank_mask:0xf
	v_cndmask_b32_e64 v5, v5, 0, s[14:15]
	v_add_u32_e32 v4, v4, v5
	s_nop 1
	v_mov_b32_dpp v5, v4 row_bcast:31 row_mask:0xf bank_mask:0xf
	v_cndmask_b32_e32 v5, 0, v5, vcc
	v_add_u32_e32 v4, v4, v5
	s_and_saveexec_b64 s[22:23], s[16:17]
	s_xor_b64 s[22:23], exec, s[22:23]
	s_cbranch_execz .LBB26_38
; %bb.37:                               ;   in Loop: Header=BB26_4 Depth=2
	ds_write_b32 v6, v4
.LBB26_38:                              ;   in Loop: Header=BB26_4 Depth=2
	s_or_b64 exec, exec, s[22:23]
	s_waitcnt lgkmcnt(0)
	s_barrier
	s_and_saveexec_b64 s[22:23], s[0:1]
	s_cbranch_execz .LBB26_40
; %bb.39:                               ;   in Loop: Header=BB26_4 Depth=2
	ds_read_b32 v5, v1
	s_waitcnt lgkmcnt(0)
	s_nop 0
	v_mov_b32_dpp v72, v5 row_shr:1 row_mask:0xf bank_mask:0xf
	v_cndmask_b32_e64 v72, v72, 0, s[18:19]
	v_add_u32_e32 v5, v72, v5
	s_nop 1
	v_mov_b32_dpp v72, v5 row_shr:2 row_mask:0xf bank_mask:0xf
	v_cndmask_b32_e64 v72, 0, v72, s[20:21]
	v_add_u32_e32 v5, v5, v72
	ds_write_b32 v1, v5
.LBB26_40:                              ;   in Loop: Header=BB26_4 Depth=2
	s_or_b64 exec, exec, s[22:23]
	v_mov_b32_e32 v5, 0
	s_waitcnt lgkmcnt(0)
	s_barrier
	s_and_saveexec_b64 s[22:23], s[2:3]
	s_cbranch_execz .LBB26_3
; %bb.41:                               ;   in Loop: Header=BB26_4 Depth=2
	ds_read_b32 v5, v25
	s_branch .LBB26_3
.LBB26_42:
	ds_read_b32 v2, v71
	ds_read_b32 v8, v69
	;; [unrolled: 1-line block ×16, first 2 shown]
	s_add_u32 s0, s26, s28
	s_addc_u32 s1, s27, s29
	v_lshlrev_b32_e32 v19, 2, v0
	s_waitcnt lgkmcnt(1)
	v_add3_u32 v5, v30, v28, v4
	s_waitcnt lgkmcnt(0)
	v_add_u32_e32 v4, v7, v27
	v_add3_u32 v7, v36, v34, v6
	v_add3_u32 v6, v33, v31, v18
	global_store_dwordx4 v19, v[4:7], s[0:1]
	v_add3_u32 v1, v66, v64, v1
	v_add3_u32 v5, v42, v40, v16
	;; [unrolled: 1-line block ×5, first 2 shown]
	global_store_dwordx4 v19, v[4:7], s[0:1] offset:16
	v_add3_u32 v0, v63, v61, v9
	v_add3_u32 v5, v54, v52, v12
	;; [unrolled: 1-line block ×7, first 2 shown]
	global_store_dwordx4 v19, v[4:7], s[0:1] offset:32
	global_store_dwordx4 v19, v[0:3], s[0:1] offset:48
	s_endpgm
	.section	.rodata,"a",@progbits
	.p2align	6, 0x0
	.amdhsa_kernel _Z11rank_kernelIiLj4ELb0EL18RadixRankAlgorithm2ELj256ELj16ELj10EEvPKT_Pi
		.amdhsa_group_segment_fixed_size 1040
		.amdhsa_private_segment_fixed_size 0
		.amdhsa_kernarg_size 272
		.amdhsa_user_sgpr_count 6
		.amdhsa_user_sgpr_private_segment_buffer 1
		.amdhsa_user_sgpr_dispatch_ptr 0
		.amdhsa_user_sgpr_queue_ptr 0
		.amdhsa_user_sgpr_kernarg_segment_ptr 1
		.amdhsa_user_sgpr_dispatch_id 0
		.amdhsa_user_sgpr_flat_scratch_init 0
		.amdhsa_user_sgpr_kernarg_preload_length 0
		.amdhsa_user_sgpr_kernarg_preload_offset 0
		.amdhsa_user_sgpr_private_segment_size 0
		.amdhsa_uses_dynamic_stack 0
		.amdhsa_system_sgpr_private_segment_wavefront_offset 0
		.amdhsa_system_sgpr_workgroup_id_x 1
		.amdhsa_system_sgpr_workgroup_id_y 0
		.amdhsa_system_sgpr_workgroup_id_z 0
		.amdhsa_system_sgpr_workgroup_info 0
		.amdhsa_system_vgpr_workitem_id 2
		.amdhsa_next_free_vgpr 75
		.amdhsa_next_free_sgpr 34
		.amdhsa_accum_offset 76
		.amdhsa_reserve_vcc 1
		.amdhsa_reserve_flat_scratch 0
		.amdhsa_float_round_mode_32 0
		.amdhsa_float_round_mode_16_64 0
		.amdhsa_float_denorm_mode_32 3
		.amdhsa_float_denorm_mode_16_64 3
		.amdhsa_dx10_clamp 1
		.amdhsa_ieee_mode 1
		.amdhsa_fp16_overflow 0
		.amdhsa_tg_split 0
		.amdhsa_exception_fp_ieee_invalid_op 0
		.amdhsa_exception_fp_denorm_src 0
		.amdhsa_exception_fp_ieee_div_zero 0
		.amdhsa_exception_fp_ieee_overflow 0
		.amdhsa_exception_fp_ieee_underflow 0
		.amdhsa_exception_fp_ieee_inexact 0
		.amdhsa_exception_int_div_zero 0
	.end_amdhsa_kernel
	.section	.text._Z11rank_kernelIiLj4ELb0EL18RadixRankAlgorithm2ELj256ELj16ELj10EEvPKT_Pi,"axG",@progbits,_Z11rank_kernelIiLj4ELb0EL18RadixRankAlgorithm2ELj256ELj16ELj10EEvPKT_Pi,comdat
.Lfunc_end26:
	.size	_Z11rank_kernelIiLj4ELb0EL18RadixRankAlgorithm2ELj256ELj16ELj10EEvPKT_Pi, .Lfunc_end26-_Z11rank_kernelIiLj4ELb0EL18RadixRankAlgorithm2ELj256ELj16ELj10EEvPKT_Pi
                                        ; -- End function
	.section	.AMDGPU.csdata,"",@progbits
; Kernel info:
; codeLenInByte = 5512
; NumSgprs: 38
; NumVgprs: 75
; NumAgprs: 0
; TotalNumVgprs: 75
; ScratchSize: 0
; MemoryBound: 0
; FloatMode: 240
; IeeeMode: 1
; LDSByteSize: 1040 bytes/workgroup (compile time only)
; SGPRBlocks: 4
; VGPRBlocks: 9
; NumSGPRsForWavesPerEU: 38
; NumVGPRsForWavesPerEU: 75
; AccumOffset: 76
; Occupancy: 6
; WaveLimiterHint : 0
; COMPUTE_PGM_RSRC2:SCRATCH_EN: 0
; COMPUTE_PGM_RSRC2:USER_SGPR: 6
; COMPUTE_PGM_RSRC2:TRAP_HANDLER: 0
; COMPUTE_PGM_RSRC2:TGID_X_EN: 1
; COMPUTE_PGM_RSRC2:TGID_Y_EN: 0
; COMPUTE_PGM_RSRC2:TGID_Z_EN: 0
; COMPUTE_PGM_RSRC2:TIDIG_COMP_CNT: 2
; COMPUTE_PGM_RSRC3_GFX90A:ACCUM_OFFSET: 18
; COMPUTE_PGM_RSRC3_GFX90A:TG_SPLIT: 0
	.section	.text._Z11rank_kernelIiLj4ELb0EL18RadixRankAlgorithm0ELj256ELj32ELj10EEvPKT_Pi,"axG",@progbits,_Z11rank_kernelIiLj4ELb0EL18RadixRankAlgorithm0ELj256ELj32ELj10EEvPKT_Pi,comdat
	.protected	_Z11rank_kernelIiLj4ELb0EL18RadixRankAlgorithm0ELj256ELj32ELj10EEvPKT_Pi ; -- Begin function _Z11rank_kernelIiLj4ELb0EL18RadixRankAlgorithm0ELj256ELj32ELj10EEvPKT_Pi
	.globl	_Z11rank_kernelIiLj4ELb0EL18RadixRankAlgorithm0ELj256ELj32ELj10EEvPKT_Pi
	.p2align	8
	.type	_Z11rank_kernelIiLj4ELb0EL18RadixRankAlgorithm0ELj256ELj32ELj10EEvPKT_Pi,@function
_Z11rank_kernelIiLj4ELb0EL18RadixRankAlgorithm0ELj256ELj32ELj10EEvPKT_Pi: ; @_Z11rank_kernelIiLj4ELb0EL18RadixRankAlgorithm0ELj256ELj32ELj10EEvPKT_Pi
; %bb.0:
	s_load_dwordx4 s[20:23], s[4:5], 0x0
	s_lshl_b32 s26, s6, 13
	s_mov_b32 s27, 0
	s_lshl_b64 s[24:25], s[26:27], 2
	v_lshlrev_b32_e32 v1, 7, v0
	s_waitcnt lgkmcnt(0)
	s_add_u32 s0, s20, s24
	s_addc_u32 s1, s21, s25
	global_load_dwordx4 v[10:13], v1, s[0:1]
	global_load_dwordx4 v[14:17], v1, s[0:1] offset:16
	global_load_dwordx4 v[18:21], v1, s[0:1] offset:32
	;; [unrolled: 1-line block ×7, first 2 shown]
	v_mbcnt_lo_u32_b32 v1, -1, 0
	v_mbcnt_hi_u32_b32 v4, -1, v1
	v_or_b32_e32 v5, 63, v0
	v_cmp_eq_u32_e64 s[4:5], v5, v0
	v_add_u32_e32 v5, -1, v4
	v_and_b32_e32 v42, 64, v4
	v_cmp_lt_i32_e64 s[18:19], v5, v42
	v_lshrrev_b32_e32 v7, 4, v0
	v_and_b32_e32 v8, 15, v4
	v_and_b32_e32 v9, 16, v4
	v_cmp_lt_u32_e64 s[2:3], 31, v4
	v_cmp_eq_u32_e64 s[6:7], 0, v4
	v_and_b32_e32 v43, 3, v4
	v_cndmask_b32_e64 v4, v5, v4, s[18:19]
	v_mov_b32_e32 v3, 0
	v_lshlrev_b32_e32 v2, 5, v0
	v_cmp_gt_u32_e32 vcc, 4, v0
	v_cmp_lt_u32_e64 s[0:1], 63, v0
	v_lshlrev_b32_e32 v6, 2, v0
	v_or_b32_e32 v1, 0x100, v0
	v_and_b32_e32 v7, 12, v7
	v_cmp_eq_u32_e64 s[8:9], 0, v8
	v_cmp_lt_u32_e64 s[10:11], 1, v8
	v_cmp_lt_u32_e64 s[12:13], 3, v8
	v_cmp_lt_u32_e64 s[14:15], 7, v8
	v_cmp_eq_u32_e64 s[16:17], 0, v9
	v_cmp_eq_u32_e64 s[18:19], 0, v43
	v_cmp_lt_u32_e64 s[20:21], 1, v43
	v_lshlrev_b32_e32 v8, 2, v4
	s_movk_i32 s26, 0x700
	s_waitcnt vmcnt(7)
	v_xor_b32_e32 v9, 0x80000000, v10
	v_xor_b32_e32 v10, 0x80000000, v11
	v_xor_b32_e32 v11, 0x80000000, v12
	v_xor_b32_e32 v12, 0x80000000, v13
	s_waitcnt vmcnt(6)
	v_xor_b32_e32 v13, 0x80000000, v14
	v_xor_b32_e32 v14, 0x80000000, v15
	v_xor_b32_e32 v15, 0x80000000, v16
	v_xor_b32_e32 v16, 0x80000000, v17
	;; [unrolled: 5-line block ×8, first 2 shown]
	s_branch .LBB27_2
.LBB27_1:                               ;   in Loop: Header=BB27_2 Depth=1
	s_add_i32 s27, s27, 1
	s_cmp_eq_u32 s27, 10
	s_cbranch_scc1 .LBB27_16
.LBB27_2:                               ; =>This Loop Header: Depth=1
                                        ;     Child Loop BB27_4 Depth 2
                                        ;       Child Loop BB27_6 Depth 3
	s_mov_b32 s33, 0
	s_branch .LBB27_4
.LBB27_3:                               ;   in Loop: Header=BB27_4 Depth=2
	s_or_b64 exec, exec, s[28:29]
	s_waitcnt lgkmcnt(0)
	v_add_u32_e32 v103, v104, v103
	ds_bpermute_b32 v103, v8, v103
	ds_read_b32 v106, v3 offset:8204
	s_add_i32 s28, s33, 4
	s_cmp_lt_u32 s33, 28
	s_mov_b32 s33, s28
	s_waitcnt lgkmcnt(1)
	v_cndmask_b32_e64 v103, v103, v104, s[6:7]
	ds_read2_b32 v[104:105], v2 offset1:1
	s_waitcnt lgkmcnt(1)
	v_lshl_add_u32 v103, v106, 16, v103
	ds_read2_b32 v[106:107], v2 offset0:2 offset1:3
	ds_read2_b32 v[108:109], v2 offset0:4 offset1:5
	ds_read_b32 v110, v2 offset:24
	s_waitcnt lgkmcnt(3)
	v_add_u32_e32 v104, v103, v104
	ds_write2_b32 v2, v103, v104 offset1:1
	v_add_u32_e32 v103, v105, v104
	s_waitcnt lgkmcnt(3)
	v_add_u32_e32 v104, v106, v103
	ds_write2_b32 v2, v103, v104 offset0:2 offset1:3
	v_add_u32_e32 v103, v107, v104
	s_waitcnt lgkmcnt(3)
	v_add_u32_e32 v104, v108, v103
	ds_write2_b32 v2, v103, v104 offset0:4 offset1:5
	;; [unrolled: 4-line block ×3, first 2 shown]
	s_waitcnt lgkmcnt(0)
	s_barrier
	s_cbranch_scc0 .LBB27_1
.LBB27_4:                               ;   Parent Loop BB27_2 Depth=1
                                        ; =>  This Loop Header: Depth=2
                                        ;       Child Loop BB27_6 Depth 3
	s_mov_b32 s36, 0
	s_mov_b64 s[28:29], 0
	v_pk_mov_b32 v[4:5], v[0:1], v[0:1] op_sel:[0,1]
	s_branch .LBB27_6
.LBB27_5:                               ;   in Loop: Header=BB27_6 Depth=3
	s_or_b64 exec, exec, s[34:35]
	s_add_i32 s36, s36, 2
	v_cmp_eq_u32_e64 s[30:31], 8, s36
	v_add_u32_e32 v5, 0x200, v5
	s_or_b64 s[28:29], s[30:31], s[28:29]
	v_add_u32_e32 v4, 0x200, v4
	s_andn2_b64 exec, exec, s[28:29]
	s_cbranch_execz .LBB27_10
.LBB27_6:                               ;   Parent Loop BB27_2 Depth=1
                                        ;     Parent Loop BB27_4 Depth=2
                                        ; =>    This Inner Loop Header: Depth=3
	s_or_b32 s30, s36, 1
	v_cmp_le_u32_e64 s[30:31], s30, 7
	v_cmp_le_u32_e64 s[38:39], s36, 7
	s_and_saveexec_b64 s[34:35], s[38:39]
	s_cbranch_execz .LBB27_8
; %bb.7:                                ;   in Loop: Header=BB27_6 Depth=3
	v_lshlrev_b32_e32 v41, 2, v4
	ds_write_b32 v41, v3
.LBB27_8:                               ;   in Loop: Header=BB27_6 Depth=3
	s_or_b64 exec, exec, s[34:35]
	s_and_saveexec_b64 s[34:35], s[30:31]
	s_cbranch_execz .LBB27_5
; %bb.9:                                ;   in Loop: Header=BB27_6 Depth=3
	v_lshlrev_b32_e32 v41, 2, v5
	ds_write_b32 v41, v3
	s_branch .LBB27_5
.LBB27_10:                              ;   in Loop: Header=BB27_4 Depth=2
	s_or_b64 exec, exec, s[28:29]
	s_sub_i32 s28, 28, s33
	v_lshlrev_b32_e32 v4, s28, v9
	v_lshrrev_b32_e32 v5, 20, v4
	v_and_or_b32 v5, v5, s26, v0
	v_alignbit_b32 v4, v5, v4, 31
	v_lshlrev_b32_e32 v5, 1, v4
	ds_read_u16 v4, v5
	v_lshlrev_b32_e32 v41, s28, v10
	v_lshrrev_b32_e32 v42, 20, v41
	v_and_or_b32 v42, v42, s26, v0
	v_alignbit_b32 v41, v42, v41, 31
	s_waitcnt lgkmcnt(0)
	v_add_u16_e32 v42, 1, v4
	ds_write_b16 v5, v42
	v_lshlrev_b32_e32 v43, 1, v41
	ds_read_u16 v41, v43
	v_lshlrev_b32_e32 v42, s28, v11
	v_lshrrev_b32_e32 v44, 20, v42
	v_and_or_b32 v44, v44, s26, v0
	v_alignbit_b32 v42, v44, v42, 31
	s_waitcnt lgkmcnt(0)
	v_add_u16_e32 v45, 1, v41
	ds_write_b16 v43, v45
	;; [unrolled: 9-line block ×3, first 2 shown]
	v_lshlrev_b32_e32 v47, 1, v44
	ds_read_u16 v44, v47
	v_lshlrev_b32_e32 v46, s28, v13
	s_waitcnt lgkmcnt(0)
	v_add_u16_e32 v48, 1, v44
	ds_write_b16 v47, v48
	v_lshrrev_b32_e32 v48, 20, v46
	v_and_or_b32 v48, v48, s26, v0
	v_alignbit_b32 v46, v48, v46, 31
	v_lshlrev_b32_e32 v50, 1, v46
	ds_read_u16 v46, v50
	s_waitcnt lgkmcnt(0)
	v_add_u16_e32 v48, 1, v46
	ds_write_b16 v50, v48
	v_lshlrev_b32_e32 v48, s28, v14
	v_lshrrev_b32_e32 v49, 20, v48
	v_and_or_b32 v49, v49, s26, v0
	v_alignbit_b32 v48, v49, v48, 31
	v_lshlrev_b32_e32 v52, 1, v48
	ds_read_u16 v48, v52
	s_waitcnt lgkmcnt(0)
	v_add_u16_e32 v49, 1, v48
	ds_write_b16 v52, v49
	v_lshlrev_b32_e32 v49, s28, v15
	;; [unrolled: 9-line block ×27, first 2 shown]
	v_lshrrev_b32_e32 v102, 20, v94
	v_and_or_b32 v102, v102, s26, v0
	v_alignbit_b32 v94, v102, v94, 31
	v_lshlrev_b32_e32 v102, 1, v94
	ds_read_u16 v94, v102
	s_waitcnt lgkmcnt(0)
	v_add_u16_e32 v103, 1, v94
	ds_write_b16 v102, v103
	s_waitcnt lgkmcnt(0)
	s_barrier
	ds_read2_b32 v[104:105], v2 offset1:1
	ds_read2_b32 v[106:107], v2 offset0:2 offset1:3
	ds_read2_b32 v[108:109], v2 offset0:4 offset1:5
	;; [unrolled: 1-line block ×3, first 2 shown]
	s_waitcnt lgkmcnt(3)
	v_add_u32_e32 v103, v105, v104
	s_waitcnt lgkmcnt(2)
	v_add3_u32 v103, v103, v106, v107
	s_waitcnt lgkmcnt(1)
	v_add3_u32 v103, v103, v108, v109
	;; [unrolled: 2-line block ×3, first 2 shown]
	s_nop 1
	v_mov_b32_dpp v104, v103 row_shr:1 row_mask:0xf bank_mask:0xf
	v_cndmask_b32_e64 v104, v104, 0, s[8:9]
	v_add_u32_e32 v103, v104, v103
	s_nop 1
	v_mov_b32_dpp v104, v103 row_shr:2 row_mask:0xf bank_mask:0xf
	v_cndmask_b32_e64 v104, 0, v104, s[10:11]
	v_add_u32_e32 v103, v103, v104
	;; [unrolled: 4-line block ×4, first 2 shown]
	s_nop 1
	v_mov_b32_dpp v104, v103 row_bcast:15 row_mask:0xf bank_mask:0xf
	v_cndmask_b32_e64 v104, v104, 0, s[16:17]
	v_add_u32_e32 v103, v103, v104
	s_nop 1
	v_mov_b32_dpp v104, v103 row_bcast:31 row_mask:0xf bank_mask:0xf
	v_cndmask_b32_e64 v104, 0, v104, s[2:3]
	v_add_u32_e32 v103, v103, v104
	s_and_saveexec_b64 s[28:29], s[4:5]
	s_cbranch_execz .LBB27_12
; %bb.11:                               ;   in Loop: Header=BB27_4 Depth=2
	ds_write_b32 v7, v103 offset:8192
.LBB27_12:                              ;   in Loop: Header=BB27_4 Depth=2
	s_or_b64 exec, exec, s[28:29]
	s_waitcnt lgkmcnt(0)
	s_barrier
	s_and_saveexec_b64 s[28:29], vcc
	s_cbranch_execz .LBB27_14
; %bb.13:                               ;   in Loop: Header=BB27_4 Depth=2
	ds_read_b32 v104, v6 offset:8192
	s_waitcnt lgkmcnt(0)
	s_nop 0
	v_mov_b32_dpp v105, v104 row_shr:1 row_mask:0xf bank_mask:0xf
	v_cndmask_b32_e64 v105, v105, 0, s[18:19]
	v_add_u32_e32 v104, v105, v104
	s_nop 1
	v_mov_b32_dpp v105, v104 row_shr:2 row_mask:0xf bank_mask:0xf
	v_cndmask_b32_e64 v105, 0, v105, s[20:21]
	v_add_u32_e32 v104, v104, v105
	ds_write_b32 v6, v104 offset:8192
.LBB27_14:                              ;   in Loop: Header=BB27_4 Depth=2
	s_or_b64 exec, exec, s[28:29]
	v_mov_b32_e32 v104, 0
	s_waitcnt lgkmcnt(0)
	s_barrier
	s_and_saveexec_b64 s[28:29], s[0:1]
	s_cbranch_execz .LBB27_3
; %bb.15:                               ;   in Loop: Header=BB27_4 Depth=2
	ds_read_b32 v104, v7 offset:8188
	s_branch .LBB27_3
.LBB27_16:
	ds_read_u16 v0, v102
	ds_read_u16 v1, v101
	;; [unrolled: 1-line block ×32, first 2 shown]
	s_add_u32 s0, s22, s24
	s_waitcnt lgkmcnt(8)
	v_add_u32_sdwa v4, v5, v4 dst_sel:DWORD dst_unused:UNUSED_PAD src0_sel:DWORD src1_sel:WORD_0
	v_add_u32_sdwa v5, v12, v41 dst_sel:DWORD dst_unused:UNUSED_PAD src0_sel:DWORD src1_sel:WORD_0
	;; [unrolled: 1-line block ×5, first 2 shown]
	s_addc_u32 s1, s23, s25
	v_lshlrev_b32_e32 v0, 2, v2
	v_add_u32_sdwa v8, v8, v46 dst_sel:DWORD dst_unused:UNUSED_PAD src0_sel:DWORD src1_sel:WORD_0
	v_add_u32_sdwa v9, v9, v48 dst_sel:DWORD dst_unused:UNUSED_PAD src0_sel:DWORD src1_sel:WORD_0
	;; [unrolled: 1-line block ×4, first 2 shown]
	s_waitcnt lgkmcnt(0)
	v_add_u32_sdwa v12, v33, v53 dst_sel:DWORD dst_unused:UNUSED_PAD src0_sel:DWORD src1_sel:WORD_0
	v_add_u32_sdwa v13, v13, v55 dst_sel:DWORD dst_unused:UNUSED_PAD src0_sel:DWORD src1_sel:WORD_0
	;; [unrolled: 1-line block ×23, first 2 shown]
	global_store_dwordx4 v0, v[4:7], s[0:1]
	global_store_dwordx4 v0, v[8:11], s[0:1] offset:16
	global_store_dwordx4 v0, v[12:15], s[0:1] offset:32
	;; [unrolled: 1-line block ×7, first 2 shown]
	s_endpgm
	.section	.rodata,"a",@progbits
	.p2align	6, 0x0
	.amdhsa_kernel _Z11rank_kernelIiLj4ELb0EL18RadixRankAlgorithm0ELj256ELj32ELj10EEvPKT_Pi
		.amdhsa_group_segment_fixed_size 8208
		.amdhsa_private_segment_fixed_size 0
		.amdhsa_kernarg_size 16
		.amdhsa_user_sgpr_count 6
		.amdhsa_user_sgpr_private_segment_buffer 1
		.amdhsa_user_sgpr_dispatch_ptr 0
		.amdhsa_user_sgpr_queue_ptr 0
		.amdhsa_user_sgpr_kernarg_segment_ptr 1
		.amdhsa_user_sgpr_dispatch_id 0
		.amdhsa_user_sgpr_flat_scratch_init 0
		.amdhsa_user_sgpr_kernarg_preload_length 0
		.amdhsa_user_sgpr_kernarg_preload_offset 0
		.amdhsa_user_sgpr_private_segment_size 0
		.amdhsa_uses_dynamic_stack 0
		.amdhsa_system_sgpr_private_segment_wavefront_offset 0
		.amdhsa_system_sgpr_workgroup_id_x 1
		.amdhsa_system_sgpr_workgroup_id_y 0
		.amdhsa_system_sgpr_workgroup_id_z 0
		.amdhsa_system_sgpr_workgroup_info 0
		.amdhsa_system_vgpr_workitem_id 0
		.amdhsa_next_free_vgpr 112
		.amdhsa_next_free_sgpr 40
		.amdhsa_accum_offset 112
		.amdhsa_reserve_vcc 1
		.amdhsa_reserve_flat_scratch 0
		.amdhsa_float_round_mode_32 0
		.amdhsa_float_round_mode_16_64 0
		.amdhsa_float_denorm_mode_32 3
		.amdhsa_float_denorm_mode_16_64 3
		.amdhsa_dx10_clamp 1
		.amdhsa_ieee_mode 1
		.amdhsa_fp16_overflow 0
		.amdhsa_tg_split 0
		.amdhsa_exception_fp_ieee_invalid_op 0
		.amdhsa_exception_fp_denorm_src 0
		.amdhsa_exception_fp_ieee_div_zero 0
		.amdhsa_exception_fp_ieee_overflow 0
		.amdhsa_exception_fp_ieee_underflow 0
		.amdhsa_exception_fp_ieee_inexact 0
		.amdhsa_exception_int_div_zero 0
	.end_amdhsa_kernel
	.section	.text._Z11rank_kernelIiLj4ELb0EL18RadixRankAlgorithm0ELj256ELj32ELj10EEvPKT_Pi,"axG",@progbits,_Z11rank_kernelIiLj4ELb0EL18RadixRankAlgorithm0ELj256ELj32ELj10EEvPKT_Pi,comdat
.Lfunc_end27:
	.size	_Z11rank_kernelIiLj4ELb0EL18RadixRankAlgorithm0ELj256ELj32ELj10EEvPKT_Pi, .Lfunc_end27-_Z11rank_kernelIiLj4ELb0EL18RadixRankAlgorithm0ELj256ELj32ELj10EEvPKT_Pi
                                        ; -- End function
	.section	.AMDGPU.csdata,"",@progbits
; Kernel info:
; codeLenInByte = 3552
; NumSgprs: 44
; NumVgprs: 112
; NumAgprs: 0
; TotalNumVgprs: 112
; ScratchSize: 0
; MemoryBound: 0
; FloatMode: 240
; IeeeMode: 1
; LDSByteSize: 8208 bytes/workgroup (compile time only)
; SGPRBlocks: 5
; VGPRBlocks: 13
; NumSGPRsForWavesPerEU: 44
; NumVGPRsForWavesPerEU: 112
; AccumOffset: 112
; Occupancy: 4
; WaveLimiterHint : 0
; COMPUTE_PGM_RSRC2:SCRATCH_EN: 0
; COMPUTE_PGM_RSRC2:USER_SGPR: 6
; COMPUTE_PGM_RSRC2:TRAP_HANDLER: 0
; COMPUTE_PGM_RSRC2:TGID_X_EN: 1
; COMPUTE_PGM_RSRC2:TGID_Y_EN: 0
; COMPUTE_PGM_RSRC2:TGID_Z_EN: 0
; COMPUTE_PGM_RSRC2:TIDIG_COMP_CNT: 0
; COMPUTE_PGM_RSRC3_GFX90A:ACCUM_OFFSET: 27
; COMPUTE_PGM_RSRC3_GFX90A:TG_SPLIT: 0
	.section	.text._Z11rank_kernelIiLj4ELb0EL18RadixRankAlgorithm1ELj256ELj32ELj10EEvPKT_Pi,"axG",@progbits,_Z11rank_kernelIiLj4ELb0EL18RadixRankAlgorithm1ELj256ELj32ELj10EEvPKT_Pi,comdat
	.protected	_Z11rank_kernelIiLj4ELb0EL18RadixRankAlgorithm1ELj256ELj32ELj10EEvPKT_Pi ; -- Begin function _Z11rank_kernelIiLj4ELb0EL18RadixRankAlgorithm1ELj256ELj32ELj10EEvPKT_Pi
	.globl	_Z11rank_kernelIiLj4ELb0EL18RadixRankAlgorithm1ELj256ELj32ELj10EEvPKT_Pi
	.p2align	8
	.type	_Z11rank_kernelIiLj4ELb0EL18RadixRankAlgorithm1ELj256ELj32ELj10EEvPKT_Pi,@function
_Z11rank_kernelIiLj4ELb0EL18RadixRankAlgorithm1ELj256ELj32ELj10EEvPKT_Pi: ; @_Z11rank_kernelIiLj4ELb0EL18RadixRankAlgorithm1ELj256ELj32ELj10EEvPKT_Pi
; %bb.0:
	s_load_dwordx4 s[20:23], s[4:5], 0x0
	s_lshl_b32 s26, s6, 13
	s_mov_b32 s27, 0
	s_lshl_b64 s[24:25], s[26:27], 2
	v_lshlrev_b32_e32 v1, 7, v0
	s_waitcnt lgkmcnt(0)
	s_add_u32 s0, s20, s24
	s_addc_u32 s1, s21, s25
	global_load_dwordx4 v[4:7], v1, s[0:1]
	global_load_dwordx4 v[8:11], v1, s[0:1] offset:16
	global_load_dwordx4 v[24:27], v1, s[0:1] offset:32
	;; [unrolled: 1-line block ×7, first 2 shown]
	v_mbcnt_lo_u32_b32 v1, -1, 0
	v_mbcnt_hi_u32_b32 v14, -1, v1
	v_add_u32_e32 v18, -1, v14
	v_and_b32_e32 v19, 64, v14
	v_or_b32_e32 v13, 63, v0
	v_lshrrev_b32_e32 v15, 4, v0
	v_cmp_lt_i32_e64 s[18:19], v18, v19
	v_and_b32_e32 v16, 15, v14
	v_and_b32_e32 v17, 16, v14
	v_cmp_lt_u32_e64 s[2:3], 31, v14
	v_cmp_eq_u32_e64 s[4:5], v13, v0
	v_cmp_eq_u32_e64 s[6:7], 0, v14
	v_and_b32_e32 v13, 12, v15
	v_and_b32_e32 v15, 3, v14
	v_cndmask_b32_e64 v14, v18, v14, s[18:19]
	v_mov_b32_e32 v3, 0
	v_lshlrev_b32_e32 v2, 5, v0
	v_cmp_gt_u32_e32 vcc, 4, v0
	v_cmp_lt_u32_e64 s[0:1], 63, v0
	v_lshlrev_b32_e32 v12, 2, v0
	v_or_b32_e32 v1, 0x100, v0
	v_cmp_eq_u32_e64 s[8:9], 0, v16
	v_cmp_lt_u32_e64 s[10:11], 1, v16
	v_cmp_lt_u32_e64 s[12:13], 3, v16
	;; [unrolled: 1-line block ×3, first 2 shown]
	v_cmp_eq_u32_e64 s[16:17], 0, v17
	v_cmp_eq_u32_e64 s[18:19], 0, v15
	v_cmp_lt_u32_e64 s[20:21], 1, v15
	v_lshlrev_b32_e32 v14, 2, v14
	s_movk_i32 s26, 0x700
	s_waitcnt vmcnt(7)
	v_xor_b32_e32 v15, 0x80000000, v4
	v_xor_b32_e32 v16, 0x80000000, v5
	v_xor_b32_e32 v17, 0x80000000, v6
	v_xor_b32_e32 v18, 0x80000000, v7
	s_waitcnt vmcnt(6)
	v_xor_b32_e32 v19, 0x80000000, v8
	v_xor_b32_e32 v20, 0x80000000, v9
	v_xor_b32_e32 v21, 0x80000000, v10
	v_xor_b32_e32 v22, 0x80000000, v11
	;; [unrolled: 5-line block ×8, first 2 shown]
	s_branch .LBB28_2
.LBB28_1:                               ;   in Loop: Header=BB28_2 Depth=1
	s_add_i32 s27, s27, 1
	s_cmp_eq_u32 s27, 10
	s_cbranch_scc1 .LBB28_16
.LBB28_2:                               ; =>This Loop Header: Depth=1
                                        ;     Child Loop BB28_4 Depth 2
                                        ;       Child Loop BB28_6 Depth 3
	s_mov_b32 s33, 0
	s_branch .LBB28_4
.LBB28_3:                               ;   in Loop: Header=BB28_4 Depth=2
	s_or_b64 exec, exec, s[28:29]
	s_waitcnt lgkmcnt(0)
	v_add_u32_e32 v9, v111, v9
	ds_bpermute_b32 v9, v14, v9
	ds_read_b32 v112, v3 offset:8204
	s_add_i32 s28, s33, 4
	s_cmp_lt_u32 s33, 28
	s_mov_b32 s33, s28
	s_waitcnt lgkmcnt(1)
	v_cndmask_b32_e64 v9, v9, v111, s[6:7]
	s_waitcnt lgkmcnt(0)
	v_lshl_add_u32 v9, v112, 16, v9
	v_add_u32_e32 v10, v9, v10
	v_add_u32_e32 v11, v10, v11
	;; [unrolled: 1-line block ×6, first 2 shown]
	ds_write2_b32 v2, v9, v10 offset1:1
	ds_write2_b32 v2, v11, v6 offset0:2 offset1:3
	v_add_u32_e32 v6, v5, v8
	ds_write2_b32 v2, v7, v4 offset0:4 offset1:5
	ds_write2_b32 v2, v5, v6 offset0:6 offset1:7
	s_waitcnt lgkmcnt(0)
	s_barrier
	s_cbranch_scc0 .LBB28_1
.LBB28_4:                               ;   Parent Loop BB28_2 Depth=1
                                        ; =>  This Loop Header: Depth=2
                                        ;       Child Loop BB28_6 Depth 3
	s_mov_b32 s36, 0
	s_mov_b64 s[28:29], 0
	v_pk_mov_b32 v[4:5], v[0:1], v[0:1] op_sel:[0,1]
	s_branch .LBB28_6
.LBB28_5:                               ;   in Loop: Header=BB28_6 Depth=3
	s_or_b64 exec, exec, s[34:35]
	s_add_i32 s36, s36, 2
	v_cmp_eq_u32_e64 s[30:31], 8, s36
	v_add_u32_e32 v5, 0x200, v5
	s_or_b64 s[28:29], s[30:31], s[28:29]
	v_add_u32_e32 v4, 0x200, v4
	s_andn2_b64 exec, exec, s[28:29]
	s_cbranch_execz .LBB28_10
.LBB28_6:                               ;   Parent Loop BB28_2 Depth=1
                                        ;     Parent Loop BB28_4 Depth=2
                                        ; =>    This Inner Loop Header: Depth=3
	s_or_b32 s30, s36, 1
	v_cmp_le_u32_e64 s[30:31], s30, 7
	v_cmp_le_u32_e64 s[38:39], s36, 7
	s_and_saveexec_b64 s[34:35], s[38:39]
	s_cbranch_execz .LBB28_8
; %bb.7:                                ;   in Loop: Header=BB28_6 Depth=3
	v_lshlrev_b32_e32 v6, 2, v4
	ds_write_b32 v6, v3
.LBB28_8:                               ;   in Loop: Header=BB28_6 Depth=3
	s_or_b64 exec, exec, s[34:35]
	s_and_saveexec_b64 s[34:35], s[30:31]
	s_cbranch_execz .LBB28_5
; %bb.9:                                ;   in Loop: Header=BB28_6 Depth=3
	v_lshlrev_b32_e32 v6, 2, v5
	ds_write_b32 v6, v3
	s_branch .LBB28_5
.LBB28_10:                              ;   in Loop: Header=BB28_4 Depth=2
	s_or_b64 exec, exec, s[28:29]
	s_sub_i32 s28, 28, s33
	v_lshlrev_b32_e32 v4, s28, v15
	v_lshrrev_b32_e32 v5, 20, v4
	v_and_or_b32 v5, v5, s26, v0
	v_alignbit_b32 v4, v5, v4, 31
	v_lshlrev_b32_e32 v48, 1, v4
	ds_read_u16 v47, v48
	v_lshlrev_b32_e32 v4, s28, v16
	v_lshrrev_b32_e32 v5, 20, v4
	v_and_or_b32 v5, v5, s26, v0
	v_alignbit_b32 v4, v5, v4, 31
	s_waitcnt lgkmcnt(0)
	v_add_u16_e32 v5, 1, v47
	ds_write_b16 v48, v5
	v_lshlrev_b32_e32 v51, 1, v4
	ds_read_u16 v49, v51
	v_lshlrev_b32_e32 v4, s28, v17
	v_lshrrev_b32_e32 v5, 20, v4
	v_and_or_b32 v5, v5, s26, v0
	v_alignbit_b32 v4, v5, v4, 31
	s_waitcnt lgkmcnt(0)
	v_add_u16_e32 v6, 1, v49
	ds_write_b16 v51, v6
	;; [unrolled: 9-line block ×3, first 2 shown]
	v_lshlrev_b32_e32 v55, 1, v4
	ds_read_u16 v52, v55
	v_lshlrev_b32_e32 v4, s28, v19
	s_waitcnt lgkmcnt(0)
	v_add_u16_e32 v5, 1, v52
	ds_write_b16 v55, v5
	v_lshrrev_b32_e32 v5, 20, v4
	v_and_or_b32 v5, v5, s26, v0
	v_alignbit_b32 v4, v5, v4, 31
	v_lshlrev_b32_e32 v58, 1, v4
	ds_read_u16 v54, v58
	s_waitcnt lgkmcnt(0)
	v_add_u16_e32 v4, 1, v54
	ds_write_b16 v58, v4
	v_lshlrev_b32_e32 v4, s28, v20
	v_lshrrev_b32_e32 v5, 20, v4
	v_and_or_b32 v5, v5, s26, v0
	v_alignbit_b32 v4, v5, v4, 31
	v_lshlrev_b32_e32 v60, 1, v4
	ds_read_u16 v56, v60
	s_waitcnt lgkmcnt(0)
	v_add_u16_e32 v4, 1, v56
	ds_write_b16 v60, v4
	v_lshlrev_b32_e32 v4, s28, v21
	;; [unrolled: 9-line block ×27, first 2 shown]
	v_lshrrev_b32_e32 v5, 20, v4
	v_and_or_b32 v5, v5, s26, v0
	v_alignbit_b32 v4, v5, v4, 31
	v_lshlrev_b32_e32 v110, 1, v4
	ds_read_u16 v102, v110
	s_waitcnt lgkmcnt(0)
	v_add_u16_e32 v4, 1, v102
	ds_write_b16 v110, v4
	s_waitcnt lgkmcnt(0)
	s_barrier
	ds_read2_b32 v[10:11], v2 offset1:1
	ds_read2_b32 v[6:7], v2 offset0:2 offset1:3
	ds_read2_b32 v[4:5], v2 offset0:4 offset1:5
	ds_read2_b32 v[8:9], v2 offset0:6 offset1:7
	s_waitcnt lgkmcnt(3)
	v_add_u32_e32 v111, v11, v10
	s_waitcnt lgkmcnt(2)
	v_add3_u32 v111, v111, v6, v7
	s_waitcnt lgkmcnt(1)
	v_add3_u32 v111, v111, v4, v5
	;; [unrolled: 2-line block ×3, first 2 shown]
	s_nop 1
	v_mov_b32_dpp v111, v9 row_shr:1 row_mask:0xf bank_mask:0xf
	v_cndmask_b32_e64 v111, v111, 0, s[8:9]
	v_add_u32_e32 v9, v111, v9
	s_nop 1
	v_mov_b32_dpp v111, v9 row_shr:2 row_mask:0xf bank_mask:0xf
	v_cndmask_b32_e64 v111, 0, v111, s[10:11]
	v_add_u32_e32 v9, v9, v111
	;; [unrolled: 4-line block ×4, first 2 shown]
	s_nop 1
	v_mov_b32_dpp v111, v9 row_bcast:15 row_mask:0xf bank_mask:0xf
	v_cndmask_b32_e64 v111, v111, 0, s[16:17]
	v_add_u32_e32 v9, v9, v111
	s_nop 1
	v_mov_b32_dpp v111, v9 row_bcast:31 row_mask:0xf bank_mask:0xf
	v_cndmask_b32_e64 v111, 0, v111, s[2:3]
	v_add_u32_e32 v9, v9, v111
	s_and_saveexec_b64 s[28:29], s[4:5]
	s_cbranch_execz .LBB28_12
; %bb.11:                               ;   in Loop: Header=BB28_4 Depth=2
	ds_write_b32 v13, v9 offset:8192
.LBB28_12:                              ;   in Loop: Header=BB28_4 Depth=2
	s_or_b64 exec, exec, s[28:29]
	s_waitcnt lgkmcnt(0)
	s_barrier
	s_and_saveexec_b64 s[28:29], vcc
	s_cbranch_execz .LBB28_14
; %bb.13:                               ;   in Loop: Header=BB28_4 Depth=2
	ds_read_b32 v111, v12 offset:8192
	s_waitcnt lgkmcnt(0)
	s_nop 0
	v_mov_b32_dpp v112, v111 row_shr:1 row_mask:0xf bank_mask:0xf
	v_cndmask_b32_e64 v112, v112, 0, s[18:19]
	v_add_u32_e32 v111, v112, v111
	s_nop 1
	v_mov_b32_dpp v112, v111 row_shr:2 row_mask:0xf bank_mask:0xf
	v_cndmask_b32_e64 v112, 0, v112, s[20:21]
	v_add_u32_e32 v111, v111, v112
	ds_write_b32 v12, v111 offset:8192
.LBB28_14:                              ;   in Loop: Header=BB28_4 Depth=2
	s_or_b64 exec, exec, s[28:29]
	v_mov_b32_e32 v111, 0
	s_waitcnt lgkmcnt(0)
	s_barrier
	s_and_saveexec_b64 s[28:29], s[0:1]
	s_cbranch_execz .LBB28_3
; %bb.15:                               ;   in Loop: Header=BB28_4 Depth=2
	ds_read_b32 v111, v13 offset:8188
	s_branch .LBB28_3
.LBB28_16:
	ds_read_u16 v0, v110
	ds_read_u16 v1, v109
	;; [unrolled: 1-line block ×32, first 2 shown]
	s_add_u32 s0, s22, s24
	s_waitcnt lgkmcnt(8)
	v_add_u32_sdwa v4, v4, v47 dst_sel:DWORD dst_unused:UNUSED_PAD src0_sel:DWORD src1_sel:WORD_0
	v_add_u32_sdwa v5, v5, v49 dst_sel:DWORD dst_unused:UNUSED_PAD src0_sel:DWORD src1_sel:WORD_0
	v_add_u32_sdwa v6, v6, v50 dst_sel:DWORD dst_unused:UNUSED_PAD src0_sel:DWORD src1_sel:WORD_0
	v_add_u32_sdwa v7, v7, v52 dst_sel:DWORD dst_unused:UNUSED_PAD src0_sel:DWORD src1_sel:WORD_0
	v_add_u32_sdwa v35, v0, v102 dst_sel:DWORD dst_unused:UNUSED_PAD src0_sel:DWORD src1_sel:WORD_0
	s_addc_u32 s1, s23, s25
	v_lshlrev_b32_e32 v0, 2, v2
	v_add_u32_sdwa v8, v8, v54 dst_sel:DWORD dst_unused:UNUSED_PAD src0_sel:DWORD src1_sel:WORD_0
	v_add_u32_sdwa v9, v9, v56 dst_sel:DWORD dst_unused:UNUSED_PAD src0_sel:DWORD src1_sel:WORD_0
	;; [unrolled: 1-line block ×4, first 2 shown]
	s_waitcnt lgkmcnt(0)
	v_add_u32_sdwa v12, v12, v61 dst_sel:DWORD dst_unused:UNUSED_PAD src0_sel:DWORD src1_sel:WORD_0
	v_add_u32_sdwa v13, v13, v63 dst_sel:DWORD dst_unused:UNUSED_PAD src0_sel:DWORD src1_sel:WORD_0
	;; [unrolled: 1-line block ×23, first 2 shown]
	global_store_dwordx4 v0, v[4:7], s[0:1]
	global_store_dwordx4 v0, v[8:11], s[0:1] offset:16
	global_store_dwordx4 v0, v[12:15], s[0:1] offset:32
	;; [unrolled: 1-line block ×7, first 2 shown]
	s_endpgm
	.section	.rodata,"a",@progbits
	.p2align	6, 0x0
	.amdhsa_kernel _Z11rank_kernelIiLj4ELb0EL18RadixRankAlgorithm1ELj256ELj32ELj10EEvPKT_Pi
		.amdhsa_group_segment_fixed_size 8208
		.amdhsa_private_segment_fixed_size 0
		.amdhsa_kernarg_size 16
		.amdhsa_user_sgpr_count 6
		.amdhsa_user_sgpr_private_segment_buffer 1
		.amdhsa_user_sgpr_dispatch_ptr 0
		.amdhsa_user_sgpr_queue_ptr 0
		.amdhsa_user_sgpr_kernarg_segment_ptr 1
		.amdhsa_user_sgpr_dispatch_id 0
		.amdhsa_user_sgpr_flat_scratch_init 0
		.amdhsa_user_sgpr_kernarg_preload_length 0
		.amdhsa_user_sgpr_kernarg_preload_offset 0
		.amdhsa_user_sgpr_private_segment_size 0
		.amdhsa_uses_dynamic_stack 0
		.amdhsa_system_sgpr_private_segment_wavefront_offset 0
		.amdhsa_system_sgpr_workgroup_id_x 1
		.amdhsa_system_sgpr_workgroup_id_y 0
		.amdhsa_system_sgpr_workgroup_id_z 0
		.amdhsa_system_sgpr_workgroup_info 0
		.amdhsa_system_vgpr_workitem_id 0
		.amdhsa_next_free_vgpr 113
		.amdhsa_next_free_sgpr 40
		.amdhsa_accum_offset 116
		.amdhsa_reserve_vcc 1
		.amdhsa_reserve_flat_scratch 0
		.amdhsa_float_round_mode_32 0
		.amdhsa_float_round_mode_16_64 0
		.amdhsa_float_denorm_mode_32 3
		.amdhsa_float_denorm_mode_16_64 3
		.amdhsa_dx10_clamp 1
		.amdhsa_ieee_mode 1
		.amdhsa_fp16_overflow 0
		.amdhsa_tg_split 0
		.amdhsa_exception_fp_ieee_invalid_op 0
		.amdhsa_exception_fp_denorm_src 0
		.amdhsa_exception_fp_ieee_div_zero 0
		.amdhsa_exception_fp_ieee_overflow 0
		.amdhsa_exception_fp_ieee_underflow 0
		.amdhsa_exception_fp_ieee_inexact 0
		.amdhsa_exception_int_div_zero 0
	.end_amdhsa_kernel
	.section	.text._Z11rank_kernelIiLj4ELb0EL18RadixRankAlgorithm1ELj256ELj32ELj10EEvPKT_Pi,"axG",@progbits,_Z11rank_kernelIiLj4ELb0EL18RadixRankAlgorithm1ELj256ELj32ELj10EEvPKT_Pi,comdat
.Lfunc_end28:
	.size	_Z11rank_kernelIiLj4ELb0EL18RadixRankAlgorithm1ELj256ELj32ELj10EEvPKT_Pi, .Lfunc_end28-_Z11rank_kernelIiLj4ELb0EL18RadixRankAlgorithm1ELj256ELj32ELj10EEvPKT_Pi
                                        ; -- End function
	.section	.AMDGPU.csdata,"",@progbits
; Kernel info:
; codeLenInByte = 3504
; NumSgprs: 44
; NumVgprs: 113
; NumAgprs: 0
; TotalNumVgprs: 113
; ScratchSize: 0
; MemoryBound: 0
; FloatMode: 240
; IeeeMode: 1
; LDSByteSize: 8208 bytes/workgroup (compile time only)
; SGPRBlocks: 5
; VGPRBlocks: 14
; NumSGPRsForWavesPerEU: 44
; NumVGPRsForWavesPerEU: 113
; AccumOffset: 116
; Occupancy: 4
; WaveLimiterHint : 0
; COMPUTE_PGM_RSRC2:SCRATCH_EN: 0
; COMPUTE_PGM_RSRC2:USER_SGPR: 6
; COMPUTE_PGM_RSRC2:TRAP_HANDLER: 0
; COMPUTE_PGM_RSRC2:TGID_X_EN: 1
; COMPUTE_PGM_RSRC2:TGID_Y_EN: 0
; COMPUTE_PGM_RSRC2:TGID_Z_EN: 0
; COMPUTE_PGM_RSRC2:TIDIG_COMP_CNT: 0
; COMPUTE_PGM_RSRC3_GFX90A:ACCUM_OFFSET: 28
; COMPUTE_PGM_RSRC3_GFX90A:TG_SPLIT: 0
	.section	.text._Z11rank_kernelIiLj4ELb0EL18RadixRankAlgorithm2ELj256ELj32ELj10EEvPKT_Pi,"axG",@progbits,_Z11rank_kernelIiLj4ELb0EL18RadixRankAlgorithm2ELj256ELj32ELj10EEvPKT_Pi,comdat
	.protected	_Z11rank_kernelIiLj4ELb0EL18RadixRankAlgorithm2ELj256ELj32ELj10EEvPKT_Pi ; -- Begin function _Z11rank_kernelIiLj4ELb0EL18RadixRankAlgorithm2ELj256ELj32ELj10EEvPKT_Pi
	.globl	_Z11rank_kernelIiLj4ELb0EL18RadixRankAlgorithm2ELj256ELj32ELj10EEvPKT_Pi
	.p2align	8
	.type	_Z11rank_kernelIiLj4ELb0EL18RadixRankAlgorithm2ELj256ELj32ELj10EEvPKT_Pi,@function
_Z11rank_kernelIiLj4ELb0EL18RadixRankAlgorithm2ELj256ELj32ELj10EEvPKT_Pi: ; @_Z11rank_kernelIiLj4ELb0EL18RadixRankAlgorithm2ELj256ELj32ELj10EEvPKT_Pi
; %bb.0:
	s_load_dwordx4 s[24:27], s[4:5], 0x0
	s_load_dword s22, s[4:5], 0x1c
	s_lshl_b32 s30, s6, 13
	s_mov_b32 s31, 0
	s_lshl_b64 s[28:29], s[30:31], 2
	s_waitcnt lgkmcnt(0)
	s_add_u32 s0, s24, s28
	v_and_b32_e32 v4, 0x3ff, v0
	s_addc_u32 s1, s25, s29
	v_lshlrev_b32_e32 v1, 7, v4
	global_load_dwordx4 v[10:13], v1, s[0:1]
	global_load_dwordx4 v[14:17], v1, s[0:1] offset:16
	global_load_dwordx4 v[18:21], v1, s[0:1] offset:32
	;; [unrolled: 1-line block ×7, first 2 shown]
	v_mbcnt_lo_u32_b32 v1, -1, 0
	v_mbcnt_hi_u32_b32 v6, -1, v1
	v_bfe_u32 v3, v0, 10, 10
	v_bfe_u32 v5, v0, 20, 10
	v_add_u32_e32 v38, -1, v6
	v_and_b32_e32 v39, 64, v6
	s_lshr_b32 s23, s22, 16
	v_and_b32_e32 v7, 15, v6
	v_or_b32_e32 v9, 63, v4
	v_lshrrev_b32_e32 v44, 4, v4
	v_cmp_lt_i32_e64 s[18:19], v38, v39
	s_and_b32 s22, s22, 0xffff
	v_mad_u32_u24 v3, v5, s23, v3
	v_lshlrev_b32_e32 v0, 5, v4
	v_lshlrev_b32_e32 v1, 2, v4
	v_and_b32_e32 v8, 16, v6
	v_cmp_lt_u32_e32 vcc, 31, v6
	v_cmp_gt_u32_e64 s[0:1], 4, v4
	v_cmp_lt_u32_e64 s[2:3], 63, v4
	v_cmp_eq_u32_e64 s[4:5], 0, v6
	v_and_b32_e32 v45, 3, v6
	v_cmp_eq_u32_e64 s[6:7], 0, v7
	v_cmp_lt_u32_e64 s[8:9], 1, v7
	v_cmp_lt_u32_e64 s[10:11], 3, v7
	;; [unrolled: 1-line block ×3, first 2 shown]
	v_cmp_eq_u32_e64 s[16:17], v9, v4
	v_cndmask_b32_e64 v6, v38, v6, s[18:19]
	v_and_b32_e32 v7, 12, v44
	v_mad_u64_u32 v[4:5], s[22:23], v3, s22, v[4:5]
	v_mov_b32_e32 v2, 0
	v_cmp_eq_u32_e64 s[14:15], 0, v8
	v_cmp_eq_u32_e64 s[18:19], 0, v45
	v_cmp_lt_u32_e64 s[20:21], 1, v45
	v_lshlrev_b32_e32 v8, 2, v6
	v_lshrrev_b32_e32 v9, 6, v4
	s_waitcnt vmcnt(7)
	v_xor_b32_e32 v10, 0x80000000, v10
	v_xor_b32_e32 v11, 0x80000000, v11
	v_xor_b32_e32 v12, 0x80000000, v12
	v_xor_b32_e32 v13, 0x80000000, v13
	s_waitcnt vmcnt(6)
	v_xor_b32_e32 v14, 0x80000000, v14
	v_xor_b32_e32 v15, 0x80000000, v15
	v_xor_b32_e32 v16, 0x80000000, v16
	v_xor_b32_e32 v17, 0x80000000, v17
	s_waitcnt vmcnt(5)
	v_xor_b32_e32 v18, 0x80000000, v18
	v_xor_b32_e32 v19, 0x80000000, v19
	v_xor_b32_e32 v20, 0x80000000, v20
	v_xor_b32_e32 v21, 0x80000000, v21
	s_waitcnt vmcnt(4)
	v_xor_b32_e32 v22, 0x80000000, v22
	v_xor_b32_e32 v23, 0x80000000, v23
	v_xor_b32_e32 v24, 0x80000000, v24
	v_xor_b32_e32 v25, 0x80000000, v25
	s_waitcnt vmcnt(3)
	v_xor_b32_e32 v26, 0x80000000, v26
	v_xor_b32_e32 v27, 0x80000000, v27
	v_xor_b32_e32 v28, 0x80000000, v28
	v_xor_b32_e32 v29, 0x80000000, v29
	s_waitcnt vmcnt(2)
	v_xor_b32_e32 v30, 0x80000000, v30
	v_xor_b32_e32 v31, 0x80000000, v31
	v_xor_b32_e32 v32, 0x80000000, v32
	v_xor_b32_e32 v33, 0x80000000, v33
	s_waitcnt vmcnt(1)
	v_xor_b32_e32 v34, 0x80000000, v34
	v_xor_b32_e32 v35, 0x80000000, v35
	v_xor_b32_e32 v36, 0x80000000, v36
	v_xor_b32_e32 v37, 0x80000000, v37
	s_waitcnt vmcnt(0)
	v_xor_b32_e32 v38, 0x80000000, v40
	v_xor_b32_e32 v40, 0x80000000, v41
	v_xor_b32_e32 v41, 0x80000000, v42
	v_xor_b32_e32 v42, 0x80000000, v43
	v_add_u32_e32 v43, -4, v7
	s_branch .LBB29_2
.LBB29_1:                               ;   in Loop: Header=BB29_2 Depth=1
	s_add_i32 s31, s31, 1
	s_cmp_eq_u32 s31, 10
	s_cbranch_scc1 .LBB29_74
.LBB29_2:                               ; =>This Loop Header: Depth=1
                                        ;     Child Loop BB29_4 Depth 2
	s_mov_b32 s30, -4
	s_mov_b32 s33, 28
	s_branch .LBB29_4
.LBB29_3:                               ;   in Loop: Header=BB29_4 Depth=2
	s_or_b64 exec, exec, s[22:23]
	s_waitcnt lgkmcnt(0)
	v_add_u32_e32 v4, v5, v4
	ds_bpermute_b32 v4, v8, v4
	s_add_i32 s33, s33, -4
	s_add_i32 s30, s30, 4
	s_cmp_lt_u32 s30, 28
	s_waitcnt lgkmcnt(0)
	v_cndmask_b32_e64 v4, v4, v5, s[4:5]
	ds_write_b32 v1, v4 offset:16
	s_waitcnt lgkmcnt(0)
	s_barrier
	s_cbranch_scc0 .LBB29_1
.LBB29_4:                               ;   Parent Loop BB29_2 Depth=1
                                        ; =>  This Inner Loop Header: Depth=2
	v_lshlrev_b32_e32 v4, s33, v10
	v_lshrrev_b32_e32 v5, 28, v4
	v_mad_u32_u24 v3, v5, 5, v9
	v_lshl_add_u32 v6, v3, 2, 16
	v_bfe_u32 v3, v4, 28, 1
	v_add_co_u32_e64 v39, s[22:23], -1, v3
	v_addc_co_u32_e64 v44, s[22:23], 0, -1, s[22:23]
	v_cmp_ne_u32_e64 s[22:23], 0, v3
	v_xor_b32_e32 v3, s23, v44
	v_and_b32_e32 v44, exec_hi, v3
	v_lshlrev_b32_e32 v3, 30, v5
	v_xor_b32_e32 v39, s22, v39
	v_cmp_gt_i64_e64 s[22:23], 0, v[2:3]
	v_not_b32_e32 v3, v3
	v_ashrrev_i32_e32 v3, 31, v3
	v_and_b32_e32 v39, exec_lo, v39
	v_xor_b32_e32 v45, s23, v3
	v_xor_b32_e32 v3, s22, v3
	v_and_b32_e32 v39, v39, v3
	v_lshlrev_b32_e32 v3, 29, v5
	v_cmp_gt_i64_e64 s[22:23], 0, v[2:3]
	v_not_b32_e32 v3, v3
	v_ashrrev_i32_e32 v3, 31, v3
	v_xor_b32_e32 v5, s23, v3
	v_xor_b32_e32 v3, s22, v3
	v_and_b32_e32 v39, v39, v3
	v_and_b32_e32 v3, 0xf0000000, v4
	v_cmp_gt_i64_e64 s[22:23], 0, v[2:3]
	v_not_b32_e32 v3, v3
	v_and_b32_e32 v44, v44, v45
	v_ashrrev_i32_e32 v3, 31, v3
	v_and_b32_e32 v5, v44, v5
	v_xor_b32_e32 v4, s23, v3
	v_xor_b32_e32 v3, s22, v3
	v_and_b32_e32 v5, v5, v4
	v_and_b32_e32 v4, v39, v3
	v_mbcnt_lo_u32_b32 v3, v4, 0
	v_mbcnt_hi_u32_b32 v39, v5, v3
	v_cmp_eq_u32_e64 s[22:23], 0, v39
	v_cmp_ne_u64_e64 s[24:25], 0, v[4:5]
	s_and_b64 s[24:25], s[22:23], s[24:25]
	ds_write_b32 v1, v2 offset:16
	s_waitcnt lgkmcnt(0)
	s_barrier
	s_waitcnt lgkmcnt(0)
	; wave barrier
	s_and_saveexec_b64 s[22:23], s[24:25]
	s_cbranch_execz .LBB29_6
; %bb.5:                                ;   in Loop: Header=BB29_4 Depth=2
	v_bcnt_u32_b32 v3, v4, 0
	v_bcnt_u32_b32 v3, v5, v3
	ds_write_b32 v6, v3
.LBB29_6:                               ;   in Loop: Header=BB29_4 Depth=2
	s_or_b64 exec, exec, s[22:23]
	v_lshlrev_b32_e32 v4, s33, v11
	v_lshrrev_b32_e32 v5, 28, v4
	v_mul_u32_u24_e32 v3, 5, v5
	v_add_lshl_u32 v3, v3, v9, 2
	; wave barrier
	v_add_u32_e32 v45, 16, v3
	ds_read_b32 v44, v3 offset:16
	v_bfe_u32 v3, v4, 28, 1
	v_add_co_u32_e64 v46, s[22:23], -1, v3
	v_addc_co_u32_e64 v47, s[22:23], 0, -1, s[22:23]
	v_cmp_ne_u32_e64 s[22:23], 0, v3
	v_xor_b32_e32 v3, s23, v47
	v_and_b32_e32 v47, exec_hi, v3
	v_lshlrev_b32_e32 v3, 30, v5
	v_xor_b32_e32 v46, s22, v46
	v_cmp_gt_i64_e64 s[22:23], 0, v[2:3]
	v_not_b32_e32 v3, v3
	v_ashrrev_i32_e32 v3, 31, v3
	v_and_b32_e32 v46, exec_lo, v46
	v_xor_b32_e32 v48, s23, v3
	v_xor_b32_e32 v3, s22, v3
	v_and_b32_e32 v46, v46, v3
	v_lshlrev_b32_e32 v3, 29, v5
	v_cmp_gt_i64_e64 s[22:23], 0, v[2:3]
	v_not_b32_e32 v3, v3
	v_ashrrev_i32_e32 v3, 31, v3
	v_xor_b32_e32 v5, s23, v3
	v_xor_b32_e32 v3, s22, v3
	v_and_b32_e32 v46, v46, v3
	v_and_b32_e32 v3, 0xf0000000, v4
	v_cmp_gt_i64_e64 s[22:23], 0, v[2:3]
	v_not_b32_e32 v3, v3
	v_and_b32_e32 v47, v47, v48
	v_ashrrev_i32_e32 v3, 31, v3
	v_and_b32_e32 v5, v47, v5
	v_xor_b32_e32 v4, s23, v3
	v_xor_b32_e32 v3, s22, v3
	v_and_b32_e32 v5, v5, v4
	v_and_b32_e32 v4, v46, v3
	v_mbcnt_lo_u32_b32 v3, v4, 0
	v_mbcnt_hi_u32_b32 v46, v5, v3
	v_cmp_eq_u32_e64 s[22:23], 0, v46
	v_cmp_ne_u64_e64 s[24:25], 0, v[4:5]
	s_and_b64 s[24:25], s[24:25], s[22:23]
	; wave barrier
	s_and_saveexec_b64 s[22:23], s[24:25]
	s_cbranch_execz .LBB29_8
; %bb.7:                                ;   in Loop: Header=BB29_4 Depth=2
	v_bcnt_u32_b32 v3, v4, 0
	v_bcnt_u32_b32 v3, v5, v3
	s_waitcnt lgkmcnt(0)
	v_add_u32_e32 v3, v44, v3
	ds_write_b32 v45, v3
.LBB29_8:                               ;   in Loop: Header=BB29_4 Depth=2
	s_or_b64 exec, exec, s[22:23]
	v_lshlrev_b32_e32 v4, s33, v12
	v_lshrrev_b32_e32 v5, 28, v4
	v_mul_u32_u24_e32 v3, 5, v5
	v_add_lshl_u32 v3, v3, v9, 2
	; wave barrier
	v_add_u32_e32 v48, 16, v3
	ds_read_b32 v47, v3 offset:16
	v_bfe_u32 v3, v4, 28, 1
	v_add_co_u32_e64 v49, s[22:23], -1, v3
	v_addc_co_u32_e64 v50, s[22:23], 0, -1, s[22:23]
	v_cmp_ne_u32_e64 s[22:23], 0, v3
	v_xor_b32_e32 v3, s23, v50
	v_and_b32_e32 v50, exec_hi, v3
	v_lshlrev_b32_e32 v3, 30, v5
	v_xor_b32_e32 v49, s22, v49
	v_cmp_gt_i64_e64 s[22:23], 0, v[2:3]
	v_not_b32_e32 v3, v3
	v_ashrrev_i32_e32 v3, 31, v3
	v_and_b32_e32 v49, exec_lo, v49
	v_xor_b32_e32 v51, s23, v3
	v_xor_b32_e32 v3, s22, v3
	v_and_b32_e32 v49, v49, v3
	v_lshlrev_b32_e32 v3, 29, v5
	v_cmp_gt_i64_e64 s[22:23], 0, v[2:3]
	v_not_b32_e32 v3, v3
	v_ashrrev_i32_e32 v3, 31, v3
	v_xor_b32_e32 v5, s23, v3
	v_xor_b32_e32 v3, s22, v3
	v_and_b32_e32 v49, v49, v3
	v_and_b32_e32 v3, 0xf0000000, v4
	v_cmp_gt_i64_e64 s[22:23], 0, v[2:3]
	v_not_b32_e32 v3, v3
	v_and_b32_e32 v50, v50, v51
	v_ashrrev_i32_e32 v3, 31, v3
	v_and_b32_e32 v5, v50, v5
	v_xor_b32_e32 v4, s23, v3
	v_xor_b32_e32 v3, s22, v3
	v_and_b32_e32 v5, v5, v4
	v_and_b32_e32 v4, v49, v3
	v_mbcnt_lo_u32_b32 v3, v4, 0
	v_mbcnt_hi_u32_b32 v49, v5, v3
	v_cmp_eq_u32_e64 s[22:23], 0, v49
	v_cmp_ne_u64_e64 s[24:25], 0, v[4:5]
	s_and_b64 s[24:25], s[24:25], s[22:23]
	; wave barrier
	s_and_saveexec_b64 s[22:23], s[24:25]
	s_cbranch_execz .LBB29_10
; %bb.9:                                ;   in Loop: Header=BB29_4 Depth=2
	v_bcnt_u32_b32 v3, v4, 0
	v_bcnt_u32_b32 v3, v5, v3
	s_waitcnt lgkmcnt(0)
	v_add_u32_e32 v3, v47, v3
	ds_write_b32 v48, v3
.LBB29_10:                              ;   in Loop: Header=BB29_4 Depth=2
	s_or_b64 exec, exec, s[22:23]
	v_lshlrev_b32_e32 v4, s33, v13
	v_lshrrev_b32_e32 v5, 28, v4
	v_mul_u32_u24_e32 v3, 5, v5
	v_add_lshl_u32 v3, v3, v9, 2
	; wave barrier
	v_add_u32_e32 v51, 16, v3
	ds_read_b32 v50, v3 offset:16
	v_bfe_u32 v3, v4, 28, 1
	v_add_co_u32_e64 v52, s[22:23], -1, v3
	v_addc_co_u32_e64 v53, s[22:23], 0, -1, s[22:23]
	v_cmp_ne_u32_e64 s[22:23], 0, v3
	v_xor_b32_e32 v3, s23, v53
	v_and_b32_e32 v53, exec_hi, v3
	v_lshlrev_b32_e32 v3, 30, v5
	v_xor_b32_e32 v52, s22, v52
	v_cmp_gt_i64_e64 s[22:23], 0, v[2:3]
	v_not_b32_e32 v3, v3
	v_ashrrev_i32_e32 v3, 31, v3
	v_and_b32_e32 v52, exec_lo, v52
	v_xor_b32_e32 v54, s23, v3
	v_xor_b32_e32 v3, s22, v3
	v_and_b32_e32 v52, v52, v3
	v_lshlrev_b32_e32 v3, 29, v5
	v_cmp_gt_i64_e64 s[22:23], 0, v[2:3]
	v_not_b32_e32 v3, v3
	v_ashrrev_i32_e32 v3, 31, v3
	v_xor_b32_e32 v5, s23, v3
	v_xor_b32_e32 v3, s22, v3
	v_and_b32_e32 v52, v52, v3
	v_and_b32_e32 v3, 0xf0000000, v4
	v_cmp_gt_i64_e64 s[22:23], 0, v[2:3]
	v_not_b32_e32 v3, v3
	v_and_b32_e32 v53, v53, v54
	v_ashrrev_i32_e32 v3, 31, v3
	v_and_b32_e32 v5, v53, v5
	v_xor_b32_e32 v4, s23, v3
	v_xor_b32_e32 v3, s22, v3
	v_and_b32_e32 v5, v5, v4
	v_and_b32_e32 v4, v52, v3
	v_mbcnt_lo_u32_b32 v3, v4, 0
	v_mbcnt_hi_u32_b32 v52, v5, v3
	v_cmp_eq_u32_e64 s[22:23], 0, v52
	v_cmp_ne_u64_e64 s[24:25], 0, v[4:5]
	s_and_b64 s[24:25], s[24:25], s[22:23]
	; wave barrier
	s_and_saveexec_b64 s[22:23], s[24:25]
	s_cbranch_execz .LBB29_12
; %bb.11:                               ;   in Loop: Header=BB29_4 Depth=2
	v_bcnt_u32_b32 v3, v4, 0
	v_bcnt_u32_b32 v3, v5, v3
	s_waitcnt lgkmcnt(0)
	v_add_u32_e32 v3, v50, v3
	ds_write_b32 v51, v3
.LBB29_12:                              ;   in Loop: Header=BB29_4 Depth=2
	s_or_b64 exec, exec, s[22:23]
	v_lshlrev_b32_e32 v4, s33, v14
	v_lshrrev_b32_e32 v5, 28, v4
	v_mul_u32_u24_e32 v3, 5, v5
	v_add_lshl_u32 v3, v3, v9, 2
	; wave barrier
	v_add_u32_e32 v54, 16, v3
	ds_read_b32 v53, v3 offset:16
	v_bfe_u32 v3, v4, 28, 1
	v_add_co_u32_e64 v55, s[22:23], -1, v3
	v_addc_co_u32_e64 v56, s[22:23], 0, -1, s[22:23]
	v_cmp_ne_u32_e64 s[22:23], 0, v3
	v_xor_b32_e32 v3, s23, v56
	v_and_b32_e32 v56, exec_hi, v3
	v_lshlrev_b32_e32 v3, 30, v5
	v_xor_b32_e32 v55, s22, v55
	v_cmp_gt_i64_e64 s[22:23], 0, v[2:3]
	v_not_b32_e32 v3, v3
	v_ashrrev_i32_e32 v3, 31, v3
	v_and_b32_e32 v55, exec_lo, v55
	v_xor_b32_e32 v57, s23, v3
	v_xor_b32_e32 v3, s22, v3
	v_and_b32_e32 v55, v55, v3
	v_lshlrev_b32_e32 v3, 29, v5
	v_cmp_gt_i64_e64 s[22:23], 0, v[2:3]
	v_not_b32_e32 v3, v3
	v_ashrrev_i32_e32 v3, 31, v3
	v_xor_b32_e32 v5, s23, v3
	v_xor_b32_e32 v3, s22, v3
	v_and_b32_e32 v55, v55, v3
	v_and_b32_e32 v3, 0xf0000000, v4
	v_cmp_gt_i64_e64 s[22:23], 0, v[2:3]
	v_not_b32_e32 v3, v3
	v_and_b32_e32 v56, v56, v57
	v_ashrrev_i32_e32 v3, 31, v3
	v_and_b32_e32 v5, v56, v5
	v_xor_b32_e32 v4, s23, v3
	v_xor_b32_e32 v3, s22, v3
	v_and_b32_e32 v5, v5, v4
	v_and_b32_e32 v4, v55, v3
	v_mbcnt_lo_u32_b32 v3, v4, 0
	v_mbcnt_hi_u32_b32 v55, v5, v3
	v_cmp_eq_u32_e64 s[22:23], 0, v55
	v_cmp_ne_u64_e64 s[24:25], 0, v[4:5]
	s_and_b64 s[24:25], s[24:25], s[22:23]
	; wave barrier
	s_and_saveexec_b64 s[22:23], s[24:25]
	s_cbranch_execz .LBB29_14
; %bb.13:                               ;   in Loop: Header=BB29_4 Depth=2
	v_bcnt_u32_b32 v3, v4, 0
	v_bcnt_u32_b32 v3, v5, v3
	s_waitcnt lgkmcnt(0)
	v_add_u32_e32 v3, v53, v3
	ds_write_b32 v54, v3
.LBB29_14:                              ;   in Loop: Header=BB29_4 Depth=2
	;; [unrolled: 55-line block ×29, first 2 shown]
	s_or_b64 exec, exec, s[22:23]
	; wave barrier
	s_waitcnt lgkmcnt(0)
	s_barrier
	ds_read_b32 v4, v1 offset:16
	s_waitcnt lgkmcnt(0)
	s_nop 0
	v_mov_b32_dpp v5, v4 row_shr:1 row_mask:0xf bank_mask:0xf
	v_cndmask_b32_e64 v5, v5, 0, s[6:7]
	v_add_u32_e32 v4, v5, v4
	s_nop 1
	v_mov_b32_dpp v5, v4 row_shr:2 row_mask:0xf bank_mask:0xf
	v_cndmask_b32_e64 v5, 0, v5, s[8:9]
	v_add_u32_e32 v4, v4, v5
	;; [unrolled: 4-line block ×4, first 2 shown]
	s_nop 1
	v_mov_b32_dpp v5, v4 row_bcast:15 row_mask:0xf bank_mask:0xf
	v_cndmask_b32_e64 v5, v5, 0, s[14:15]
	v_add_u32_e32 v4, v4, v5
	s_nop 1
	v_mov_b32_dpp v5, v4 row_bcast:31 row_mask:0xf bank_mask:0xf
	v_cndmask_b32_e32 v5, 0, v5, vcc
	v_add_u32_e32 v4, v4, v5
	s_and_saveexec_b64 s[22:23], s[16:17]
	s_xor_b64 s[22:23], exec, s[22:23]
	s_cbranch_execz .LBB29_70
; %bb.69:                               ;   in Loop: Header=BB29_4 Depth=2
	ds_write_b32 v7, v4
.LBB29_70:                              ;   in Loop: Header=BB29_4 Depth=2
	s_or_b64 exec, exec, s[22:23]
	s_waitcnt lgkmcnt(0)
	s_barrier
	s_and_saveexec_b64 s[22:23], s[0:1]
	s_cbranch_execz .LBB29_72
; %bb.71:                               ;   in Loop: Header=BB29_4 Depth=2
	ds_read_b32 v5, v1
	s_waitcnt lgkmcnt(0)
	s_nop 0
	v_mov_b32_dpp v136, v5 row_shr:1 row_mask:0xf bank_mask:0xf
	v_cndmask_b32_e64 v136, v136, 0, s[18:19]
	v_add_u32_e32 v5, v136, v5
	s_nop 1
	v_mov_b32_dpp v136, v5 row_shr:2 row_mask:0xf bank_mask:0xf
	v_cndmask_b32_e64 v136, 0, v136, s[20:21]
	v_add_u32_e32 v5, v5, v136
	ds_write_b32 v1, v5
.LBB29_72:                              ;   in Loop: Header=BB29_4 Depth=2
	s_or_b64 exec, exec, s[22:23]
	v_mov_b32_e32 v5, 0
	s_waitcnt lgkmcnt(0)
	s_barrier
	s_and_saveexec_b64 s[22:23], s[2:3]
	s_cbranch_execz .LBB29_3
; %bb.73:                               ;   in Loop: Header=BB29_4 Depth=2
	ds_read_b32 v5, v43
	s_branch .LBB29_3
.LBB29_74:
	ds_read_b32 v1, v45
	ds_read_b32 v2, v61
	;; [unrolled: 1-line block ×8, first 2 shown]
	s_add_u32 s0, s26, s28
	s_waitcnt lgkmcnt(7)
	v_add3_u32 v5, v46, v44, v1
	s_waitcnt lgkmcnt(3)
	v_add3_u32 v7, v52, v50, v4
	;; [unrolled: 2-line block ×3, first 2 shown]
	s_waitcnt lgkmcnt(1)
	v_add_u32_e32 v4, v11, v39
	v_lshlrev_b32_e32 v10, 2, v0
	s_addc_u32 s1, s27, s29
	global_store_dwordx4 v10, v[4:7], s[0:1]
	s_nop 0
	v_add3_u32 v5, v59, v56, v8
	v_add3_u32 v4, v55, v53, v9
	ds_read_b32 v0, v87
	ds_read_b32 v1, v84
	;; [unrolled: 1-line block ×8, first 2 shown]
	s_waitcnt lgkmcnt(8)
	v_add3_u32 v7, v64, v62, v12
	v_add3_u32 v6, v60, v58, v2
	global_store_dwordx4 v10, v[4:7], s[0:1] offset:16
	s_waitcnt lgkmcnt(1)
	v_add3_u32 v5, v70, v68, v14
	s_waitcnt lgkmcnt(0)
	v_add3_u32 v4, v67, v65, v15
	v_add3_u32 v7, v76, v74, v11
	;; [unrolled: 1-line block ×3, first 2 shown]
	global_store_dwordx4 v10, v[4:7], s[0:1] offset:32
	s_nop 0
	v_add3_u32 v5, v82, v80, v8
	v_add3_u32 v4, v79, v77, v9
	ds_read_b32 v2, v135
	ds_read_b32 v8, v133
	;; [unrolled: 1-line block ×16, first 2 shown]
	v_add3_u32 v7, v88, v86, v0
	v_add3_u32 v6, v85, v83, v1
	global_store_dwordx4 v10, v[4:7], s[0:1] offset:48
	s_waitcnt lgkmcnt(13)
	v_add3_u32 v1, v129, v128, v9
	s_waitcnt lgkmcnt(1)
	v_add3_u32 v5, v94, v92, v22
	;; [unrolled: 2-line block ×3, first 2 shown]
	v_add3_u32 v7, v100, v98, v20
	v_add3_u32 v6, v97, v95, v21
	global_store_dwordx4 v10, v[4:7], s[0:1] offset:64
	v_add3_u32 v0, v126, v125, v11
	v_add3_u32 v5, v106, v104, v18
	v_add3_u32 v4, v103, v101, v19
	v_add3_u32 v7, v112, v110, v16
	v_add3_u32 v6, v109, v107, v17
	global_store_dwordx4 v10, v[4:7], s[0:1] offset:80
	v_add3_u32 v3, v3, v134, v2
	v_add3_u32 v5, v118, v116, v14
	;; [unrolled: 1-line block ×6, first 2 shown]
	global_store_dwordx4 v10, v[4:7], s[0:1] offset:96
	global_store_dwordx4 v10, v[0:3], s[0:1] offset:112
	s_endpgm
	.section	.rodata,"a",@progbits
	.p2align	6, 0x0
	.amdhsa_kernel _Z11rank_kernelIiLj4ELb0EL18RadixRankAlgorithm2ELj256ELj32ELj10EEvPKT_Pi
		.amdhsa_group_segment_fixed_size 1040
		.amdhsa_private_segment_fixed_size 0
		.amdhsa_kernarg_size 272
		.amdhsa_user_sgpr_count 6
		.amdhsa_user_sgpr_private_segment_buffer 1
		.amdhsa_user_sgpr_dispatch_ptr 0
		.amdhsa_user_sgpr_queue_ptr 0
		.amdhsa_user_sgpr_kernarg_segment_ptr 1
		.amdhsa_user_sgpr_dispatch_id 0
		.amdhsa_user_sgpr_flat_scratch_init 0
		.amdhsa_user_sgpr_kernarg_preload_length 0
		.amdhsa_user_sgpr_kernarg_preload_offset 0
		.amdhsa_user_sgpr_private_segment_size 0
		.amdhsa_uses_dynamic_stack 0
		.amdhsa_system_sgpr_private_segment_wavefront_offset 0
		.amdhsa_system_sgpr_workgroup_id_x 1
		.amdhsa_system_sgpr_workgroup_id_y 0
		.amdhsa_system_sgpr_workgroup_id_z 0
		.amdhsa_system_sgpr_workgroup_info 0
		.amdhsa_system_vgpr_workitem_id 2
		.amdhsa_next_free_vgpr 139
		.amdhsa_next_free_sgpr 34
		.amdhsa_accum_offset 140
		.amdhsa_reserve_vcc 1
		.amdhsa_reserve_flat_scratch 0
		.amdhsa_float_round_mode_32 0
		.amdhsa_float_round_mode_16_64 0
		.amdhsa_float_denorm_mode_32 3
		.amdhsa_float_denorm_mode_16_64 3
		.amdhsa_dx10_clamp 1
		.amdhsa_ieee_mode 1
		.amdhsa_fp16_overflow 0
		.amdhsa_tg_split 0
		.amdhsa_exception_fp_ieee_invalid_op 0
		.amdhsa_exception_fp_denorm_src 0
		.amdhsa_exception_fp_ieee_div_zero 0
		.amdhsa_exception_fp_ieee_overflow 0
		.amdhsa_exception_fp_ieee_underflow 0
		.amdhsa_exception_fp_ieee_inexact 0
		.amdhsa_exception_int_div_zero 0
	.end_amdhsa_kernel
	.section	.text._Z11rank_kernelIiLj4ELb0EL18RadixRankAlgorithm2ELj256ELj32ELj10EEvPKT_Pi,"axG",@progbits,_Z11rank_kernelIiLj4ELb0EL18RadixRankAlgorithm2ELj256ELj32ELj10EEvPKT_Pi,comdat
.Lfunc_end29:
	.size	_Z11rank_kernelIiLj4ELb0EL18RadixRankAlgorithm2ELj256ELj32ELj10EEvPKT_Pi, .Lfunc_end29-_Z11rank_kernelIiLj4ELb0EL18RadixRankAlgorithm2ELj256ELj32ELj10EEvPKT_Pi
                                        ; -- End function
	.section	.AMDGPU.csdata,"",@progbits
; Kernel info:
; codeLenInByte = 10368
; NumSgprs: 38
; NumVgprs: 139
; NumAgprs: 0
; TotalNumVgprs: 139
; ScratchSize: 0
; MemoryBound: 0
; FloatMode: 240
; IeeeMode: 1
; LDSByteSize: 1040 bytes/workgroup (compile time only)
; SGPRBlocks: 4
; VGPRBlocks: 17
; NumSGPRsForWavesPerEU: 38
; NumVGPRsForWavesPerEU: 139
; AccumOffset: 140
; Occupancy: 3
; WaveLimiterHint : 0
; COMPUTE_PGM_RSRC2:SCRATCH_EN: 0
; COMPUTE_PGM_RSRC2:USER_SGPR: 6
; COMPUTE_PGM_RSRC2:TRAP_HANDLER: 0
; COMPUTE_PGM_RSRC2:TGID_X_EN: 1
; COMPUTE_PGM_RSRC2:TGID_Y_EN: 0
; COMPUTE_PGM_RSRC2:TGID_Z_EN: 0
; COMPUTE_PGM_RSRC2:TIDIG_COMP_CNT: 2
; COMPUTE_PGM_RSRC3_GFX90A:ACCUM_OFFSET: 34
; COMPUTE_PGM_RSRC3_GFX90A:TG_SPLIT: 0
	.section	.text._Z11rank_kernelIiLj4ELb0EL18RadixRankAlgorithm0ELj512ELj1ELj10EEvPKT_Pi,"axG",@progbits,_Z11rank_kernelIiLj4ELb0EL18RadixRankAlgorithm0ELj512ELj1ELj10EEvPKT_Pi,comdat
	.protected	_Z11rank_kernelIiLj4ELb0EL18RadixRankAlgorithm0ELj512ELj1ELj10EEvPKT_Pi ; -- Begin function _Z11rank_kernelIiLj4ELb0EL18RadixRankAlgorithm0ELj512ELj1ELj10EEvPKT_Pi
	.globl	_Z11rank_kernelIiLj4ELb0EL18RadixRankAlgorithm0ELj512ELj1ELj10EEvPKT_Pi
	.p2align	8
	.type	_Z11rank_kernelIiLj4ELb0EL18RadixRankAlgorithm0ELj512ELj1ELj10EEvPKT_Pi,@function
_Z11rank_kernelIiLj4ELb0EL18RadixRankAlgorithm0ELj512ELj1ELj10EEvPKT_Pi: ; @_Z11rank_kernelIiLj4ELb0EL18RadixRankAlgorithm0ELj512ELj1ELj10EEvPKT_Pi
; %bb.0:
	s_load_dwordx4 s[24:27], s[4:5], 0x0
	s_lshl_b32 s30, s6, 9
	s_mov_b32 s31, 0
	s_lshl_b64 s[28:29], s[30:31], 2
	v_lshlrev_b32_e32 v1, 2, v0
	s_waitcnt lgkmcnt(0)
	s_add_u32 s0, s24, s28
	s_addc_u32 s1, s25, s29
	global_load_dword v13, v1, s[0:1]
	v_mbcnt_lo_u32_b32 v4, -1, 0
	v_mbcnt_hi_u32_b32 v12, -1, v4
	v_add_u32_e32 v16, -1, v12
	v_and_b32_e32 v17, 64, v12
	v_cmp_lt_i32_e64 s[18:19], v16, v17
	v_or_b32_e32 v4, 63, v0
	v_lshrrev_b32_e32 v5, 4, v0
	v_and_b32_e32 v14, 15, v12
	v_and_b32_e32 v15, 16, v12
	v_cmp_lt_u32_e64 s[2:3], 31, v12
	v_cmp_eq_u32_e64 s[6:7], 0, v12
	v_and_b32_e32 v18, 7, v12
	v_cndmask_b32_e64 v12, v16, v12, s[18:19]
	v_mov_b32_e32 v2, 0
	s_mov_b64 s[24:25], -1
	v_lshlrev_b32_e32 v3, 5, v0
	v_cmp_gt_u32_e32 vcc, 8, v0
	v_cmp_lt_u32_e64 s[0:1], 63, v0
	v_cmp_eq_u32_e64 s[4:5], v4, v0
	v_and_b32_e32 v4, 28, v5
	v_or_b32_e32 v5, 0x800, v1
	v_or_b32_e32 v6, 0x1000, v1
	;; [unrolled: 1-line block ×7, first 2 shown]
	v_cmp_eq_u32_e64 s[8:9], 0, v14
	v_cmp_lt_u32_e64 s[10:11], 1, v14
	v_cmp_lt_u32_e64 s[12:13], 3, v14
	;; [unrolled: 1-line block ×3, first 2 shown]
	v_cmp_eq_u32_e64 s[16:17], 0, v15
	v_cmp_eq_u32_e64 s[18:19], 0, v18
	v_cmp_lt_u32_e64 s[20:21], 1, v18
	v_cmp_lt_u32_e64 s[22:23], 3, v18
	v_lshlrev_b32_e32 v12, 2, v12
	s_movk_i32 s30, 0xe00
	s_waitcnt vmcnt(0)
	v_xor_b32_e32 v13, 0x80000000, v13
	s_branch .LBB30_2
.LBB30_1:                               ;   in Loop: Header=BB30_2 Depth=1
	s_add_i32 s31, s31, 1
	s_cmp_eq_u32 s31, 10
	s_cbranch_scc1 .LBB30_18
.LBB30_2:                               ; =>This Loop Header: Depth=1
                                        ;     Child Loop BB30_4 Depth 2
	s_mov_b32 s33, -4
	s_mov_b32 s36, 28
	s_branch .LBB30_4
.LBB30_3:                               ;   in Loop: Header=BB30_4 Depth=2
	s_or_b64 exec, exec, s[34:35]
	s_waitcnt lgkmcnt(0)
	v_add_u32_e32 v16, v17, v16
	ds_bpermute_b32 v16, v12, v16
	ds_read_b32 v18, v2 offset:16412
	s_add_i32 s36, s36, -4
	s_add_i32 s33, s33, 4
	s_cmp_lt_u32 s33, 28
	s_waitcnt lgkmcnt(1)
	v_cndmask_b32_e64 v19, v16, v17, s[6:7]
	ds_read2_b32 v[16:17], v3 offset1:1
	s_waitcnt lgkmcnt(1)
	v_lshl_add_u32 v22, v18, 16, v19
	ds_read2_b32 v[18:19], v3 offset0:2 offset1:3
	ds_read2_b32 v[20:21], v3 offset0:4 offset1:5
	ds_read_b32 v23, v3 offset:24
	s_waitcnt lgkmcnt(3)
	v_add_u32_e32 v16, v22, v16
	ds_write2_b32 v3, v22, v16 offset1:1
	v_add_u32_e32 v16, v17, v16
	s_waitcnt lgkmcnt(3)
	v_add_u32_e32 v17, v18, v16
	ds_write2_b32 v3, v16, v17 offset0:2 offset1:3
	v_add_u32_e32 v16, v19, v17
	s_waitcnt lgkmcnt(3)
	v_add_u32_e32 v17, v20, v16
	ds_write2_b32 v3, v16, v17 offset0:4 offset1:5
	;; [unrolled: 4-line block ×3, first 2 shown]
	s_waitcnt lgkmcnt(0)
	s_barrier
	s_cbranch_scc0 .LBB30_1
.LBB30_4:                               ;   Parent Loop BB30_2 Depth=1
                                        ; =>  This Inner Loop Header: Depth=2
	ds_write_b32 v1, v2
	ds_write_b32 v5, v2
	;; [unrolled: 1-line block ×4, first 2 shown]
	s_and_saveexec_b64 s[34:35], s[24:25]
	s_cbranch_execnz .LBB30_15
; %bb.5:                                ;   in Loop: Header=BB30_4 Depth=2
	s_or_b64 exec, exec, s[34:35]
	s_and_saveexec_b64 s[34:35], s[24:25]
	s_cbranch_execnz .LBB30_16
.LBB30_6:                               ;   in Loop: Header=BB30_4 Depth=2
	s_or_b64 exec, exec, s[34:35]
	s_and_saveexec_b64 s[34:35], s[24:25]
	s_cbranch_execnz .LBB30_17
.LBB30_7:                               ;   in Loop: Header=BB30_4 Depth=2
	s_or_b64 exec, exec, s[34:35]
	s_and_saveexec_b64 s[34:35], s[24:25]
	s_cbranch_execz .LBB30_9
.LBB30_8:                               ;   in Loop: Header=BB30_4 Depth=2
	ds_write_b32 v11, v2
.LBB30_9:                               ;   in Loop: Header=BB30_4 Depth=2
	s_or_b64 exec, exec, s[34:35]
	v_lshlrev_b32_e32 v14, s36, v13
	v_lshrrev_b32_e32 v15, 19, v14
	v_and_or_b32 v15, v15, s30, v0
	v_alignbit_b32 v14, v15, v14, 31
	v_lshlrev_b32_e32 v15, 1, v14
	ds_read_u16 v14, v15
	s_waitcnt lgkmcnt(0)
	v_add_u16_e32 v16, 1, v14
	ds_write_b16 v15, v16
	s_waitcnt lgkmcnt(0)
	s_barrier
	ds_read2_b32 v[16:17], v3 offset1:1
	ds_read2_b32 v[18:19], v3 offset0:2 offset1:3
	ds_read2_b32 v[20:21], v3 offset0:4 offset1:5
	;; [unrolled: 1-line block ×3, first 2 shown]
	s_waitcnt lgkmcnt(3)
	v_add_u32_e32 v16, v17, v16
	s_waitcnt lgkmcnt(2)
	v_add3_u32 v16, v16, v18, v19
	s_waitcnt lgkmcnt(1)
	v_add3_u32 v16, v16, v20, v21
	;; [unrolled: 2-line block ×3, first 2 shown]
	s_nop 1
	v_mov_b32_dpp v17, v16 row_shr:1 row_mask:0xf bank_mask:0xf
	v_cndmask_b32_e64 v17, v17, 0, s[8:9]
	v_add_u32_e32 v16, v17, v16
	s_nop 1
	v_mov_b32_dpp v17, v16 row_shr:2 row_mask:0xf bank_mask:0xf
	v_cndmask_b32_e64 v17, 0, v17, s[10:11]
	v_add_u32_e32 v16, v16, v17
	;; [unrolled: 4-line block ×4, first 2 shown]
	s_nop 1
	v_mov_b32_dpp v17, v16 row_bcast:15 row_mask:0xf bank_mask:0xf
	v_cndmask_b32_e64 v17, v17, 0, s[16:17]
	v_add_u32_e32 v16, v16, v17
	s_nop 1
	v_mov_b32_dpp v17, v16 row_bcast:31 row_mask:0xf bank_mask:0xf
	v_cndmask_b32_e64 v17, 0, v17, s[2:3]
	v_add_u32_e32 v16, v16, v17
	s_and_saveexec_b64 s[34:35], s[4:5]
	s_cbranch_execz .LBB30_11
; %bb.10:                               ;   in Loop: Header=BB30_4 Depth=2
	ds_write_b32 v4, v16 offset:16384
.LBB30_11:                              ;   in Loop: Header=BB30_4 Depth=2
	s_or_b64 exec, exec, s[34:35]
	s_waitcnt lgkmcnt(0)
	s_barrier
	s_and_saveexec_b64 s[34:35], vcc
	s_cbranch_execz .LBB30_13
; %bb.12:                               ;   in Loop: Header=BB30_4 Depth=2
	ds_read_b32 v17, v1 offset:16384
	s_waitcnt lgkmcnt(0)
	s_nop 0
	v_mov_b32_dpp v18, v17 row_shr:1 row_mask:0xf bank_mask:0xf
	v_cndmask_b32_e64 v18, v18, 0, s[18:19]
	v_add_u32_e32 v17, v18, v17
	s_nop 1
	v_mov_b32_dpp v18, v17 row_shr:2 row_mask:0xf bank_mask:0xf
	v_cndmask_b32_e64 v18, 0, v18, s[20:21]
	v_add_u32_e32 v17, v17, v18
	;; [unrolled: 4-line block ×3, first 2 shown]
	ds_write_b32 v1, v17 offset:16384
.LBB30_13:                              ;   in Loop: Header=BB30_4 Depth=2
	s_or_b64 exec, exec, s[34:35]
	v_mov_b32_e32 v17, 0
	s_waitcnt lgkmcnt(0)
	s_barrier
	s_and_saveexec_b64 s[34:35], s[0:1]
	s_cbranch_execz .LBB30_3
; %bb.14:                               ;   in Loop: Header=BB30_4 Depth=2
	ds_read_b32 v17, v4 offset:16380
	s_branch .LBB30_3
.LBB30_15:                              ;   in Loop: Header=BB30_4 Depth=2
	ds_write_b32 v8, v2
	s_or_b64 exec, exec, s[34:35]
	s_and_saveexec_b64 s[34:35], s[24:25]
	s_cbranch_execz .LBB30_6
.LBB30_16:                              ;   in Loop: Header=BB30_4 Depth=2
	ds_write_b32 v9, v2
	s_or_b64 exec, exec, s[34:35]
	s_and_saveexec_b64 s[34:35], s[24:25]
	s_cbranch_execz .LBB30_7
.LBB30_17:                              ;   in Loop: Header=BB30_4 Depth=2
	ds_write_b32 v10, v2
	s_or_b64 exec, exec, s[34:35]
	s_and_saveexec_b64 s[34:35], s[24:25]
	s_cbranch_execnz .LBB30_8
	s_branch .LBB30_9
.LBB30_18:
	ds_read_u16 v1, v15
	s_add_u32 s0, s26, s28
	s_addc_u32 s1, s27, s29
	v_lshlrev_b32_e32 v0, 2, v0
	s_waitcnt lgkmcnt(0)
	v_add_u32_sdwa v1, v1, v14 dst_sel:DWORD dst_unused:UNUSED_PAD src0_sel:DWORD src1_sel:WORD_0
	global_store_dword v0, v1, s[0:1]
	s_endpgm
	.section	.rodata,"a",@progbits
	.p2align	6, 0x0
	.amdhsa_kernel _Z11rank_kernelIiLj4ELb0EL18RadixRankAlgorithm0ELj512ELj1ELj10EEvPKT_Pi
		.amdhsa_group_segment_fixed_size 16416
		.amdhsa_private_segment_fixed_size 0
		.amdhsa_kernarg_size 16
		.amdhsa_user_sgpr_count 6
		.amdhsa_user_sgpr_private_segment_buffer 1
		.amdhsa_user_sgpr_dispatch_ptr 0
		.amdhsa_user_sgpr_queue_ptr 0
		.amdhsa_user_sgpr_kernarg_segment_ptr 1
		.amdhsa_user_sgpr_dispatch_id 0
		.amdhsa_user_sgpr_flat_scratch_init 0
		.amdhsa_user_sgpr_kernarg_preload_length 0
		.amdhsa_user_sgpr_kernarg_preload_offset 0
		.amdhsa_user_sgpr_private_segment_size 0
		.amdhsa_uses_dynamic_stack 0
		.amdhsa_system_sgpr_private_segment_wavefront_offset 0
		.amdhsa_system_sgpr_workgroup_id_x 1
		.amdhsa_system_sgpr_workgroup_id_y 0
		.amdhsa_system_sgpr_workgroup_id_z 0
		.amdhsa_system_sgpr_workgroup_info 0
		.amdhsa_system_vgpr_workitem_id 0
		.amdhsa_next_free_vgpr 24
		.amdhsa_next_free_sgpr 37
		.amdhsa_accum_offset 24
		.amdhsa_reserve_vcc 1
		.amdhsa_reserve_flat_scratch 0
		.amdhsa_float_round_mode_32 0
		.amdhsa_float_round_mode_16_64 0
		.amdhsa_float_denorm_mode_32 3
		.amdhsa_float_denorm_mode_16_64 3
		.amdhsa_dx10_clamp 1
		.amdhsa_ieee_mode 1
		.amdhsa_fp16_overflow 0
		.amdhsa_tg_split 0
		.amdhsa_exception_fp_ieee_invalid_op 0
		.amdhsa_exception_fp_denorm_src 0
		.amdhsa_exception_fp_ieee_div_zero 0
		.amdhsa_exception_fp_ieee_overflow 0
		.amdhsa_exception_fp_ieee_underflow 0
		.amdhsa_exception_fp_ieee_inexact 0
		.amdhsa_exception_int_div_zero 0
	.end_amdhsa_kernel
	.section	.text._Z11rank_kernelIiLj4ELb0EL18RadixRankAlgorithm0ELj512ELj1ELj10EEvPKT_Pi,"axG",@progbits,_Z11rank_kernelIiLj4ELb0EL18RadixRankAlgorithm0ELj512ELj1ELj10EEvPKT_Pi,comdat
.Lfunc_end30:
	.size	_Z11rank_kernelIiLj4ELb0EL18RadixRankAlgorithm0ELj512ELj1ELj10EEvPKT_Pi, .Lfunc_end30-_Z11rank_kernelIiLj4ELb0EL18RadixRankAlgorithm0ELj512ELj1ELj10EEvPKT_Pi
                                        ; -- End function
	.section	.AMDGPU.csdata,"",@progbits
; Kernel info:
; codeLenInByte = 1148
; NumSgprs: 41
; NumVgprs: 24
; NumAgprs: 0
; TotalNumVgprs: 24
; ScratchSize: 0
; MemoryBound: 0
; FloatMode: 240
; IeeeMode: 1
; LDSByteSize: 16416 bytes/workgroup (compile time only)
; SGPRBlocks: 5
; VGPRBlocks: 2
; NumSGPRsForWavesPerEU: 41
; NumVGPRsForWavesPerEU: 24
; AccumOffset: 24
; Occupancy: 6
; WaveLimiterHint : 0
; COMPUTE_PGM_RSRC2:SCRATCH_EN: 0
; COMPUTE_PGM_RSRC2:USER_SGPR: 6
; COMPUTE_PGM_RSRC2:TRAP_HANDLER: 0
; COMPUTE_PGM_RSRC2:TGID_X_EN: 1
; COMPUTE_PGM_RSRC2:TGID_Y_EN: 0
; COMPUTE_PGM_RSRC2:TGID_Z_EN: 0
; COMPUTE_PGM_RSRC2:TIDIG_COMP_CNT: 0
; COMPUTE_PGM_RSRC3_GFX90A:ACCUM_OFFSET: 5
; COMPUTE_PGM_RSRC3_GFX90A:TG_SPLIT: 0
	.section	.text._Z11rank_kernelIiLj4ELb0EL18RadixRankAlgorithm1ELj512ELj1ELj10EEvPKT_Pi,"axG",@progbits,_Z11rank_kernelIiLj4ELb0EL18RadixRankAlgorithm1ELj512ELj1ELj10EEvPKT_Pi,comdat
	.protected	_Z11rank_kernelIiLj4ELb0EL18RadixRankAlgorithm1ELj512ELj1ELj10EEvPKT_Pi ; -- Begin function _Z11rank_kernelIiLj4ELb0EL18RadixRankAlgorithm1ELj512ELj1ELj10EEvPKT_Pi
	.globl	_Z11rank_kernelIiLj4ELb0EL18RadixRankAlgorithm1ELj512ELj1ELj10EEvPKT_Pi
	.p2align	8
	.type	_Z11rank_kernelIiLj4ELb0EL18RadixRankAlgorithm1ELj512ELj1ELj10EEvPKT_Pi,@function
_Z11rank_kernelIiLj4ELb0EL18RadixRankAlgorithm1ELj512ELj1ELj10EEvPKT_Pi: ; @_Z11rank_kernelIiLj4ELb0EL18RadixRankAlgorithm1ELj512ELj1ELj10EEvPKT_Pi
; %bb.0:
	s_load_dwordx4 s[24:27], s[4:5], 0x0
	s_lshl_b32 s30, s6, 9
	s_mov_b32 s31, 0
	s_lshl_b64 s[28:29], s[30:31], 2
	v_lshlrev_b32_e32 v1, 2, v0
	s_waitcnt lgkmcnt(0)
	s_add_u32 s0, s24, s28
	s_addc_u32 s1, s25, s29
	global_load_dword v2, v1, s[0:1]
	v_mbcnt_lo_u32_b32 v3, -1, 0
	v_mbcnt_hi_u32_b32 v3, -1, v3
	v_or_b32_e32 v4, 63, v0
	v_cmp_eq_u32_e64 s[4:5], v4, v0
	v_add_u32_e32 v4, -1, v3
	v_and_b32_e32 v8, 64, v3
	v_lshrrev_b32_e32 v5, 4, v0
	v_cmp_lt_i32_e64 s[18:19], v4, v8
	v_and_b32_e32 v6, 15, v3
	v_and_b32_e32 v7, 16, v3
	v_cmp_lt_u32_e64 s[2:3], 31, v3
	v_cmp_eq_u32_e64 s[6:7], 0, v3
	v_and_b32_e32 v12, 28, v5
	v_and_b32_e32 v5, 7, v3
	v_cndmask_b32_e64 v3, v4, v3, s[18:19]
	v_mov_b32_e32 v10, 0
	s_mov_b64 s[24:25], -1
	v_lshlrev_b32_e32 v11, 5, v0
	v_cmp_gt_u32_e32 vcc, 8, v0
	v_cmp_lt_u32_e64 s[0:1], 63, v0
	v_or_b32_e32 v13, 0x800, v1
	v_or_b32_e32 v14, 0x1000, v1
	;; [unrolled: 1-line block ×7, first 2 shown]
	v_cmp_eq_u32_e64 s[8:9], 0, v6
	v_cmp_lt_u32_e64 s[10:11], 1, v6
	v_cmp_lt_u32_e64 s[12:13], 3, v6
	;; [unrolled: 1-line block ×3, first 2 shown]
	v_cmp_eq_u32_e64 s[16:17], 0, v7
	v_cmp_eq_u32_e64 s[18:19], 0, v5
	v_cmp_lt_u32_e64 s[20:21], 1, v5
	v_cmp_lt_u32_e64 s[22:23], 3, v5
	v_lshlrev_b32_e32 v20, 2, v3
	s_movk_i32 s30, 0xe00
	s_waitcnt vmcnt(0)
	v_xor_b32_e32 v21, 0x80000000, v2
	s_branch .LBB31_2
.LBB31_1:                               ;   in Loop: Header=BB31_2 Depth=1
	s_add_i32 s31, s31, 1
	s_cmp_eq_u32 s31, 10
	s_cbranch_scc1 .LBB31_18
.LBB31_2:                               ; =>This Loop Header: Depth=1
                                        ;     Child Loop BB31_4 Depth 2
	s_mov_b32 s33, -4
	s_mov_b32 s36, 28
	s_branch .LBB31_4
.LBB31_3:                               ;   in Loop: Header=BB31_4 Depth=2
	s_or_b64 exec, exec, s[34:35]
	s_waitcnt lgkmcnt(0)
	v_add_u32_e32 v3, v24, v3
	ds_bpermute_b32 v3, v20, v3
	ds_read_b32 v25, v10 offset:16412
	s_add_i32 s36, s36, -4
	s_add_i32 s33, s33, 4
	s_cmp_lt_u32 s33, 28
	s_waitcnt lgkmcnt(1)
	v_cndmask_b32_e64 v3, v3, v24, s[6:7]
	s_waitcnt lgkmcnt(0)
	v_lshl_add_u32 v3, v25, 16, v3
	v_add_u32_e32 v8, v3, v8
	v_add_u32_e32 v9, v8, v9
	ds_write2_b32 v11, v3, v8 offset1:1
	v_add_u32_e32 v3, v9, v6
	v_add_u32_e32 v6, v3, v7
	ds_write2_b32 v11, v9, v3 offset0:2 offset1:3
	v_add_u32_e32 v3, v6, v4
	v_add_u32_e32 v4, v3, v5
	;; [unrolled: 1-line block ×3, first 2 shown]
	ds_write2_b32 v11, v6, v3 offset0:4 offset1:5
	ds_write2_b32 v11, v4, v2 offset0:6 offset1:7
	s_waitcnt lgkmcnt(0)
	s_barrier
	s_cbranch_scc0 .LBB31_1
.LBB31_4:                               ;   Parent Loop BB31_2 Depth=1
                                        ; =>  This Inner Loop Header: Depth=2
	ds_write_b32 v1, v10
	ds_write_b32 v13, v10
	;; [unrolled: 1-line block ×4, first 2 shown]
	s_and_saveexec_b64 s[34:35], s[24:25]
	s_cbranch_execnz .LBB31_15
; %bb.5:                                ;   in Loop: Header=BB31_4 Depth=2
	s_or_b64 exec, exec, s[34:35]
	s_and_saveexec_b64 s[34:35], s[24:25]
	s_cbranch_execnz .LBB31_16
.LBB31_6:                               ;   in Loop: Header=BB31_4 Depth=2
	s_or_b64 exec, exec, s[34:35]
	s_and_saveexec_b64 s[34:35], s[24:25]
	s_cbranch_execnz .LBB31_17
.LBB31_7:                               ;   in Loop: Header=BB31_4 Depth=2
	s_or_b64 exec, exec, s[34:35]
	s_and_saveexec_b64 s[34:35], s[24:25]
	s_cbranch_execz .LBB31_9
.LBB31_8:                               ;   in Loop: Header=BB31_4 Depth=2
	ds_write_b32 v19, v10
.LBB31_9:                               ;   in Loop: Header=BB31_4 Depth=2
	s_or_b64 exec, exec, s[34:35]
	v_lshlrev_b32_e32 v2, s36, v21
	v_lshrrev_b32_e32 v3, 19, v2
	v_and_or_b32 v3, v3, s30, v0
	v_alignbit_b32 v2, v3, v2, 31
	v_lshlrev_b32_e32 v23, 1, v2
	ds_read_u16 v22, v23
	s_waitcnt lgkmcnt(0)
	v_add_u16_e32 v2, 1, v22
	ds_write_b16 v23, v2
	s_waitcnt lgkmcnt(0)
	s_barrier
	ds_read2_b32 v[8:9], v11 offset1:1
	ds_read2_b32 v[6:7], v11 offset0:2 offset1:3
	ds_read2_b32 v[4:5], v11 offset0:4 offset1:5
	;; [unrolled: 1-line block ×3, first 2 shown]
	s_waitcnt lgkmcnt(3)
	v_add_u32_e32 v24, v9, v8
	s_waitcnt lgkmcnt(2)
	v_add3_u32 v24, v24, v6, v7
	s_waitcnt lgkmcnt(1)
	v_add3_u32 v24, v24, v4, v5
	;; [unrolled: 2-line block ×3, first 2 shown]
	s_nop 1
	v_mov_b32_dpp v24, v3 row_shr:1 row_mask:0xf bank_mask:0xf
	v_cndmask_b32_e64 v24, v24, 0, s[8:9]
	v_add_u32_e32 v3, v24, v3
	s_nop 1
	v_mov_b32_dpp v24, v3 row_shr:2 row_mask:0xf bank_mask:0xf
	v_cndmask_b32_e64 v24, 0, v24, s[10:11]
	v_add_u32_e32 v3, v3, v24
	;; [unrolled: 4-line block ×4, first 2 shown]
	s_nop 1
	v_mov_b32_dpp v24, v3 row_bcast:15 row_mask:0xf bank_mask:0xf
	v_cndmask_b32_e64 v24, v24, 0, s[16:17]
	v_add_u32_e32 v3, v3, v24
	s_nop 1
	v_mov_b32_dpp v24, v3 row_bcast:31 row_mask:0xf bank_mask:0xf
	v_cndmask_b32_e64 v24, 0, v24, s[2:3]
	v_add_u32_e32 v3, v3, v24
	s_and_saveexec_b64 s[34:35], s[4:5]
	s_cbranch_execz .LBB31_11
; %bb.10:                               ;   in Loop: Header=BB31_4 Depth=2
	ds_write_b32 v12, v3 offset:16384
.LBB31_11:                              ;   in Loop: Header=BB31_4 Depth=2
	s_or_b64 exec, exec, s[34:35]
	s_waitcnt lgkmcnt(0)
	s_barrier
	s_and_saveexec_b64 s[34:35], vcc
	s_cbranch_execz .LBB31_13
; %bb.12:                               ;   in Loop: Header=BB31_4 Depth=2
	ds_read_b32 v24, v1 offset:16384
	s_waitcnt lgkmcnt(0)
	s_nop 0
	v_mov_b32_dpp v25, v24 row_shr:1 row_mask:0xf bank_mask:0xf
	v_cndmask_b32_e64 v25, v25, 0, s[18:19]
	v_add_u32_e32 v24, v25, v24
	s_nop 1
	v_mov_b32_dpp v25, v24 row_shr:2 row_mask:0xf bank_mask:0xf
	v_cndmask_b32_e64 v25, 0, v25, s[20:21]
	v_add_u32_e32 v24, v24, v25
	;; [unrolled: 4-line block ×3, first 2 shown]
	ds_write_b32 v1, v24 offset:16384
.LBB31_13:                              ;   in Loop: Header=BB31_4 Depth=2
	s_or_b64 exec, exec, s[34:35]
	v_mov_b32_e32 v24, 0
	s_waitcnt lgkmcnt(0)
	s_barrier
	s_and_saveexec_b64 s[34:35], s[0:1]
	s_cbranch_execz .LBB31_3
; %bb.14:                               ;   in Loop: Header=BB31_4 Depth=2
	ds_read_b32 v24, v12 offset:16380
	s_branch .LBB31_3
.LBB31_15:                              ;   in Loop: Header=BB31_4 Depth=2
	ds_write_b32 v16, v10
	s_or_b64 exec, exec, s[34:35]
	s_and_saveexec_b64 s[34:35], s[24:25]
	s_cbranch_execz .LBB31_6
.LBB31_16:                              ;   in Loop: Header=BB31_4 Depth=2
	ds_write_b32 v17, v10
	s_or_b64 exec, exec, s[34:35]
	s_and_saveexec_b64 s[34:35], s[24:25]
	s_cbranch_execz .LBB31_7
.LBB31_17:                              ;   in Loop: Header=BB31_4 Depth=2
	ds_write_b32 v18, v10
	s_or_b64 exec, exec, s[34:35]
	s_and_saveexec_b64 s[34:35], s[24:25]
	s_cbranch_execnz .LBB31_8
	s_branch .LBB31_9
.LBB31_18:
	ds_read_u16 v1, v23
	s_add_u32 s0, s26, s28
	s_addc_u32 s1, s27, s29
	v_lshlrev_b32_e32 v0, 2, v0
	s_waitcnt lgkmcnt(0)
	v_add_u32_sdwa v1, v1, v22 dst_sel:DWORD dst_unused:UNUSED_PAD src0_sel:DWORD src1_sel:WORD_0
	global_store_dword v0, v1, s[0:1]
	s_endpgm
	.section	.rodata,"a",@progbits
	.p2align	6, 0x0
	.amdhsa_kernel _Z11rank_kernelIiLj4ELb0EL18RadixRankAlgorithm1ELj512ELj1ELj10EEvPKT_Pi
		.amdhsa_group_segment_fixed_size 16416
		.amdhsa_private_segment_fixed_size 0
		.amdhsa_kernarg_size 16
		.amdhsa_user_sgpr_count 6
		.amdhsa_user_sgpr_private_segment_buffer 1
		.amdhsa_user_sgpr_dispatch_ptr 0
		.amdhsa_user_sgpr_queue_ptr 0
		.amdhsa_user_sgpr_kernarg_segment_ptr 1
		.amdhsa_user_sgpr_dispatch_id 0
		.amdhsa_user_sgpr_flat_scratch_init 0
		.amdhsa_user_sgpr_kernarg_preload_length 0
		.amdhsa_user_sgpr_kernarg_preload_offset 0
		.amdhsa_user_sgpr_private_segment_size 0
		.amdhsa_uses_dynamic_stack 0
		.amdhsa_system_sgpr_private_segment_wavefront_offset 0
		.amdhsa_system_sgpr_workgroup_id_x 1
		.amdhsa_system_sgpr_workgroup_id_y 0
		.amdhsa_system_sgpr_workgroup_id_z 0
		.amdhsa_system_sgpr_workgroup_info 0
		.amdhsa_system_vgpr_workitem_id 0
		.amdhsa_next_free_vgpr 26
		.amdhsa_next_free_sgpr 37
		.amdhsa_accum_offset 28
		.amdhsa_reserve_vcc 1
		.amdhsa_reserve_flat_scratch 0
		.amdhsa_float_round_mode_32 0
		.amdhsa_float_round_mode_16_64 0
		.amdhsa_float_denorm_mode_32 3
		.amdhsa_float_denorm_mode_16_64 3
		.amdhsa_dx10_clamp 1
		.amdhsa_ieee_mode 1
		.amdhsa_fp16_overflow 0
		.amdhsa_tg_split 0
		.amdhsa_exception_fp_ieee_invalid_op 0
		.amdhsa_exception_fp_denorm_src 0
		.amdhsa_exception_fp_ieee_div_zero 0
		.amdhsa_exception_fp_ieee_overflow 0
		.amdhsa_exception_fp_ieee_underflow 0
		.amdhsa_exception_fp_ieee_inexact 0
		.amdhsa_exception_int_div_zero 0
	.end_amdhsa_kernel
	.section	.text._Z11rank_kernelIiLj4ELb0EL18RadixRankAlgorithm1ELj512ELj1ELj10EEvPKT_Pi,"axG",@progbits,_Z11rank_kernelIiLj4ELb0EL18RadixRankAlgorithm1ELj512ELj1ELj10EEvPKT_Pi,comdat
.Lfunc_end31:
	.size	_Z11rank_kernelIiLj4ELb0EL18RadixRankAlgorithm1ELj512ELj1ELj10EEvPKT_Pi, .Lfunc_end31-_Z11rank_kernelIiLj4ELb0EL18RadixRankAlgorithm1ELj512ELj1ELj10EEvPKT_Pi
                                        ; -- End function
	.section	.AMDGPU.csdata,"",@progbits
; Kernel info:
; codeLenInByte = 1100
; NumSgprs: 41
; NumVgprs: 26
; NumAgprs: 0
; TotalNumVgprs: 26
; ScratchSize: 0
; MemoryBound: 0
; FloatMode: 240
; IeeeMode: 1
; LDSByteSize: 16416 bytes/workgroup (compile time only)
; SGPRBlocks: 5
; VGPRBlocks: 3
; NumSGPRsForWavesPerEU: 41
; NumVGPRsForWavesPerEU: 26
; AccumOffset: 28
; Occupancy: 6
; WaveLimiterHint : 0
; COMPUTE_PGM_RSRC2:SCRATCH_EN: 0
; COMPUTE_PGM_RSRC2:USER_SGPR: 6
; COMPUTE_PGM_RSRC2:TRAP_HANDLER: 0
; COMPUTE_PGM_RSRC2:TGID_X_EN: 1
; COMPUTE_PGM_RSRC2:TGID_Y_EN: 0
; COMPUTE_PGM_RSRC2:TGID_Z_EN: 0
; COMPUTE_PGM_RSRC2:TIDIG_COMP_CNT: 0
; COMPUTE_PGM_RSRC3_GFX90A:ACCUM_OFFSET: 6
; COMPUTE_PGM_RSRC3_GFX90A:TG_SPLIT: 0
	.section	.text._Z11rank_kernelIiLj4ELb0EL18RadixRankAlgorithm2ELj512ELj1ELj10EEvPKT_Pi,"axG",@progbits,_Z11rank_kernelIiLj4ELb0EL18RadixRankAlgorithm2ELj512ELj1ELj10EEvPKT_Pi,comdat
	.protected	_Z11rank_kernelIiLj4ELb0EL18RadixRankAlgorithm2ELj512ELj1ELj10EEvPKT_Pi ; -- Begin function _Z11rank_kernelIiLj4ELb0EL18RadixRankAlgorithm2ELj512ELj1ELj10EEvPKT_Pi
	.globl	_Z11rank_kernelIiLj4ELb0EL18RadixRankAlgorithm2ELj512ELj1ELj10EEvPKT_Pi
	.p2align	8
	.type	_Z11rank_kernelIiLj4ELb0EL18RadixRankAlgorithm2ELj512ELj1ELj10EEvPKT_Pi,@function
_Z11rank_kernelIiLj4ELb0EL18RadixRankAlgorithm2ELj512ELj1ELj10EEvPKT_Pi: ; @_Z11rank_kernelIiLj4ELb0EL18RadixRankAlgorithm2ELj512ELj1ELj10EEvPKT_Pi
; %bb.0:
	s_load_dwordx4 s[28:31], s[4:5], 0x0
	s_load_dword s24, s[4:5], 0x1c
	s_lshl_b32 s36, s6, 9
	s_mov_b32 s37, 0
	s_lshl_b64 s[34:35], s[36:37], 2
	s_waitcnt lgkmcnt(0)
	s_add_u32 s0, s28, s34
	v_and_b32_e32 v2, 0x3ff, v0
	s_addc_u32 s1, s29, s35
	v_lshlrev_b32_e32 v3, 2, v2
	global_load_dword v5, v3, s[0:1]
	v_mbcnt_lo_u32_b32 v1, -1, 0
	v_mbcnt_hi_u32_b32 v1, -1, v1
	v_add_u32_e32 v10, -1, v1
	v_and_b32_e32 v11, 64, v1
	v_bfe_u32 v8, v0, 10, 10
	v_bfe_u32 v0, v0, 20, 10
	v_cmp_lt_i32_e64 s[18:19], v10, v11
	s_lshr_b32 s25, s24, 16
	v_and_b32_e32 v6, 15, v1
	v_and_b32_e32 v7, 16, v1
	v_cmp_lt_u32_e32 vcc, 31, v1
	v_cmp_eq_u32_e64 s[4:5], 0, v1
	v_lshrrev_b32_e32 v12, 4, v2
	v_and_b32_e32 v13, 7, v1
	v_cndmask_b32_e64 v1, v10, v1, s[18:19]
	s_and_b32 s24, s24, 0xffff
	v_mad_u32_u24 v0, v0, s25, v8
	v_or_b32_e32 v9, 63, v2
	v_cmp_eq_u32_e64 s[6:7], 0, v6
	v_cmp_lt_u32_e64 s[8:9], 1, v6
	v_cmp_lt_u32_e64 s[10:11], 3, v6
	;; [unrolled: 1-line block ×3, first 2 shown]
	v_cmp_eq_u32_e64 s[14:15], 0, v7
	v_and_b32_e32 v6, 28, v12
	v_lshlrev_b32_e32 v7, 2, v1
	v_mad_u64_u32 v[0:1], s[24:25], v0, s24, v[2:3]
	v_mov_b32_e32 v4, 0
	v_cmp_gt_u32_e64 s[0:1], 8, v2
	v_cmp_lt_u32_e64 s[2:3], 63, v2
	v_cmp_eq_u32_e64 s[16:17], v9, v2
	v_cmp_eq_u32_e64 s[18:19], 0, v13
	v_cmp_lt_u32_e64 s[20:21], 1, v13
	v_cmp_lt_u32_e64 s[22:23], 3, v13
	v_lshrrev_b32_e32 v8, 6, v0
	v_add_u32_e32 v10, -4, v6
	s_waitcnt vmcnt(0)
	v_xor_b32_e32 v9, 0x80000000, v5
	s_branch .LBB32_2
.LBB32_1:                               ;   in Loop: Header=BB32_2 Depth=1
	s_add_i32 s37, s37, 1
	s_cmp_eq_u32 s37, 10
	s_cbranch_scc1 .LBB32_12
.LBB32_2:                               ; =>This Loop Header: Depth=1
                                        ;     Child Loop BB32_4 Depth 2
	s_mov_b32 s28, -4
	s_mov_b32 s29, 28
	s_branch .LBB32_4
.LBB32_3:                               ;   in Loop: Header=BB32_4 Depth=2
	s_or_b64 exec, exec, s[24:25]
	s_waitcnt lgkmcnt(0)
	v_add_u32_e32 v0, v1, v0
	ds_bpermute_b32 v0, v7, v0
	s_add_i32 s29, s29, -4
	s_add_i32 s28, s28, 4
	s_cmp_lt_u32 s28, 28
	s_waitcnt lgkmcnt(0)
	v_cndmask_b32_e64 v0, v0, v1, s[4:5]
	ds_write_b32 v3, v0 offset:32
	s_waitcnt lgkmcnt(0)
	s_barrier
	s_cbranch_scc0 .LBB32_1
.LBB32_4:                               ;   Parent Loop BB32_2 Depth=1
                                        ; =>  This Inner Loop Header: Depth=2
	v_lshlrev_b32_e32 v0, s29, v9
	v_lshrrev_b32_e32 v1, 28, v0
	v_mad_u32_u24 v5, v1, 9, v8
	v_lshl_add_u32 v11, v5, 2, 32
	v_bfe_u32 v5, v0, 28, 1
	v_add_co_u32_e64 v12, s[24:25], -1, v5
	v_addc_co_u32_e64 v13, s[24:25], 0, -1, s[24:25]
	v_cmp_ne_u32_e64 s[24:25], 0, v5
	v_xor_b32_e32 v5, s25, v13
	v_and_b32_e32 v13, exec_hi, v5
	v_lshlrev_b32_e32 v5, 30, v1
	v_xor_b32_e32 v12, s24, v12
	v_cmp_gt_i64_e64 s[24:25], 0, v[4:5]
	v_not_b32_e32 v5, v5
	v_ashrrev_i32_e32 v5, 31, v5
	v_and_b32_e32 v12, exec_lo, v12
	v_xor_b32_e32 v14, s25, v5
	v_xor_b32_e32 v5, s24, v5
	v_and_b32_e32 v12, v12, v5
	v_lshlrev_b32_e32 v5, 29, v1
	v_not_b32_e32 v1, v5
	v_cmp_gt_i64_e64 s[24:25], 0, v[4:5]
	v_ashrrev_i32_e32 v1, 31, v1
	v_and_b32_e32 v13, v13, v14
	v_xor_b32_e32 v5, s25, v1
	v_and_b32_e32 v13, v13, v5
	v_and_b32_e32 v5, 0xf0000000, v0
	v_not_b32_e32 v0, v5
	v_xor_b32_e32 v1, s24, v1
	v_cmp_gt_i64_e64 s[24:25], 0, v[4:5]
	v_ashrrev_i32_e32 v0, 31, v0
	v_and_b32_e32 v12, v12, v1
	v_xor_b32_e32 v1, s25, v0
	v_xor_b32_e32 v0, s24, v0
	v_and_b32_e32 v0, v12, v0
	v_and_b32_e32 v1, v13, v1
	v_mbcnt_lo_u32_b32 v5, v0, 0
	v_mbcnt_hi_u32_b32 v5, v1, v5
	v_cmp_eq_u32_e64 s[24:25], 0, v5
	v_cmp_ne_u64_e64 s[26:27], 0, v[0:1]
	s_and_b64 s[26:27], s[26:27], s[24:25]
	ds_write_b32 v3, v4 offset:32
	s_waitcnt lgkmcnt(0)
	s_barrier
	s_waitcnt lgkmcnt(0)
	; wave barrier
	s_and_saveexec_b64 s[24:25], s[26:27]
	s_cbranch_execz .LBB32_6
; %bb.5:                                ;   in Loop: Header=BB32_4 Depth=2
	v_bcnt_u32_b32 v0, v0, 0
	v_bcnt_u32_b32 v0, v1, v0
	ds_write_b32 v11, v0
.LBB32_6:                               ;   in Loop: Header=BB32_4 Depth=2
	s_or_b64 exec, exec, s[24:25]
	; wave barrier
	s_waitcnt lgkmcnt(0)
	s_barrier
	ds_read_b32 v0, v3 offset:32
	s_waitcnt lgkmcnt(0)
	s_nop 0
	v_mov_b32_dpp v1, v0 row_shr:1 row_mask:0xf bank_mask:0xf
	v_cndmask_b32_e64 v1, v1, 0, s[6:7]
	v_add_u32_e32 v0, v1, v0
	s_nop 1
	v_mov_b32_dpp v1, v0 row_shr:2 row_mask:0xf bank_mask:0xf
	v_cndmask_b32_e64 v1, 0, v1, s[8:9]
	v_add_u32_e32 v0, v0, v1
	;; [unrolled: 4-line block ×4, first 2 shown]
	s_nop 1
	v_mov_b32_dpp v1, v0 row_bcast:15 row_mask:0xf bank_mask:0xf
	v_cndmask_b32_e64 v1, v1, 0, s[14:15]
	v_add_u32_e32 v0, v0, v1
	s_nop 1
	v_mov_b32_dpp v1, v0 row_bcast:31 row_mask:0xf bank_mask:0xf
	v_cndmask_b32_e32 v1, 0, v1, vcc
	v_add_u32_e32 v0, v0, v1
	s_and_saveexec_b64 s[24:25], s[16:17]
	s_cbranch_execz .LBB32_8
; %bb.7:                                ;   in Loop: Header=BB32_4 Depth=2
	ds_write_b32 v6, v0
.LBB32_8:                               ;   in Loop: Header=BB32_4 Depth=2
	s_or_b64 exec, exec, s[24:25]
	s_waitcnt lgkmcnt(0)
	s_barrier
	s_and_saveexec_b64 s[24:25], s[0:1]
	s_cbranch_execz .LBB32_10
; %bb.9:                                ;   in Loop: Header=BB32_4 Depth=2
	ds_read_b32 v1, v3
	s_waitcnt lgkmcnt(0)
	s_nop 0
	v_mov_b32_dpp v12, v1 row_shr:1 row_mask:0xf bank_mask:0xf
	v_cndmask_b32_e64 v12, v12, 0, s[18:19]
	v_add_u32_e32 v1, v12, v1
	s_nop 1
	v_mov_b32_dpp v12, v1 row_shr:2 row_mask:0xf bank_mask:0xf
	v_cndmask_b32_e64 v12, 0, v12, s[20:21]
	v_add_u32_e32 v1, v1, v12
	;; [unrolled: 4-line block ×3, first 2 shown]
	ds_write_b32 v3, v1
.LBB32_10:                              ;   in Loop: Header=BB32_4 Depth=2
	s_or_b64 exec, exec, s[24:25]
	v_mov_b32_e32 v1, 0
	s_waitcnt lgkmcnt(0)
	s_barrier
	s_and_saveexec_b64 s[24:25], s[2:3]
	s_cbranch_execz .LBB32_3
; %bb.11:                               ;   in Loop: Header=BB32_4 Depth=2
	ds_read_b32 v1, v10
	s_branch .LBB32_3
.LBB32_12:
	ds_read_b32 v0, v11
	s_add_u32 s0, s30, s34
	s_addc_u32 s1, s31, s35
	v_lshlrev_b32_e32 v1, 2, v2
	s_waitcnt lgkmcnt(0)
	v_add_u32_e32 v0, v0, v5
	global_store_dword v1, v0, s[0:1]
	s_endpgm
	.section	.rodata,"a",@progbits
	.p2align	6, 0x0
	.amdhsa_kernel _Z11rank_kernelIiLj4ELb0EL18RadixRankAlgorithm2ELj512ELj1ELj10EEvPKT_Pi
		.amdhsa_group_segment_fixed_size 2080
		.amdhsa_private_segment_fixed_size 0
		.amdhsa_kernarg_size 272
		.amdhsa_user_sgpr_count 6
		.amdhsa_user_sgpr_private_segment_buffer 1
		.amdhsa_user_sgpr_dispatch_ptr 0
		.amdhsa_user_sgpr_queue_ptr 0
		.amdhsa_user_sgpr_kernarg_segment_ptr 1
		.amdhsa_user_sgpr_dispatch_id 0
		.amdhsa_user_sgpr_flat_scratch_init 0
		.amdhsa_user_sgpr_kernarg_preload_length 0
		.amdhsa_user_sgpr_kernarg_preload_offset 0
		.amdhsa_user_sgpr_private_segment_size 0
		.amdhsa_uses_dynamic_stack 0
		.amdhsa_system_sgpr_private_segment_wavefront_offset 0
		.amdhsa_system_sgpr_workgroup_id_x 1
		.amdhsa_system_sgpr_workgroup_id_y 0
		.amdhsa_system_sgpr_workgroup_id_z 0
		.amdhsa_system_sgpr_workgroup_info 0
		.amdhsa_system_vgpr_workitem_id 2
		.amdhsa_next_free_vgpr 15
		.amdhsa_next_free_sgpr 38
		.amdhsa_accum_offset 16
		.amdhsa_reserve_vcc 1
		.amdhsa_reserve_flat_scratch 0
		.amdhsa_float_round_mode_32 0
		.amdhsa_float_round_mode_16_64 0
		.amdhsa_float_denorm_mode_32 3
		.amdhsa_float_denorm_mode_16_64 3
		.amdhsa_dx10_clamp 1
		.amdhsa_ieee_mode 1
		.amdhsa_fp16_overflow 0
		.amdhsa_tg_split 0
		.amdhsa_exception_fp_ieee_invalid_op 0
		.amdhsa_exception_fp_denorm_src 0
		.amdhsa_exception_fp_ieee_div_zero 0
		.amdhsa_exception_fp_ieee_overflow 0
		.amdhsa_exception_fp_ieee_underflow 0
		.amdhsa_exception_fp_ieee_inexact 0
		.amdhsa_exception_int_div_zero 0
	.end_amdhsa_kernel
	.section	.text._Z11rank_kernelIiLj4ELb0EL18RadixRankAlgorithm2ELj512ELj1ELj10EEvPKT_Pi,"axG",@progbits,_Z11rank_kernelIiLj4ELb0EL18RadixRankAlgorithm2ELj512ELj1ELj10EEvPKT_Pi,comdat
.Lfunc_end32:
	.size	_Z11rank_kernelIiLj4ELb0EL18RadixRankAlgorithm2ELj512ELj1ELj10EEvPKT_Pi, .Lfunc_end32-_Z11rank_kernelIiLj4ELb0EL18RadixRankAlgorithm2ELj512ELj1ELj10EEvPKT_Pi
                                        ; -- End function
	.section	.AMDGPU.csdata,"",@progbits
; Kernel info:
; codeLenInByte = 1028
; NumSgprs: 42
; NumVgprs: 15
; NumAgprs: 0
; TotalNumVgprs: 15
; ScratchSize: 0
; MemoryBound: 0
; FloatMode: 240
; IeeeMode: 1
; LDSByteSize: 2080 bytes/workgroup (compile time only)
; SGPRBlocks: 5
; VGPRBlocks: 1
; NumSGPRsForWavesPerEU: 42
; NumVGPRsForWavesPerEU: 15
; AccumOffset: 16
; Occupancy: 8
; WaveLimiterHint : 0
; COMPUTE_PGM_RSRC2:SCRATCH_EN: 0
; COMPUTE_PGM_RSRC2:USER_SGPR: 6
; COMPUTE_PGM_RSRC2:TRAP_HANDLER: 0
; COMPUTE_PGM_RSRC2:TGID_X_EN: 1
; COMPUTE_PGM_RSRC2:TGID_Y_EN: 0
; COMPUTE_PGM_RSRC2:TGID_Z_EN: 0
; COMPUTE_PGM_RSRC2:TIDIG_COMP_CNT: 2
; COMPUTE_PGM_RSRC3_GFX90A:ACCUM_OFFSET: 3
; COMPUTE_PGM_RSRC3_GFX90A:TG_SPLIT: 0
	.section	.text._Z11rank_kernelIiLj4ELb0EL18RadixRankAlgorithm0ELj512ELj4ELj10EEvPKT_Pi,"axG",@progbits,_Z11rank_kernelIiLj4ELb0EL18RadixRankAlgorithm0ELj512ELj4ELj10EEvPKT_Pi,comdat
	.protected	_Z11rank_kernelIiLj4ELb0EL18RadixRankAlgorithm0ELj512ELj4ELj10EEvPKT_Pi ; -- Begin function _Z11rank_kernelIiLj4ELb0EL18RadixRankAlgorithm0ELj512ELj4ELj10EEvPKT_Pi
	.globl	_Z11rank_kernelIiLj4ELb0EL18RadixRankAlgorithm0ELj512ELj4ELj10EEvPKT_Pi
	.p2align	8
	.type	_Z11rank_kernelIiLj4ELb0EL18RadixRankAlgorithm0ELj512ELj4ELj10EEvPKT_Pi,@function
_Z11rank_kernelIiLj4ELb0EL18RadixRankAlgorithm0ELj512ELj4ELj10EEvPKT_Pi: ; @_Z11rank_kernelIiLj4ELb0EL18RadixRankAlgorithm0ELj512ELj4ELj10EEvPKT_Pi
; %bb.0:
	s_load_dwordx4 s[24:27], s[4:5], 0x0
	s_lshl_b32 s30, s6, 11
	s_mov_b32 s31, 0
	s_lshl_b64 s[28:29], s[30:31], 2
	v_lshlrev_b32_e32 v1, 4, v0
	s_waitcnt lgkmcnt(0)
	s_add_u32 s0, s24, s28
	s_addc_u32 s1, s25, s29
	global_load_dwordx4 v[14:17], v1, s[0:1]
	v_mbcnt_lo_u32_b32 v4, -1, 0
	v_mbcnt_hi_u32_b32 v12, -1, v4
	v_add_u32_e32 v19, -1, v12
	v_and_b32_e32 v20, 64, v12
	v_cmp_lt_i32_e64 s[18:19], v19, v20
	v_lshlrev_b32_e32 v2, 2, v0
	v_or_b32_e32 v4, 63, v0
	v_lshrrev_b32_e32 v5, 4, v0
	v_and_b32_e32 v13, 15, v12
	v_and_b32_e32 v18, 16, v12
	v_cmp_lt_u32_e64 s[2:3], 31, v12
	v_cmp_eq_u32_e64 s[6:7], 0, v12
	v_and_b32_e32 v21, 7, v12
	v_cndmask_b32_e64 v12, v19, v12, s[18:19]
	v_mov_b32_e32 v1, 0
	s_mov_b64 s[24:25], -1
	v_lshlrev_b32_e32 v3, 5, v0
	v_cmp_gt_u32_e32 vcc, 8, v0
	v_cmp_lt_u32_e64 s[0:1], 63, v0
	v_cmp_eq_u32_e64 s[4:5], v4, v0
	v_and_b32_e32 v4, 28, v5
	v_or_b32_e32 v5, 0x800, v2
	v_or_b32_e32 v6, 0x1000, v2
	;; [unrolled: 1-line block ×7, first 2 shown]
	v_cmp_eq_u32_e64 s[8:9], 0, v13
	v_cmp_lt_u32_e64 s[10:11], 1, v13
	v_cmp_lt_u32_e64 s[12:13], 3, v13
	v_cmp_lt_u32_e64 s[14:15], 7, v13
	v_cmp_eq_u32_e64 s[16:17], 0, v18
	v_cmp_eq_u32_e64 s[18:19], 0, v21
	v_cmp_lt_u32_e64 s[20:21], 1, v21
	v_cmp_lt_u32_e64 s[22:23], 3, v21
	v_lshlrev_b32_e32 v12, 2, v12
	s_movk_i32 s30, 0xe00
	s_waitcnt vmcnt(0)
	v_xor_b32_e32 v13, 0x80000000, v14
	v_xor_b32_e32 v14, 0x80000000, v15
	;; [unrolled: 1-line block ×4, first 2 shown]
	s_branch .LBB33_2
.LBB33_1:                               ;   in Loop: Header=BB33_2 Depth=1
	s_add_i32 s31, s31, 1
	s_cmp_eq_u32 s31, 10
	s_cbranch_scc1 .LBB33_18
.LBB33_2:                               ; =>This Loop Header: Depth=1
                                        ;     Child Loop BB33_4 Depth 2
	s_mov_b32 s33, -4
	s_mov_b32 s36, 28
	s_branch .LBB33_4
.LBB33_3:                               ;   in Loop: Header=BB33_4 Depth=2
	s_or_b64 exec, exec, s[34:35]
	s_waitcnt lgkmcnt(0)
	v_add_u32_e32 v25, v26, v25
	ds_bpermute_b32 v25, v12, v25
	ds_read_b32 v28, v1 offset:16412
	s_add_i32 s36, s36, -4
	s_add_i32 s33, s33, 4
	s_cmp_lt_u32 s33, 28
	s_waitcnt lgkmcnt(1)
	v_cndmask_b32_e64 v25, v25, v26, s[6:7]
	ds_read2_b32 v[26:27], v3 offset1:1
	s_waitcnt lgkmcnt(1)
	v_lshl_add_u32 v25, v28, 16, v25
	ds_read2_b32 v[28:29], v3 offset0:2 offset1:3
	ds_read2_b32 v[30:31], v3 offset0:4 offset1:5
	ds_read_b32 v32, v3 offset:24
	s_waitcnt lgkmcnt(3)
	v_add_u32_e32 v26, v25, v26
	ds_write2_b32 v3, v25, v26 offset1:1
	v_add_u32_e32 v25, v27, v26
	s_waitcnt lgkmcnt(3)
	v_add_u32_e32 v26, v28, v25
	ds_write2_b32 v3, v25, v26 offset0:2 offset1:3
	v_add_u32_e32 v25, v29, v26
	s_waitcnt lgkmcnt(3)
	v_add_u32_e32 v26, v30, v25
	ds_write2_b32 v3, v25, v26 offset0:4 offset1:5
	;; [unrolled: 4-line block ×3, first 2 shown]
	s_waitcnt lgkmcnt(0)
	s_barrier
	s_cbranch_scc0 .LBB33_1
.LBB33_4:                               ;   Parent Loop BB33_2 Depth=1
                                        ; =>  This Inner Loop Header: Depth=2
	ds_write_b32 v2, v1
	ds_write_b32 v5, v1
	;; [unrolled: 1-line block ×4, first 2 shown]
	s_and_saveexec_b64 s[34:35], s[24:25]
	s_cbranch_execnz .LBB33_15
; %bb.5:                                ;   in Loop: Header=BB33_4 Depth=2
	s_or_b64 exec, exec, s[34:35]
	s_and_saveexec_b64 s[34:35], s[24:25]
	s_cbranch_execnz .LBB33_16
.LBB33_6:                               ;   in Loop: Header=BB33_4 Depth=2
	s_or_b64 exec, exec, s[34:35]
	s_and_saveexec_b64 s[34:35], s[24:25]
	s_cbranch_execnz .LBB33_17
.LBB33_7:                               ;   in Loop: Header=BB33_4 Depth=2
	s_or_b64 exec, exec, s[34:35]
	s_and_saveexec_b64 s[34:35], s[24:25]
	s_cbranch_execz .LBB33_9
.LBB33_8:                               ;   in Loop: Header=BB33_4 Depth=2
	ds_write_b32 v11, v1
.LBB33_9:                               ;   in Loop: Header=BB33_4 Depth=2
	s_or_b64 exec, exec, s[34:35]
	v_lshlrev_b32_e32 v17, s36, v13
	v_lshrrev_b32_e32 v18, 19, v17
	v_and_or_b32 v18, v18, s30, v0
	v_alignbit_b32 v17, v18, v17, 31
	v_lshlrev_b32_e32 v18, 1, v17
	ds_read_u16 v17, v18
	v_lshlrev_b32_e32 v19, s36, v14
	v_lshrrev_b32_e32 v20, 19, v19
	v_and_or_b32 v20, v20, s30, v0
	v_alignbit_b32 v19, v20, v19, 31
	s_waitcnt lgkmcnt(0)
	v_add_u16_e32 v20, 1, v17
	ds_write_b16 v18, v20
	v_lshlrev_b32_e32 v20, 1, v19
	ds_read_u16 v19, v20
	v_lshlrev_b32_e32 v21, s36, v15
	v_lshrrev_b32_e32 v22, 19, v21
	v_and_or_b32 v22, v22, s30, v0
	v_alignbit_b32 v21, v22, v21, 31
	s_waitcnt lgkmcnt(0)
	v_add_u16_e32 v23, 1, v19
	ds_write_b16 v20, v23
	;; [unrolled: 9-line block ×3, first 2 shown]
	v_lshlrev_b32_e32 v24, 1, v23
	ds_read_u16 v23, v24
	s_waitcnt lgkmcnt(0)
	v_add_u16_e32 v25, 1, v23
	ds_write_b16 v24, v25
	s_waitcnt lgkmcnt(0)
	s_barrier
	ds_read2_b32 v[26:27], v3 offset1:1
	ds_read2_b32 v[28:29], v3 offset0:2 offset1:3
	ds_read2_b32 v[30:31], v3 offset0:4 offset1:5
	;; [unrolled: 1-line block ×3, first 2 shown]
	s_waitcnt lgkmcnt(3)
	v_add_u32_e32 v25, v27, v26
	s_waitcnt lgkmcnt(2)
	v_add3_u32 v25, v25, v28, v29
	s_waitcnt lgkmcnt(1)
	v_add3_u32 v25, v25, v30, v31
	;; [unrolled: 2-line block ×3, first 2 shown]
	s_nop 1
	v_mov_b32_dpp v26, v25 row_shr:1 row_mask:0xf bank_mask:0xf
	v_cndmask_b32_e64 v26, v26, 0, s[8:9]
	v_add_u32_e32 v25, v26, v25
	s_nop 1
	v_mov_b32_dpp v26, v25 row_shr:2 row_mask:0xf bank_mask:0xf
	v_cndmask_b32_e64 v26, 0, v26, s[10:11]
	v_add_u32_e32 v25, v25, v26
	;; [unrolled: 4-line block ×4, first 2 shown]
	s_nop 1
	v_mov_b32_dpp v26, v25 row_bcast:15 row_mask:0xf bank_mask:0xf
	v_cndmask_b32_e64 v26, v26, 0, s[16:17]
	v_add_u32_e32 v25, v25, v26
	s_nop 1
	v_mov_b32_dpp v26, v25 row_bcast:31 row_mask:0xf bank_mask:0xf
	v_cndmask_b32_e64 v26, 0, v26, s[2:3]
	v_add_u32_e32 v25, v25, v26
	s_and_saveexec_b64 s[34:35], s[4:5]
	s_cbranch_execz .LBB33_11
; %bb.10:                               ;   in Loop: Header=BB33_4 Depth=2
	ds_write_b32 v4, v25 offset:16384
.LBB33_11:                              ;   in Loop: Header=BB33_4 Depth=2
	s_or_b64 exec, exec, s[34:35]
	s_waitcnt lgkmcnt(0)
	s_barrier
	s_and_saveexec_b64 s[34:35], vcc
	s_cbranch_execz .LBB33_13
; %bb.12:                               ;   in Loop: Header=BB33_4 Depth=2
	ds_read_b32 v26, v2 offset:16384
	s_waitcnt lgkmcnt(0)
	s_nop 0
	v_mov_b32_dpp v27, v26 row_shr:1 row_mask:0xf bank_mask:0xf
	v_cndmask_b32_e64 v27, v27, 0, s[18:19]
	v_add_u32_e32 v26, v27, v26
	s_nop 1
	v_mov_b32_dpp v27, v26 row_shr:2 row_mask:0xf bank_mask:0xf
	v_cndmask_b32_e64 v27, 0, v27, s[20:21]
	v_add_u32_e32 v26, v26, v27
	;; [unrolled: 4-line block ×3, first 2 shown]
	ds_write_b32 v2, v26 offset:16384
.LBB33_13:                              ;   in Loop: Header=BB33_4 Depth=2
	s_or_b64 exec, exec, s[34:35]
	v_mov_b32_e32 v26, 0
	s_waitcnt lgkmcnt(0)
	s_barrier
	s_and_saveexec_b64 s[34:35], s[0:1]
	s_cbranch_execz .LBB33_3
; %bb.14:                               ;   in Loop: Header=BB33_4 Depth=2
	ds_read_b32 v26, v4 offset:16380
	s_branch .LBB33_3
.LBB33_15:                              ;   in Loop: Header=BB33_4 Depth=2
	ds_write_b32 v8, v1
	s_or_b64 exec, exec, s[34:35]
	s_and_saveexec_b64 s[34:35], s[24:25]
	s_cbranch_execz .LBB33_6
.LBB33_16:                              ;   in Loop: Header=BB33_4 Depth=2
	ds_write_b32 v9, v1
	s_or_b64 exec, exec, s[34:35]
	s_and_saveexec_b64 s[34:35], s[24:25]
	s_cbranch_execz .LBB33_7
.LBB33_17:                              ;   in Loop: Header=BB33_4 Depth=2
	ds_write_b32 v10, v1
	s_or_b64 exec, exec, s[34:35]
	s_and_saveexec_b64 s[34:35], s[24:25]
	s_cbranch_execnz .LBB33_8
	s_branch .LBB33_9
.LBB33_18:
	ds_read_u16 v0, v18
	ds_read_u16 v1, v20
	;; [unrolled: 1-line block ×4, first 2 shown]
	s_add_u32 s0, s26, s28
	s_waitcnt lgkmcnt(3)
	v_add_u32_sdwa v4, v0, v17 dst_sel:DWORD dst_unused:UNUSED_PAD src0_sel:DWORD src1_sel:WORD_0
	s_waitcnt lgkmcnt(2)
	v_add_u32_sdwa v5, v1, v19 dst_sel:DWORD dst_unused:UNUSED_PAD src0_sel:DWORD src1_sel:WORD_0
	;; [unrolled: 2-line block ×4, first 2 shown]
	s_addc_u32 s1, s27, s29
	v_lshlrev_b32_e32 v0, 2, v2
	global_store_dwordx4 v0, v[4:7], s[0:1]
	s_endpgm
	.section	.rodata,"a",@progbits
	.p2align	6, 0x0
	.amdhsa_kernel _Z11rank_kernelIiLj4ELb0EL18RadixRankAlgorithm0ELj512ELj4ELj10EEvPKT_Pi
		.amdhsa_group_segment_fixed_size 16416
		.amdhsa_private_segment_fixed_size 0
		.amdhsa_kernarg_size 16
		.amdhsa_user_sgpr_count 6
		.amdhsa_user_sgpr_private_segment_buffer 1
		.amdhsa_user_sgpr_dispatch_ptr 0
		.amdhsa_user_sgpr_queue_ptr 0
		.amdhsa_user_sgpr_kernarg_segment_ptr 1
		.amdhsa_user_sgpr_dispatch_id 0
		.amdhsa_user_sgpr_flat_scratch_init 0
		.amdhsa_user_sgpr_kernarg_preload_length 0
		.amdhsa_user_sgpr_kernarg_preload_offset 0
		.amdhsa_user_sgpr_private_segment_size 0
		.amdhsa_uses_dynamic_stack 0
		.amdhsa_system_sgpr_private_segment_wavefront_offset 0
		.amdhsa_system_sgpr_workgroup_id_x 1
		.amdhsa_system_sgpr_workgroup_id_y 0
		.amdhsa_system_sgpr_workgroup_id_z 0
		.amdhsa_system_sgpr_workgroup_info 0
		.amdhsa_system_vgpr_workitem_id 0
		.amdhsa_next_free_vgpr 34
		.amdhsa_next_free_sgpr 37
		.amdhsa_accum_offset 36
		.amdhsa_reserve_vcc 1
		.amdhsa_reserve_flat_scratch 0
		.amdhsa_float_round_mode_32 0
		.amdhsa_float_round_mode_16_64 0
		.amdhsa_float_denorm_mode_32 3
		.amdhsa_float_denorm_mode_16_64 3
		.amdhsa_dx10_clamp 1
		.amdhsa_ieee_mode 1
		.amdhsa_fp16_overflow 0
		.amdhsa_tg_split 0
		.amdhsa_exception_fp_ieee_invalid_op 0
		.amdhsa_exception_fp_denorm_src 0
		.amdhsa_exception_fp_ieee_div_zero 0
		.amdhsa_exception_fp_ieee_overflow 0
		.amdhsa_exception_fp_ieee_underflow 0
		.amdhsa_exception_fp_ieee_inexact 0
		.amdhsa_exception_int_div_zero 0
	.end_amdhsa_kernel
	.section	.text._Z11rank_kernelIiLj4ELb0EL18RadixRankAlgorithm0ELj512ELj4ELj10EEvPKT_Pi,"axG",@progbits,_Z11rank_kernelIiLj4ELb0EL18RadixRankAlgorithm0ELj512ELj4ELj10EEvPKT_Pi,comdat
.Lfunc_end33:
	.size	_Z11rank_kernelIiLj4ELb0EL18RadixRankAlgorithm0ELj512ELj4ELj10EEvPKT_Pi, .Lfunc_end33-_Z11rank_kernelIiLj4ELb0EL18RadixRankAlgorithm0ELj512ELj4ELj10EEvPKT_Pi
                                        ; -- End function
	.section	.AMDGPU.csdata,"",@progbits
; Kernel info:
; codeLenInByte = 1392
; NumSgprs: 41
; NumVgprs: 34
; NumAgprs: 0
; TotalNumVgprs: 34
; ScratchSize: 0
; MemoryBound: 0
; FloatMode: 240
; IeeeMode: 1
; LDSByteSize: 16416 bytes/workgroup (compile time only)
; SGPRBlocks: 5
; VGPRBlocks: 4
; NumSGPRsForWavesPerEU: 41
; NumVGPRsForWavesPerEU: 34
; AccumOffset: 36
; Occupancy: 6
; WaveLimiterHint : 0
; COMPUTE_PGM_RSRC2:SCRATCH_EN: 0
; COMPUTE_PGM_RSRC2:USER_SGPR: 6
; COMPUTE_PGM_RSRC2:TRAP_HANDLER: 0
; COMPUTE_PGM_RSRC2:TGID_X_EN: 1
; COMPUTE_PGM_RSRC2:TGID_Y_EN: 0
; COMPUTE_PGM_RSRC2:TGID_Z_EN: 0
; COMPUTE_PGM_RSRC2:TIDIG_COMP_CNT: 0
; COMPUTE_PGM_RSRC3_GFX90A:ACCUM_OFFSET: 8
; COMPUTE_PGM_RSRC3_GFX90A:TG_SPLIT: 0
	.section	.text._Z11rank_kernelIiLj4ELb0EL18RadixRankAlgorithm1ELj512ELj4ELj10EEvPKT_Pi,"axG",@progbits,_Z11rank_kernelIiLj4ELb0EL18RadixRankAlgorithm1ELj512ELj4ELj10EEvPKT_Pi,comdat
	.protected	_Z11rank_kernelIiLj4ELb0EL18RadixRankAlgorithm1ELj512ELj4ELj10EEvPKT_Pi ; -- Begin function _Z11rank_kernelIiLj4ELb0EL18RadixRankAlgorithm1ELj512ELj4ELj10EEvPKT_Pi
	.globl	_Z11rank_kernelIiLj4ELb0EL18RadixRankAlgorithm1ELj512ELj4ELj10EEvPKT_Pi
	.p2align	8
	.type	_Z11rank_kernelIiLj4ELb0EL18RadixRankAlgorithm1ELj512ELj4ELj10EEvPKT_Pi,@function
_Z11rank_kernelIiLj4ELb0EL18RadixRankAlgorithm1ELj512ELj4ELj10EEvPKT_Pi: ; @_Z11rank_kernelIiLj4ELb0EL18RadixRankAlgorithm1ELj512ELj4ELj10EEvPKT_Pi
; %bb.0:
	s_load_dwordx4 s[24:27], s[4:5], 0x0
	s_lshl_b32 s30, s6, 11
	s_mov_b32 s31, 0
	s_lshl_b64 s[28:29], s[30:31], 2
	v_lshlrev_b32_e32 v1, 4, v0
	s_waitcnt lgkmcnt(0)
	s_add_u32 s0, s24, s28
	s_addc_u32 s1, s25, s29
	global_load_dwordx4 v[4:7], v1, s[0:1]
	v_mbcnt_lo_u32_b32 v8, -1, 0
	v_mbcnt_hi_u32_b32 v8, -1, v8
	v_or_b32_e32 v9, 63, v0
	v_cmp_eq_u32_e64 s[4:5], v9, v0
	v_add_u32_e32 v9, -1, v8
	v_and_b32_e32 v21, 64, v8
	v_lshrrev_b32_e32 v10, 4, v0
	v_cmp_lt_i32_e64 s[18:19], v9, v21
	v_lshlrev_b32_e32 v2, 2, v0
	v_and_b32_e32 v11, 15, v8
	v_and_b32_e32 v20, 16, v8
	v_cmp_lt_u32_e64 s[2:3], 31, v8
	v_cmp_eq_u32_e64 s[6:7], 0, v8
	v_and_b32_e32 v12, 28, v10
	v_and_b32_e32 v10, 7, v8
	v_cndmask_b32_e64 v8, v9, v8, s[18:19]
	v_mov_b32_e32 v1, 0
	s_mov_b64 s[24:25], -1
	v_lshlrev_b32_e32 v3, 5, v0
	v_cmp_gt_u32_e32 vcc, 8, v0
	v_cmp_lt_u32_e64 s[0:1], 63, v0
	v_or_b32_e32 v13, 0x800, v2
	v_or_b32_e32 v14, 0x1000, v2
	;; [unrolled: 1-line block ×7, first 2 shown]
	v_cmp_eq_u32_e64 s[8:9], 0, v11
	v_cmp_lt_u32_e64 s[10:11], 1, v11
	v_cmp_lt_u32_e64 s[12:13], 3, v11
	;; [unrolled: 1-line block ×3, first 2 shown]
	v_cmp_eq_u32_e64 s[16:17], 0, v20
	v_cmp_eq_u32_e64 s[18:19], 0, v10
	v_cmp_lt_u32_e64 s[20:21], 1, v10
	v_cmp_lt_u32_e64 s[22:23], 3, v10
	v_lshlrev_b32_e32 v20, 2, v8
	s_movk_i32 s30, 0xe00
	s_waitcnt vmcnt(0)
	v_xor_b32_e32 v21, 0x80000000, v4
	v_xor_b32_e32 v22, 0x80000000, v5
	;; [unrolled: 1-line block ×4, first 2 shown]
	s_branch .LBB34_2
.LBB34_1:                               ;   in Loop: Header=BB34_2 Depth=1
	s_add_i32 s31, s31, 1
	s_cmp_eq_u32 s31, 10
	s_cbranch_scc1 .LBB34_18
.LBB34_2:                               ; =>This Loop Header: Depth=1
                                        ;     Child Loop BB34_4 Depth 2
	s_mov_b32 s33, -4
	s_mov_b32 s36, 28
	s_branch .LBB34_4
.LBB34_3:                               ;   in Loop: Header=BB34_4 Depth=2
	s_or_b64 exec, exec, s[34:35]
	s_waitcnt lgkmcnt(0)
	v_add_u32_e32 v5, v33, v5
	ds_bpermute_b32 v5, v20, v5
	ds_read_b32 v34, v1 offset:16412
	s_add_i32 s36, s36, -4
	s_add_i32 s33, s33, 4
	s_cmp_lt_u32 s33, 28
	s_waitcnt lgkmcnt(1)
	v_cndmask_b32_e64 v5, v5, v33, s[6:7]
	s_waitcnt lgkmcnt(0)
	v_lshl_add_u32 v5, v34, 16, v5
	v_add_u32_e32 v10, v5, v10
	v_add_u32_e32 v11, v10, v11
	ds_write2_b32 v3, v5, v10 offset1:1
	v_add_u32_e32 v5, v11, v8
	v_add_u32_e32 v8, v5, v9
	ds_write2_b32 v3, v11, v5 offset0:2 offset1:3
	v_add_u32_e32 v5, v8, v6
	v_add_u32_e32 v6, v5, v7
	;; [unrolled: 1-line block ×3, first 2 shown]
	ds_write2_b32 v3, v8, v5 offset0:4 offset1:5
	ds_write2_b32 v3, v6, v4 offset0:6 offset1:7
	s_waitcnt lgkmcnt(0)
	s_barrier
	s_cbranch_scc0 .LBB34_1
.LBB34_4:                               ;   Parent Loop BB34_2 Depth=1
                                        ; =>  This Inner Loop Header: Depth=2
	ds_write_b32 v2, v1
	ds_write_b32 v13, v1
	;; [unrolled: 1-line block ×4, first 2 shown]
	s_and_saveexec_b64 s[34:35], s[24:25]
	s_cbranch_execnz .LBB34_15
; %bb.5:                                ;   in Loop: Header=BB34_4 Depth=2
	s_or_b64 exec, exec, s[34:35]
	s_and_saveexec_b64 s[34:35], s[24:25]
	s_cbranch_execnz .LBB34_16
.LBB34_6:                               ;   in Loop: Header=BB34_4 Depth=2
	s_or_b64 exec, exec, s[34:35]
	s_and_saveexec_b64 s[34:35], s[24:25]
	s_cbranch_execnz .LBB34_17
.LBB34_7:                               ;   in Loop: Header=BB34_4 Depth=2
	s_or_b64 exec, exec, s[34:35]
	s_and_saveexec_b64 s[34:35], s[24:25]
	s_cbranch_execz .LBB34_9
.LBB34_8:                               ;   in Loop: Header=BB34_4 Depth=2
	ds_write_b32 v19, v1
.LBB34_9:                               ;   in Loop: Header=BB34_4 Depth=2
	s_or_b64 exec, exec, s[34:35]
	v_lshlrev_b32_e32 v4, s36, v21
	v_lshrrev_b32_e32 v5, 19, v4
	v_and_or_b32 v5, v5, s30, v0
	v_alignbit_b32 v4, v5, v4, 31
	v_lshlrev_b32_e32 v26, 1, v4
	ds_read_u16 v25, v26
	v_lshlrev_b32_e32 v4, s36, v22
	v_lshrrev_b32_e32 v5, 19, v4
	v_and_or_b32 v5, v5, s30, v0
	v_alignbit_b32 v4, v5, v4, 31
	s_waitcnt lgkmcnt(0)
	v_add_u16_e32 v5, 1, v25
	ds_write_b16 v26, v5
	v_lshlrev_b32_e32 v28, 1, v4
	ds_read_u16 v27, v28
	v_lshlrev_b32_e32 v4, s36, v23
	v_lshrrev_b32_e32 v5, 19, v4
	v_and_or_b32 v5, v5, s30, v0
	v_alignbit_b32 v4, v5, v4, 31
	s_waitcnt lgkmcnt(0)
	v_add_u16_e32 v6, 1, v27
	ds_write_b16 v28, v6
	;; [unrolled: 9-line block ×3, first 2 shown]
	v_lshlrev_b32_e32 v32, 1, v4
	ds_read_u16 v31, v32
	s_waitcnt lgkmcnt(0)
	v_add_u16_e32 v4, 1, v31
	ds_write_b16 v32, v4
	s_waitcnt lgkmcnt(0)
	s_barrier
	ds_read2_b32 v[10:11], v3 offset1:1
	ds_read2_b32 v[8:9], v3 offset0:2 offset1:3
	ds_read2_b32 v[6:7], v3 offset0:4 offset1:5
	;; [unrolled: 1-line block ×3, first 2 shown]
	s_waitcnt lgkmcnt(3)
	v_add_u32_e32 v33, v11, v10
	s_waitcnt lgkmcnt(2)
	v_add3_u32 v33, v33, v8, v9
	s_waitcnt lgkmcnt(1)
	v_add3_u32 v33, v33, v6, v7
	;; [unrolled: 2-line block ×3, first 2 shown]
	s_nop 1
	v_mov_b32_dpp v33, v5 row_shr:1 row_mask:0xf bank_mask:0xf
	v_cndmask_b32_e64 v33, v33, 0, s[8:9]
	v_add_u32_e32 v5, v33, v5
	s_nop 1
	v_mov_b32_dpp v33, v5 row_shr:2 row_mask:0xf bank_mask:0xf
	v_cndmask_b32_e64 v33, 0, v33, s[10:11]
	v_add_u32_e32 v5, v5, v33
	;; [unrolled: 4-line block ×4, first 2 shown]
	s_nop 1
	v_mov_b32_dpp v33, v5 row_bcast:15 row_mask:0xf bank_mask:0xf
	v_cndmask_b32_e64 v33, v33, 0, s[16:17]
	v_add_u32_e32 v5, v5, v33
	s_nop 1
	v_mov_b32_dpp v33, v5 row_bcast:31 row_mask:0xf bank_mask:0xf
	v_cndmask_b32_e64 v33, 0, v33, s[2:3]
	v_add_u32_e32 v5, v5, v33
	s_and_saveexec_b64 s[34:35], s[4:5]
	s_cbranch_execz .LBB34_11
; %bb.10:                               ;   in Loop: Header=BB34_4 Depth=2
	ds_write_b32 v12, v5 offset:16384
.LBB34_11:                              ;   in Loop: Header=BB34_4 Depth=2
	s_or_b64 exec, exec, s[34:35]
	s_waitcnt lgkmcnt(0)
	s_barrier
	s_and_saveexec_b64 s[34:35], vcc
	s_cbranch_execz .LBB34_13
; %bb.12:                               ;   in Loop: Header=BB34_4 Depth=2
	ds_read_b32 v33, v2 offset:16384
	s_waitcnt lgkmcnt(0)
	s_nop 0
	v_mov_b32_dpp v34, v33 row_shr:1 row_mask:0xf bank_mask:0xf
	v_cndmask_b32_e64 v34, v34, 0, s[18:19]
	v_add_u32_e32 v33, v34, v33
	s_nop 1
	v_mov_b32_dpp v34, v33 row_shr:2 row_mask:0xf bank_mask:0xf
	v_cndmask_b32_e64 v34, 0, v34, s[20:21]
	v_add_u32_e32 v33, v33, v34
	;; [unrolled: 4-line block ×3, first 2 shown]
	ds_write_b32 v2, v33 offset:16384
.LBB34_13:                              ;   in Loop: Header=BB34_4 Depth=2
	s_or_b64 exec, exec, s[34:35]
	v_mov_b32_e32 v33, 0
	s_waitcnt lgkmcnt(0)
	s_barrier
	s_and_saveexec_b64 s[34:35], s[0:1]
	s_cbranch_execz .LBB34_3
; %bb.14:                               ;   in Loop: Header=BB34_4 Depth=2
	ds_read_b32 v33, v12 offset:16380
	s_branch .LBB34_3
.LBB34_15:                              ;   in Loop: Header=BB34_4 Depth=2
	ds_write_b32 v16, v1
	s_or_b64 exec, exec, s[34:35]
	s_and_saveexec_b64 s[34:35], s[24:25]
	s_cbranch_execz .LBB34_6
.LBB34_16:                              ;   in Loop: Header=BB34_4 Depth=2
	ds_write_b32 v17, v1
	s_or_b64 exec, exec, s[34:35]
	s_and_saveexec_b64 s[34:35], s[24:25]
	s_cbranch_execz .LBB34_7
.LBB34_17:                              ;   in Loop: Header=BB34_4 Depth=2
	ds_write_b32 v18, v1
	s_or_b64 exec, exec, s[34:35]
	s_and_saveexec_b64 s[34:35], s[24:25]
	s_cbranch_execnz .LBB34_8
	s_branch .LBB34_9
.LBB34_18:
	ds_read_u16 v0, v26
	ds_read_u16 v1, v28
	;; [unrolled: 1-line block ×4, first 2 shown]
	s_add_u32 s0, s26, s28
	s_waitcnt lgkmcnt(3)
	v_add_u32_sdwa v4, v0, v25 dst_sel:DWORD dst_unused:UNUSED_PAD src0_sel:DWORD src1_sel:WORD_0
	s_waitcnt lgkmcnt(2)
	v_add_u32_sdwa v5, v1, v27 dst_sel:DWORD dst_unused:UNUSED_PAD src0_sel:DWORD src1_sel:WORD_0
	;; [unrolled: 2-line block ×4, first 2 shown]
	s_addc_u32 s1, s27, s29
	v_lshlrev_b32_e32 v0, 2, v2
	global_store_dwordx4 v0, v[4:7], s[0:1]
	s_endpgm
	.section	.rodata,"a",@progbits
	.p2align	6, 0x0
	.amdhsa_kernel _Z11rank_kernelIiLj4ELb0EL18RadixRankAlgorithm1ELj512ELj4ELj10EEvPKT_Pi
		.amdhsa_group_segment_fixed_size 16416
		.amdhsa_private_segment_fixed_size 0
		.amdhsa_kernarg_size 16
		.amdhsa_user_sgpr_count 6
		.amdhsa_user_sgpr_private_segment_buffer 1
		.amdhsa_user_sgpr_dispatch_ptr 0
		.amdhsa_user_sgpr_queue_ptr 0
		.amdhsa_user_sgpr_kernarg_segment_ptr 1
		.amdhsa_user_sgpr_dispatch_id 0
		.amdhsa_user_sgpr_flat_scratch_init 0
		.amdhsa_user_sgpr_kernarg_preload_length 0
		.amdhsa_user_sgpr_kernarg_preload_offset 0
		.amdhsa_user_sgpr_private_segment_size 0
		.amdhsa_uses_dynamic_stack 0
		.amdhsa_system_sgpr_private_segment_wavefront_offset 0
		.amdhsa_system_sgpr_workgroup_id_x 1
		.amdhsa_system_sgpr_workgroup_id_y 0
		.amdhsa_system_sgpr_workgroup_id_z 0
		.amdhsa_system_sgpr_workgroup_info 0
		.amdhsa_system_vgpr_workitem_id 0
		.amdhsa_next_free_vgpr 35
		.amdhsa_next_free_sgpr 37
		.amdhsa_accum_offset 36
		.amdhsa_reserve_vcc 1
		.amdhsa_reserve_flat_scratch 0
		.amdhsa_float_round_mode_32 0
		.amdhsa_float_round_mode_16_64 0
		.amdhsa_float_denorm_mode_32 3
		.amdhsa_float_denorm_mode_16_64 3
		.amdhsa_dx10_clamp 1
		.amdhsa_ieee_mode 1
		.amdhsa_fp16_overflow 0
		.amdhsa_tg_split 0
		.amdhsa_exception_fp_ieee_invalid_op 0
		.amdhsa_exception_fp_denorm_src 0
		.amdhsa_exception_fp_ieee_div_zero 0
		.amdhsa_exception_fp_ieee_overflow 0
		.amdhsa_exception_fp_ieee_underflow 0
		.amdhsa_exception_fp_ieee_inexact 0
		.amdhsa_exception_int_div_zero 0
	.end_amdhsa_kernel
	.section	.text._Z11rank_kernelIiLj4ELb0EL18RadixRankAlgorithm1ELj512ELj4ELj10EEvPKT_Pi,"axG",@progbits,_Z11rank_kernelIiLj4ELb0EL18RadixRankAlgorithm1ELj512ELj4ELj10EEvPKT_Pi,comdat
.Lfunc_end34:
	.size	_Z11rank_kernelIiLj4ELb0EL18RadixRankAlgorithm1ELj512ELj4ELj10EEvPKT_Pi, .Lfunc_end34-_Z11rank_kernelIiLj4ELb0EL18RadixRankAlgorithm1ELj512ELj4ELj10EEvPKT_Pi
                                        ; -- End function
	.section	.AMDGPU.csdata,"",@progbits
; Kernel info:
; codeLenInByte = 1344
; NumSgprs: 41
; NumVgprs: 35
; NumAgprs: 0
; TotalNumVgprs: 35
; ScratchSize: 0
; MemoryBound: 0
; FloatMode: 240
; IeeeMode: 1
; LDSByteSize: 16416 bytes/workgroup (compile time only)
; SGPRBlocks: 5
; VGPRBlocks: 4
; NumSGPRsForWavesPerEU: 41
; NumVGPRsForWavesPerEU: 35
; AccumOffset: 36
; Occupancy: 6
; WaveLimiterHint : 0
; COMPUTE_PGM_RSRC2:SCRATCH_EN: 0
; COMPUTE_PGM_RSRC2:USER_SGPR: 6
; COMPUTE_PGM_RSRC2:TRAP_HANDLER: 0
; COMPUTE_PGM_RSRC2:TGID_X_EN: 1
; COMPUTE_PGM_RSRC2:TGID_Y_EN: 0
; COMPUTE_PGM_RSRC2:TGID_Z_EN: 0
; COMPUTE_PGM_RSRC2:TIDIG_COMP_CNT: 0
; COMPUTE_PGM_RSRC3_GFX90A:ACCUM_OFFSET: 8
; COMPUTE_PGM_RSRC3_GFX90A:TG_SPLIT: 0
	.section	.text._Z11rank_kernelIiLj4ELb0EL18RadixRankAlgorithm2ELj512ELj4ELj10EEvPKT_Pi,"axG",@progbits,_Z11rank_kernelIiLj4ELb0EL18RadixRankAlgorithm2ELj512ELj4ELj10EEvPKT_Pi,comdat
	.protected	_Z11rank_kernelIiLj4ELb0EL18RadixRankAlgorithm2ELj512ELj4ELj10EEvPKT_Pi ; -- Begin function _Z11rank_kernelIiLj4ELb0EL18RadixRankAlgorithm2ELj512ELj4ELj10EEvPKT_Pi
	.globl	_Z11rank_kernelIiLj4ELb0EL18RadixRankAlgorithm2ELj512ELj4ELj10EEvPKT_Pi
	.p2align	8
	.type	_Z11rank_kernelIiLj4ELb0EL18RadixRankAlgorithm2ELj512ELj4ELj10EEvPKT_Pi,@function
_Z11rank_kernelIiLj4ELb0EL18RadixRankAlgorithm2ELj512ELj4ELj10EEvPKT_Pi: ; @_Z11rank_kernelIiLj4ELb0EL18RadixRankAlgorithm2ELj512ELj4ELj10EEvPKT_Pi
; %bb.0:
	s_load_dwordx4 s[28:31], s[4:5], 0x0
	s_load_dword s24, s[4:5], 0x1c
	s_lshl_b32 s36, s6, 11
	s_mov_b32 s37, 0
	s_lshl_b64 s[34:35], s[36:37], 2
	s_waitcnt lgkmcnt(0)
	s_add_u32 s0, s28, s34
	v_and_b32_e32 v4, 0x3ff, v0
	s_addc_u32 s1, s29, s35
	v_lshlrev_b32_e32 v1, 4, v4
	global_load_dwordx4 v[8:11], v1, s[0:1]
	v_mbcnt_lo_u32_b32 v1, -1, 0
	v_mbcnt_hi_u32_b32 v1, -1, v1
	v_bfe_u32 v3, v0, 10, 10
	v_bfe_u32 v5, v0, 20, 10
	v_add_u32_e32 v13, -1, v1
	v_and_b32_e32 v14, 64, v1
	s_lshr_b32 s25, s24, 16
	v_and_b32_e32 v6, 15, v1
	v_or_b32_e32 v12, 63, v4
	v_lshrrev_b32_e32 v15, 4, v4
	v_cmp_lt_i32_e64 s[18:19], v13, v14
	s_and_b32 s24, s24, 0xffff
	v_mad_u32_u24 v3, v5, s25, v3
	v_lshlrev_b32_e32 v0, 2, v4
	v_and_b32_e32 v7, 16, v1
	v_cmp_lt_u32_e32 vcc, 31, v1
	v_cmp_gt_u32_e64 s[0:1], 8, v4
	v_cmp_lt_u32_e64 s[2:3], 63, v4
	v_cmp_eq_u32_e64 s[4:5], 0, v1
	v_and_b32_e32 v16, 7, v1
	v_cmp_eq_u32_e64 s[6:7], 0, v6
	v_cmp_lt_u32_e64 s[8:9], 1, v6
	v_cmp_lt_u32_e64 s[10:11], 3, v6
	;; [unrolled: 1-line block ×3, first 2 shown]
	v_cmp_eq_u32_e64 s[16:17], v12, v4
	v_cndmask_b32_e64 v6, v13, v1, s[18:19]
	v_and_b32_e32 v1, 28, v15
	v_mad_u64_u32 v[4:5], s[24:25], v3, s24, v[4:5]
	v_mov_b32_e32 v2, 0
	v_cmp_eq_u32_e64 s[14:15], 0, v7
	v_cmp_eq_u32_e64 s[18:19], 0, v16
	v_cmp_lt_u32_e64 s[20:21], 1, v16
	v_cmp_lt_u32_e64 s[22:23], 3, v16
	v_lshlrev_b32_e32 v6, 2, v6
	v_lshrrev_b32_e32 v7, 6, v4
	v_add_u32_e32 v12, -4, v1
	s_waitcnt vmcnt(0)
	v_xor_b32_e32 v8, 0x80000000, v8
	v_xor_b32_e32 v9, 0x80000000, v9
	;; [unrolled: 1-line block ×4, first 2 shown]
	s_branch .LBB35_2
.LBB35_1:                               ;   in Loop: Header=BB35_2 Depth=1
	s_add_i32 s37, s37, 1
	s_cmp_eq_u32 s37, 10
	s_cbranch_scc1 .LBB35_18
.LBB35_2:                               ; =>This Loop Header: Depth=1
                                        ;     Child Loop BB35_4 Depth 2
	s_mov_b32 s28, -4
	s_mov_b32 s29, 28
	s_branch .LBB35_4
.LBB35_3:                               ;   in Loop: Header=BB35_4 Depth=2
	s_or_b64 exec, exec, s[24:25]
	s_waitcnt lgkmcnt(0)
	v_add_u32_e32 v4, v5, v4
	ds_bpermute_b32 v4, v6, v4
	s_add_i32 s29, s29, -4
	s_add_i32 s28, s28, 4
	s_cmp_lt_u32 s28, 28
	s_waitcnt lgkmcnt(0)
	v_cndmask_b32_e64 v4, v4, v5, s[4:5]
	ds_write_b32 v0, v4 offset:32
	s_waitcnt lgkmcnt(0)
	s_barrier
	s_cbranch_scc0 .LBB35_1
.LBB35_4:                               ;   Parent Loop BB35_2 Depth=1
                                        ; =>  This Inner Loop Header: Depth=2
	v_lshlrev_b32_e32 v4, s29, v8
	v_lshrrev_b32_e32 v5, 28, v4
	v_mad_u32_u24 v3, v5, 9, v7
	v_lshl_add_u32 v13, v3, 2, 32
	v_bfe_u32 v3, v4, 28, 1
	v_add_co_u32_e64 v14, s[24:25], -1, v3
	v_addc_co_u32_e64 v15, s[24:25], 0, -1, s[24:25]
	v_cmp_ne_u32_e64 s[24:25], 0, v3
	v_xor_b32_e32 v3, s25, v15
	v_and_b32_e32 v15, exec_hi, v3
	v_lshlrev_b32_e32 v3, 30, v5
	v_xor_b32_e32 v14, s24, v14
	v_cmp_gt_i64_e64 s[24:25], 0, v[2:3]
	v_not_b32_e32 v3, v3
	v_ashrrev_i32_e32 v3, 31, v3
	v_and_b32_e32 v14, exec_lo, v14
	v_xor_b32_e32 v16, s25, v3
	v_xor_b32_e32 v3, s24, v3
	v_and_b32_e32 v14, v14, v3
	v_lshlrev_b32_e32 v3, 29, v5
	v_cmp_gt_i64_e64 s[24:25], 0, v[2:3]
	v_not_b32_e32 v3, v3
	v_ashrrev_i32_e32 v3, 31, v3
	v_xor_b32_e32 v5, s25, v3
	v_xor_b32_e32 v3, s24, v3
	v_and_b32_e32 v14, v14, v3
	v_and_b32_e32 v3, 0xf0000000, v4
	v_cmp_gt_i64_e64 s[24:25], 0, v[2:3]
	v_not_b32_e32 v3, v3
	v_and_b32_e32 v15, v15, v16
	v_ashrrev_i32_e32 v3, 31, v3
	v_and_b32_e32 v5, v15, v5
	v_xor_b32_e32 v4, s25, v3
	v_xor_b32_e32 v3, s24, v3
	v_and_b32_e32 v5, v5, v4
	v_and_b32_e32 v4, v14, v3
	v_mbcnt_lo_u32_b32 v3, v4, 0
	v_mbcnt_hi_u32_b32 v14, v5, v3
	v_cmp_eq_u32_e64 s[24:25], 0, v14
	v_cmp_ne_u64_e64 s[26:27], 0, v[4:5]
	s_and_b64 s[26:27], s[26:27], s[24:25]
	ds_write_b32 v0, v2 offset:32
	s_waitcnt lgkmcnt(0)
	s_barrier
	s_waitcnt lgkmcnt(0)
	; wave barrier
	s_and_saveexec_b64 s[24:25], s[26:27]
	s_cbranch_execz .LBB35_6
; %bb.5:                                ;   in Loop: Header=BB35_4 Depth=2
	v_bcnt_u32_b32 v3, v4, 0
	v_bcnt_u32_b32 v3, v5, v3
	ds_write_b32 v13, v3
.LBB35_6:                               ;   in Loop: Header=BB35_4 Depth=2
	s_or_b64 exec, exec, s[24:25]
	v_lshlrev_b32_e32 v4, s29, v9
	v_lshrrev_b32_e32 v5, 28, v4
	v_mul_u32_u24_e32 v3, 9, v5
	v_add_lshl_u32 v3, v7, v3, 2
	; wave barrier
	v_add_u32_e32 v16, 32, v3
	ds_read_b32 v15, v3 offset:32
	v_bfe_u32 v3, v4, 28, 1
	v_add_co_u32_e64 v17, s[24:25], -1, v3
	v_addc_co_u32_e64 v18, s[24:25], 0, -1, s[24:25]
	v_cmp_ne_u32_e64 s[24:25], 0, v3
	v_xor_b32_e32 v3, s25, v18
	v_and_b32_e32 v18, exec_hi, v3
	v_lshlrev_b32_e32 v3, 30, v5
	v_xor_b32_e32 v17, s24, v17
	v_cmp_gt_i64_e64 s[24:25], 0, v[2:3]
	v_not_b32_e32 v3, v3
	v_ashrrev_i32_e32 v3, 31, v3
	v_and_b32_e32 v17, exec_lo, v17
	v_xor_b32_e32 v19, s25, v3
	v_xor_b32_e32 v3, s24, v3
	v_and_b32_e32 v17, v17, v3
	v_lshlrev_b32_e32 v3, 29, v5
	v_cmp_gt_i64_e64 s[24:25], 0, v[2:3]
	v_not_b32_e32 v3, v3
	v_ashrrev_i32_e32 v3, 31, v3
	v_xor_b32_e32 v5, s25, v3
	v_xor_b32_e32 v3, s24, v3
	v_and_b32_e32 v17, v17, v3
	v_and_b32_e32 v3, 0xf0000000, v4
	v_cmp_gt_i64_e64 s[24:25], 0, v[2:3]
	v_not_b32_e32 v3, v3
	v_and_b32_e32 v18, v18, v19
	v_ashrrev_i32_e32 v3, 31, v3
	v_and_b32_e32 v5, v18, v5
	v_xor_b32_e32 v4, s25, v3
	v_xor_b32_e32 v3, s24, v3
	v_and_b32_e32 v5, v5, v4
	v_and_b32_e32 v4, v17, v3
	v_mbcnt_lo_u32_b32 v3, v4, 0
	v_mbcnt_hi_u32_b32 v17, v5, v3
	v_cmp_eq_u32_e64 s[24:25], 0, v17
	v_cmp_ne_u64_e64 s[26:27], 0, v[4:5]
	s_and_b64 s[26:27], s[26:27], s[24:25]
	; wave barrier
	s_and_saveexec_b64 s[24:25], s[26:27]
	s_cbranch_execz .LBB35_8
; %bb.7:                                ;   in Loop: Header=BB35_4 Depth=2
	v_bcnt_u32_b32 v3, v4, 0
	v_bcnt_u32_b32 v3, v5, v3
	s_waitcnt lgkmcnt(0)
	v_add_u32_e32 v3, v15, v3
	ds_write_b32 v16, v3
.LBB35_8:                               ;   in Loop: Header=BB35_4 Depth=2
	s_or_b64 exec, exec, s[24:25]
	v_lshlrev_b32_e32 v4, s29, v10
	v_lshrrev_b32_e32 v5, 28, v4
	v_mul_u32_u24_e32 v3, 9, v5
	v_add_lshl_u32 v3, v7, v3, 2
	; wave barrier
	v_add_u32_e32 v19, 32, v3
	ds_read_b32 v18, v3 offset:32
	v_bfe_u32 v3, v4, 28, 1
	v_add_co_u32_e64 v20, s[24:25], -1, v3
	v_addc_co_u32_e64 v21, s[24:25], 0, -1, s[24:25]
	v_cmp_ne_u32_e64 s[24:25], 0, v3
	v_xor_b32_e32 v3, s25, v21
	v_and_b32_e32 v21, exec_hi, v3
	v_lshlrev_b32_e32 v3, 30, v5
	v_xor_b32_e32 v20, s24, v20
	v_cmp_gt_i64_e64 s[24:25], 0, v[2:3]
	v_not_b32_e32 v3, v3
	v_ashrrev_i32_e32 v3, 31, v3
	v_and_b32_e32 v20, exec_lo, v20
	v_xor_b32_e32 v22, s25, v3
	v_xor_b32_e32 v3, s24, v3
	v_and_b32_e32 v20, v20, v3
	v_lshlrev_b32_e32 v3, 29, v5
	v_cmp_gt_i64_e64 s[24:25], 0, v[2:3]
	v_not_b32_e32 v3, v3
	v_ashrrev_i32_e32 v3, 31, v3
	v_xor_b32_e32 v5, s25, v3
	v_xor_b32_e32 v3, s24, v3
	v_and_b32_e32 v20, v20, v3
	v_and_b32_e32 v3, 0xf0000000, v4
	v_cmp_gt_i64_e64 s[24:25], 0, v[2:3]
	v_not_b32_e32 v3, v3
	v_and_b32_e32 v21, v21, v22
	v_ashrrev_i32_e32 v3, 31, v3
	v_and_b32_e32 v5, v21, v5
	v_xor_b32_e32 v4, s25, v3
	v_xor_b32_e32 v3, s24, v3
	v_and_b32_e32 v5, v5, v4
	v_and_b32_e32 v4, v20, v3
	v_mbcnt_lo_u32_b32 v3, v4, 0
	v_mbcnt_hi_u32_b32 v20, v5, v3
	v_cmp_eq_u32_e64 s[24:25], 0, v20
	v_cmp_ne_u64_e64 s[26:27], 0, v[4:5]
	s_and_b64 s[26:27], s[26:27], s[24:25]
	; wave barrier
	s_and_saveexec_b64 s[24:25], s[26:27]
	s_cbranch_execz .LBB35_10
; %bb.9:                                ;   in Loop: Header=BB35_4 Depth=2
	v_bcnt_u32_b32 v3, v4, 0
	v_bcnt_u32_b32 v3, v5, v3
	s_waitcnt lgkmcnt(0)
	v_add_u32_e32 v3, v18, v3
	ds_write_b32 v19, v3
.LBB35_10:                              ;   in Loop: Header=BB35_4 Depth=2
	s_or_b64 exec, exec, s[24:25]
	v_lshlrev_b32_e32 v4, s29, v11
	v_lshrrev_b32_e32 v5, 28, v4
	v_mul_u32_u24_e32 v3, 9, v5
	v_add_lshl_u32 v3, v7, v3, 2
	; wave barrier
	v_add_u32_e32 v22, 32, v3
	ds_read_b32 v21, v3 offset:32
	v_bfe_u32 v3, v4, 28, 1
	v_add_co_u32_e64 v23, s[24:25], -1, v3
	v_addc_co_u32_e64 v24, s[24:25], 0, -1, s[24:25]
	v_cmp_ne_u32_e64 s[24:25], 0, v3
	v_xor_b32_e32 v3, s25, v24
	v_and_b32_e32 v24, exec_hi, v3
	v_lshlrev_b32_e32 v3, 30, v5
	v_xor_b32_e32 v23, s24, v23
	v_cmp_gt_i64_e64 s[24:25], 0, v[2:3]
	v_not_b32_e32 v3, v3
	v_ashrrev_i32_e32 v3, 31, v3
	v_and_b32_e32 v23, exec_lo, v23
	v_xor_b32_e32 v25, s25, v3
	v_xor_b32_e32 v3, s24, v3
	v_and_b32_e32 v23, v23, v3
	v_lshlrev_b32_e32 v3, 29, v5
	v_cmp_gt_i64_e64 s[24:25], 0, v[2:3]
	v_not_b32_e32 v3, v3
	v_ashrrev_i32_e32 v3, 31, v3
	v_xor_b32_e32 v5, s25, v3
	v_xor_b32_e32 v3, s24, v3
	v_and_b32_e32 v23, v23, v3
	v_and_b32_e32 v3, 0xf0000000, v4
	v_cmp_gt_i64_e64 s[24:25], 0, v[2:3]
	v_not_b32_e32 v3, v3
	v_and_b32_e32 v24, v24, v25
	v_ashrrev_i32_e32 v3, 31, v3
	v_and_b32_e32 v5, v24, v5
	v_xor_b32_e32 v4, s25, v3
	v_xor_b32_e32 v3, s24, v3
	v_and_b32_e32 v5, v5, v4
	v_and_b32_e32 v4, v23, v3
	v_mbcnt_lo_u32_b32 v3, v4, 0
	v_mbcnt_hi_u32_b32 v3, v5, v3
	v_cmp_eq_u32_e64 s[24:25], 0, v3
	v_cmp_ne_u64_e64 s[26:27], 0, v[4:5]
	s_and_b64 s[26:27], s[26:27], s[24:25]
	; wave barrier
	s_and_saveexec_b64 s[24:25], s[26:27]
	s_cbranch_execz .LBB35_12
; %bb.11:                               ;   in Loop: Header=BB35_4 Depth=2
	v_bcnt_u32_b32 v4, v4, 0
	v_bcnt_u32_b32 v4, v5, v4
	s_waitcnt lgkmcnt(0)
	v_add_u32_e32 v4, v21, v4
	ds_write_b32 v22, v4
.LBB35_12:                              ;   in Loop: Header=BB35_4 Depth=2
	s_or_b64 exec, exec, s[24:25]
	; wave barrier
	s_waitcnt lgkmcnt(0)
	s_barrier
	ds_read_b32 v4, v0 offset:32
	s_waitcnt lgkmcnt(0)
	s_nop 0
	v_mov_b32_dpp v5, v4 row_shr:1 row_mask:0xf bank_mask:0xf
	v_cndmask_b32_e64 v5, v5, 0, s[6:7]
	v_add_u32_e32 v4, v5, v4
	s_nop 1
	v_mov_b32_dpp v5, v4 row_shr:2 row_mask:0xf bank_mask:0xf
	v_cndmask_b32_e64 v5, 0, v5, s[8:9]
	v_add_u32_e32 v4, v4, v5
	s_nop 1
	v_mov_b32_dpp v5, v4 row_shr:4 row_mask:0xf bank_mask:0xf
	v_cndmask_b32_e64 v5, 0, v5, s[10:11]
	v_add_u32_e32 v4, v4, v5
	s_nop 1
	v_mov_b32_dpp v5, v4 row_shr:8 row_mask:0xf bank_mask:0xf
	v_cndmask_b32_e64 v5, 0, v5, s[12:13]
	v_add_u32_e32 v4, v4, v5
	s_nop 1
	v_mov_b32_dpp v5, v4 row_bcast:15 row_mask:0xf bank_mask:0xf
	v_cndmask_b32_e64 v5, v5, 0, s[14:15]
	v_add_u32_e32 v4, v4, v5
	s_nop 1
	v_mov_b32_dpp v5, v4 row_bcast:31 row_mask:0xf bank_mask:0xf
	v_cndmask_b32_e32 v5, 0, v5, vcc
	v_add_u32_e32 v4, v4, v5
	s_and_saveexec_b64 s[24:25], s[16:17]
	s_xor_b64 s[24:25], exec, s[24:25]
	s_cbranch_execz .LBB35_14
; %bb.13:                               ;   in Loop: Header=BB35_4 Depth=2
	ds_write_b32 v1, v4
.LBB35_14:                              ;   in Loop: Header=BB35_4 Depth=2
	s_or_b64 exec, exec, s[24:25]
	s_waitcnt lgkmcnt(0)
	s_barrier
	s_and_saveexec_b64 s[24:25], s[0:1]
	s_cbranch_execz .LBB35_16
; %bb.15:                               ;   in Loop: Header=BB35_4 Depth=2
	ds_read_b32 v5, v0
	s_waitcnt lgkmcnt(0)
	s_nop 0
	v_mov_b32_dpp v23, v5 row_shr:1 row_mask:0xf bank_mask:0xf
	v_cndmask_b32_e64 v23, v23, 0, s[18:19]
	v_add_u32_e32 v5, v23, v5
	s_nop 1
	v_mov_b32_dpp v23, v5 row_shr:2 row_mask:0xf bank_mask:0xf
	v_cndmask_b32_e64 v23, 0, v23, s[20:21]
	v_add_u32_e32 v5, v5, v23
	;; [unrolled: 4-line block ×3, first 2 shown]
	ds_write_b32 v0, v5
.LBB35_16:                              ;   in Loop: Header=BB35_4 Depth=2
	s_or_b64 exec, exec, s[24:25]
	v_mov_b32_e32 v5, 0
	s_waitcnt lgkmcnt(0)
	s_barrier
	s_and_saveexec_b64 s[24:25], s[2:3]
	s_cbranch_execz .LBB35_3
; %bb.17:                               ;   in Loop: Header=BB35_4 Depth=2
	ds_read_b32 v5, v12
	s_branch .LBB35_3
.LBB35_18:
	ds_read_b32 v2, v22
	ds_read_b32 v4, v19
	;; [unrolled: 1-line block ×4, first 2 shown]
	s_add_u32 s0, s30, s34
	s_addc_u32 s1, s31, s35
	v_lshlrev_b32_e32 v6, 2, v0
	s_waitcnt lgkmcnt(1)
	v_add3_u32 v1, v17, v15, v1
	s_waitcnt lgkmcnt(0)
	v_add_u32_e32 v0, v5, v14
	v_add3_u32 v3, v3, v21, v2
	v_add3_u32 v2, v20, v18, v4
	global_store_dwordx4 v6, v[0:3], s[0:1]
	s_endpgm
	.section	.rodata,"a",@progbits
	.p2align	6, 0x0
	.amdhsa_kernel _Z11rank_kernelIiLj4ELb0EL18RadixRankAlgorithm2ELj512ELj4ELj10EEvPKT_Pi
		.amdhsa_group_segment_fixed_size 2080
		.amdhsa_private_segment_fixed_size 0
		.amdhsa_kernarg_size 272
		.amdhsa_user_sgpr_count 6
		.amdhsa_user_sgpr_private_segment_buffer 1
		.amdhsa_user_sgpr_dispatch_ptr 0
		.amdhsa_user_sgpr_queue_ptr 0
		.amdhsa_user_sgpr_kernarg_segment_ptr 1
		.amdhsa_user_sgpr_dispatch_id 0
		.amdhsa_user_sgpr_flat_scratch_init 0
		.amdhsa_user_sgpr_kernarg_preload_length 0
		.amdhsa_user_sgpr_kernarg_preload_offset 0
		.amdhsa_user_sgpr_private_segment_size 0
		.amdhsa_uses_dynamic_stack 0
		.amdhsa_system_sgpr_private_segment_wavefront_offset 0
		.amdhsa_system_sgpr_workgroup_id_x 1
		.amdhsa_system_sgpr_workgroup_id_y 0
		.amdhsa_system_sgpr_workgroup_id_z 0
		.amdhsa_system_sgpr_workgroup_info 0
		.amdhsa_system_vgpr_workitem_id 2
		.amdhsa_next_free_vgpr 26
		.amdhsa_next_free_sgpr 38
		.amdhsa_accum_offset 28
		.amdhsa_reserve_vcc 1
		.amdhsa_reserve_flat_scratch 0
		.amdhsa_float_round_mode_32 0
		.amdhsa_float_round_mode_16_64 0
		.amdhsa_float_denorm_mode_32 3
		.amdhsa_float_denorm_mode_16_64 3
		.amdhsa_dx10_clamp 1
		.amdhsa_ieee_mode 1
		.amdhsa_fp16_overflow 0
		.amdhsa_tg_split 0
		.amdhsa_exception_fp_ieee_invalid_op 0
		.amdhsa_exception_fp_denorm_src 0
		.amdhsa_exception_fp_ieee_div_zero 0
		.amdhsa_exception_fp_ieee_overflow 0
		.amdhsa_exception_fp_ieee_underflow 0
		.amdhsa_exception_fp_ieee_inexact 0
		.amdhsa_exception_int_div_zero 0
	.end_amdhsa_kernel
	.section	.text._Z11rank_kernelIiLj4ELb0EL18RadixRankAlgorithm2ELj512ELj4ELj10EEvPKT_Pi,"axG",@progbits,_Z11rank_kernelIiLj4ELb0EL18RadixRankAlgorithm2ELj512ELj4ELj10EEvPKT_Pi,comdat
.Lfunc_end35:
	.size	_Z11rank_kernelIiLj4ELb0EL18RadixRankAlgorithm2ELj512ELj4ELj10EEvPKT_Pi, .Lfunc_end35-_Z11rank_kernelIiLj4ELb0EL18RadixRankAlgorithm2ELj512ELj4ELj10EEvPKT_Pi
                                        ; -- End function
	.section	.AMDGPU.csdata,"",@progbits
; Kernel info:
; codeLenInByte = 1928
; NumSgprs: 42
; NumVgprs: 26
; NumAgprs: 0
; TotalNumVgprs: 26
; ScratchSize: 0
; MemoryBound: 0
; FloatMode: 240
; IeeeMode: 1
; LDSByteSize: 2080 bytes/workgroup (compile time only)
; SGPRBlocks: 5
; VGPRBlocks: 3
; NumSGPRsForWavesPerEU: 42
; NumVGPRsForWavesPerEU: 26
; AccumOffset: 28
; Occupancy: 8
; WaveLimiterHint : 0
; COMPUTE_PGM_RSRC2:SCRATCH_EN: 0
; COMPUTE_PGM_RSRC2:USER_SGPR: 6
; COMPUTE_PGM_RSRC2:TRAP_HANDLER: 0
; COMPUTE_PGM_RSRC2:TGID_X_EN: 1
; COMPUTE_PGM_RSRC2:TGID_Y_EN: 0
; COMPUTE_PGM_RSRC2:TGID_Z_EN: 0
; COMPUTE_PGM_RSRC2:TIDIG_COMP_CNT: 2
; COMPUTE_PGM_RSRC3_GFX90A:ACCUM_OFFSET: 6
; COMPUTE_PGM_RSRC3_GFX90A:TG_SPLIT: 0
	.section	.text._Z11rank_kernelIiLj4ELb0EL18RadixRankAlgorithm0ELj512ELj8ELj10EEvPKT_Pi,"axG",@progbits,_Z11rank_kernelIiLj4ELb0EL18RadixRankAlgorithm0ELj512ELj8ELj10EEvPKT_Pi,comdat
	.protected	_Z11rank_kernelIiLj4ELb0EL18RadixRankAlgorithm0ELj512ELj8ELj10EEvPKT_Pi ; -- Begin function _Z11rank_kernelIiLj4ELb0EL18RadixRankAlgorithm0ELj512ELj8ELj10EEvPKT_Pi
	.globl	_Z11rank_kernelIiLj4ELb0EL18RadixRankAlgorithm0ELj512ELj8ELj10EEvPKT_Pi
	.p2align	8
	.type	_Z11rank_kernelIiLj4ELb0EL18RadixRankAlgorithm0ELj512ELj8ELj10EEvPKT_Pi,@function
_Z11rank_kernelIiLj4ELb0EL18RadixRankAlgorithm0ELj512ELj8ELj10EEvPKT_Pi: ; @_Z11rank_kernelIiLj4ELb0EL18RadixRankAlgorithm0ELj512ELj8ELj10EEvPKT_Pi
; %bb.0:
	s_load_dwordx4 s[24:27], s[4:5], 0x0
	s_lshl_b32 s30, s6, 12
	s_mov_b32 s31, 0
	s_lshl_b64 s[28:29], s[30:31], 2
	v_lshlrev_b32_e32 v1, 5, v0
	s_waitcnt lgkmcnt(0)
	s_add_u32 s0, s24, s28
	s_addc_u32 s1, s25, s29
	global_load_dwordx4 v[14:17], v1, s[0:1]
	global_load_dwordx4 v[18:21], v1, s[0:1] offset:16
	v_mbcnt_lo_u32_b32 v4, -1, 0
	v_mbcnt_hi_u32_b32 v13, -1, v4
	v_add_u32_e32 v24, -1, v13
	v_and_b32_e32 v25, 64, v13
	v_cmp_lt_i32_e64 s[18:19], v24, v25
	v_or_b32_e32 v5, 63, v0
	v_lshrrev_b32_e32 v6, 4, v0
	v_lshlrev_b32_e32 v4, 2, v0
	v_and_b32_e32 v22, 15, v13
	v_and_b32_e32 v23, 16, v13
	v_cmp_lt_u32_e64 s[2:3], 31, v13
	v_cmp_eq_u32_e64 s[6:7], 0, v13
	v_and_b32_e32 v26, 7, v13
	v_cndmask_b32_e64 v13, v24, v13, s[18:19]
	v_mov_b32_e32 v3, 0
	s_mov_b64 s[24:25], -1
	v_lshlrev_b32_e32 v2, 3, v0
	v_cmp_gt_u32_e32 vcc, 8, v0
	v_cmp_lt_u32_e64 s[0:1], 63, v0
	v_cmp_eq_u32_e64 s[4:5], v5, v0
	v_and_b32_e32 v5, 28, v6
	v_or_b32_e32 v6, 0x800, v4
	v_or_b32_e32 v7, 0x1000, v4
	;; [unrolled: 1-line block ×7, first 2 shown]
	v_cmp_eq_u32_e64 s[8:9], 0, v22
	v_cmp_lt_u32_e64 s[10:11], 1, v22
	v_cmp_lt_u32_e64 s[12:13], 3, v22
	;; [unrolled: 1-line block ×3, first 2 shown]
	v_cmp_eq_u32_e64 s[16:17], 0, v23
	v_cmp_eq_u32_e64 s[18:19], 0, v26
	v_cmp_lt_u32_e64 s[20:21], 1, v26
	v_cmp_lt_u32_e64 s[22:23], 3, v26
	v_lshlrev_b32_e32 v13, 2, v13
	s_movk_i32 s30, 0xe00
	s_waitcnt vmcnt(1)
	v_xor_b32_e32 v14, 0x80000000, v14
	v_xor_b32_e32 v15, 0x80000000, v15
	;; [unrolled: 1-line block ×4, first 2 shown]
	s_waitcnt vmcnt(0)
	v_xor_b32_e32 v18, 0x80000000, v18
	v_xor_b32_e32 v19, 0x80000000, v19
	v_xor_b32_e32 v20, 0x80000000, v20
	v_xor_b32_e32 v21, 0x80000000, v21
	s_branch .LBB36_2
.LBB36_1:                               ;   in Loop: Header=BB36_2 Depth=1
	s_add_i32 s31, s31, 1
	s_cmp_eq_u32 s31, 10
	s_cbranch_scc1 .LBB36_18
.LBB36_2:                               ; =>This Loop Header: Depth=1
                                        ;     Child Loop BB36_4 Depth 2
	s_mov_b32 s33, -4
	s_mov_b32 s36, 28
	s_branch .LBB36_4
.LBB36_3:                               ;   in Loop: Header=BB36_4 Depth=2
	s_or_b64 exec, exec, s[34:35]
	s_waitcnt lgkmcnt(0)
	v_add_u32_e32 v38, v39, v38
	ds_bpermute_b32 v38, v13, v38
	ds_read_b32 v40, v3 offset:16412
	s_add_i32 s36, s36, -4
	s_add_i32 s33, s33, 4
	s_cmp_lt_u32 s33, 28
	s_waitcnt lgkmcnt(1)
	v_cndmask_b32_e64 v41, v38, v39, s[6:7]
	ds_read2_b32 v[38:39], v1 offset1:1
	s_waitcnt lgkmcnt(1)
	v_lshl_add_u32 v44, v40, 16, v41
	ds_read2_b32 v[40:41], v1 offset0:2 offset1:3
	ds_read2_b32 v[42:43], v1 offset0:4 offset1:5
	ds_read_b32 v45, v1 offset:24
	s_waitcnt lgkmcnt(3)
	v_add_u32_e32 v38, v44, v38
	ds_write2_b32 v1, v44, v38 offset1:1
	v_add_u32_e32 v38, v39, v38
	s_waitcnt lgkmcnt(3)
	v_add_u32_e32 v39, v40, v38
	ds_write2_b32 v1, v38, v39 offset0:2 offset1:3
	v_add_u32_e32 v38, v41, v39
	s_waitcnt lgkmcnt(3)
	v_add_u32_e32 v39, v42, v38
	ds_write2_b32 v1, v38, v39 offset0:4 offset1:5
	;; [unrolled: 4-line block ×3, first 2 shown]
	s_waitcnt lgkmcnt(0)
	s_barrier
	s_cbranch_scc0 .LBB36_1
.LBB36_4:                               ;   Parent Loop BB36_2 Depth=1
                                        ; =>  This Inner Loop Header: Depth=2
	ds_write_b32 v4, v3
	ds_write_b32 v6, v3
	;; [unrolled: 1-line block ×4, first 2 shown]
	s_and_saveexec_b64 s[34:35], s[24:25]
	s_cbranch_execnz .LBB36_15
; %bb.5:                                ;   in Loop: Header=BB36_4 Depth=2
	s_or_b64 exec, exec, s[34:35]
	s_and_saveexec_b64 s[34:35], s[24:25]
	s_cbranch_execnz .LBB36_16
.LBB36_6:                               ;   in Loop: Header=BB36_4 Depth=2
	s_or_b64 exec, exec, s[34:35]
	s_and_saveexec_b64 s[34:35], s[24:25]
	s_cbranch_execnz .LBB36_17
.LBB36_7:                               ;   in Loop: Header=BB36_4 Depth=2
	s_or_b64 exec, exec, s[34:35]
	s_and_saveexec_b64 s[34:35], s[24:25]
	s_cbranch_execz .LBB36_9
.LBB36_8:                               ;   in Loop: Header=BB36_4 Depth=2
	ds_write_b32 v12, v3
.LBB36_9:                               ;   in Loop: Header=BB36_4 Depth=2
	s_or_b64 exec, exec, s[34:35]
	v_lshlrev_b32_e32 v22, s36, v14
	v_lshrrev_b32_e32 v23, 19, v22
	v_and_or_b32 v23, v23, s30, v0
	v_alignbit_b32 v22, v23, v22, 31
	v_lshlrev_b32_e32 v23, 1, v22
	ds_read_u16 v22, v23
	v_lshlrev_b32_e32 v24, s36, v15
	v_lshrrev_b32_e32 v25, 19, v24
	v_and_or_b32 v25, v25, s30, v0
	v_alignbit_b32 v24, v25, v24, 31
	s_waitcnt lgkmcnt(0)
	v_add_u16_e32 v25, 1, v22
	ds_write_b16 v23, v25
	v_lshlrev_b32_e32 v25, 1, v24
	ds_read_u16 v24, v25
	v_lshlrev_b32_e32 v26, s36, v16
	v_lshrrev_b32_e32 v27, 19, v26
	v_and_or_b32 v27, v27, s30, v0
	v_alignbit_b32 v26, v27, v26, 31
	s_waitcnt lgkmcnt(0)
	v_add_u16_e32 v28, 1, v24
	ds_write_b16 v25, v28
	;; [unrolled: 9-line block ×3, first 2 shown]
	v_lshlrev_b32_e32 v30, 1, v28
	ds_read_u16 v28, v30
	v_lshlrev_b32_e32 v29, s36, v18
	s_waitcnt lgkmcnt(0)
	v_add_u16_e32 v31, 1, v28
	ds_write_b16 v30, v31
	v_lshrrev_b32_e32 v31, 19, v29
	v_and_or_b32 v31, v31, s30, v0
	v_alignbit_b32 v29, v31, v29, 31
	v_lshlrev_b32_e32 v31, 1, v29
	ds_read_u16 v29, v31
	s_waitcnt lgkmcnt(0)
	v_add_u16_e32 v32, 1, v29
	ds_write_b16 v31, v32
	v_lshlrev_b32_e32 v32, s36, v19
	v_lshrrev_b32_e32 v33, 19, v32
	v_and_or_b32 v33, v33, s30, v0
	v_alignbit_b32 v32, v33, v32, 31
	v_lshlrev_b32_e32 v33, 1, v32
	ds_read_u16 v32, v33
	s_waitcnt lgkmcnt(0)
	v_add_u16_e32 v34, 1, v32
	ds_write_b16 v33, v34
	v_lshlrev_b32_e32 v34, s36, v20
	;; [unrolled: 9-line block ×3, first 2 shown]
	v_lshrrev_b32_e32 v37, 19, v35
	v_and_or_b32 v37, v37, s30, v0
	v_alignbit_b32 v35, v37, v35, 31
	v_lshlrev_b32_e32 v37, 1, v35
	ds_read_u16 v35, v37
	s_waitcnt lgkmcnt(0)
	v_add_u16_e32 v38, 1, v35
	ds_write_b16 v37, v38
	s_waitcnt lgkmcnt(0)
	s_barrier
	ds_read2_b32 v[38:39], v1 offset1:1
	ds_read2_b32 v[40:41], v1 offset0:2 offset1:3
	ds_read2_b32 v[42:43], v1 offset0:4 offset1:5
	;; [unrolled: 1-line block ×3, first 2 shown]
	s_waitcnt lgkmcnt(3)
	v_add_u32_e32 v38, v39, v38
	s_waitcnt lgkmcnt(2)
	v_add3_u32 v38, v38, v40, v41
	s_waitcnt lgkmcnt(1)
	v_add3_u32 v38, v38, v42, v43
	;; [unrolled: 2-line block ×3, first 2 shown]
	s_nop 1
	v_mov_b32_dpp v39, v38 row_shr:1 row_mask:0xf bank_mask:0xf
	v_cndmask_b32_e64 v39, v39, 0, s[8:9]
	v_add_u32_e32 v38, v39, v38
	s_nop 1
	v_mov_b32_dpp v39, v38 row_shr:2 row_mask:0xf bank_mask:0xf
	v_cndmask_b32_e64 v39, 0, v39, s[10:11]
	v_add_u32_e32 v38, v38, v39
	s_nop 1
	v_mov_b32_dpp v39, v38 row_shr:4 row_mask:0xf bank_mask:0xf
	v_cndmask_b32_e64 v39, 0, v39, s[12:13]
	v_add_u32_e32 v38, v38, v39
	s_nop 1
	v_mov_b32_dpp v39, v38 row_shr:8 row_mask:0xf bank_mask:0xf
	v_cndmask_b32_e64 v39, 0, v39, s[14:15]
	v_add_u32_e32 v38, v38, v39
	s_nop 1
	v_mov_b32_dpp v39, v38 row_bcast:15 row_mask:0xf bank_mask:0xf
	v_cndmask_b32_e64 v39, v39, 0, s[16:17]
	v_add_u32_e32 v38, v38, v39
	s_nop 1
	v_mov_b32_dpp v39, v38 row_bcast:31 row_mask:0xf bank_mask:0xf
	v_cndmask_b32_e64 v39, 0, v39, s[2:3]
	v_add_u32_e32 v38, v38, v39
	s_and_saveexec_b64 s[34:35], s[4:5]
	s_cbranch_execz .LBB36_11
; %bb.10:                               ;   in Loop: Header=BB36_4 Depth=2
	ds_write_b32 v5, v38 offset:16384
.LBB36_11:                              ;   in Loop: Header=BB36_4 Depth=2
	s_or_b64 exec, exec, s[34:35]
	s_waitcnt lgkmcnt(0)
	s_barrier
	s_and_saveexec_b64 s[34:35], vcc
	s_cbranch_execz .LBB36_13
; %bb.12:                               ;   in Loop: Header=BB36_4 Depth=2
	ds_read_b32 v39, v4 offset:16384
	s_waitcnt lgkmcnt(0)
	s_nop 0
	v_mov_b32_dpp v40, v39 row_shr:1 row_mask:0xf bank_mask:0xf
	v_cndmask_b32_e64 v40, v40, 0, s[18:19]
	v_add_u32_e32 v39, v40, v39
	s_nop 1
	v_mov_b32_dpp v40, v39 row_shr:2 row_mask:0xf bank_mask:0xf
	v_cndmask_b32_e64 v40, 0, v40, s[20:21]
	v_add_u32_e32 v39, v39, v40
	;; [unrolled: 4-line block ×3, first 2 shown]
	ds_write_b32 v4, v39 offset:16384
.LBB36_13:                              ;   in Loop: Header=BB36_4 Depth=2
	s_or_b64 exec, exec, s[34:35]
	v_mov_b32_e32 v39, 0
	s_waitcnt lgkmcnt(0)
	s_barrier
	s_and_saveexec_b64 s[34:35], s[0:1]
	s_cbranch_execz .LBB36_3
; %bb.14:                               ;   in Loop: Header=BB36_4 Depth=2
	ds_read_b32 v39, v5 offset:16380
	s_branch .LBB36_3
.LBB36_15:                              ;   in Loop: Header=BB36_4 Depth=2
	ds_write_b32 v9, v3
	s_or_b64 exec, exec, s[34:35]
	s_and_saveexec_b64 s[34:35], s[24:25]
	s_cbranch_execz .LBB36_6
.LBB36_16:                              ;   in Loop: Header=BB36_4 Depth=2
	ds_write_b32 v10, v3
	s_or_b64 exec, exec, s[34:35]
	s_and_saveexec_b64 s[34:35], s[24:25]
	s_cbranch_execz .LBB36_7
.LBB36_17:                              ;   in Loop: Header=BB36_4 Depth=2
	ds_write_b32 v11, v3
	s_or_b64 exec, exec, s[34:35]
	s_and_saveexec_b64 s[34:35], s[24:25]
	s_cbranch_execnz .LBB36_8
	s_branch .LBB36_9
.LBB36_18:
	ds_read_u16 v0, v30
	ds_read_u16 v1, v27
	;; [unrolled: 1-line block ×8, first 2 shown]
	s_add_u32 s0, s26, s28
	s_waitcnt lgkmcnt(4)
	v_add_u32_sdwa v4, v4, v22 dst_sel:DWORD dst_unused:UNUSED_PAD src0_sel:DWORD src1_sel:WORD_0
	v_add_u32_sdwa v5, v3, v24 dst_sel:DWORD dst_unused:UNUSED_PAD src0_sel:DWORD src1_sel:WORD_0
	;; [unrolled: 1-line block ×4, first 2 shown]
	s_addc_u32 s1, s27, s29
	v_lshlrev_b32_e32 v0, 2, v2
	s_waitcnt lgkmcnt(0)
	v_add_u32_sdwa v8, v8, v29 dst_sel:DWORD dst_unused:UNUSED_PAD src0_sel:DWORD src1_sel:WORD_0
	v_add_u32_sdwa v9, v9, v32 dst_sel:DWORD dst_unused:UNUSED_PAD src0_sel:DWORD src1_sel:WORD_0
	;; [unrolled: 1-line block ×4, first 2 shown]
	global_store_dwordx4 v0, v[4:7], s[0:1]
	global_store_dwordx4 v0, v[8:11], s[0:1] offset:16
	s_endpgm
	.section	.rodata,"a",@progbits
	.p2align	6, 0x0
	.amdhsa_kernel _Z11rank_kernelIiLj4ELb0EL18RadixRankAlgorithm0ELj512ELj8ELj10EEvPKT_Pi
		.amdhsa_group_segment_fixed_size 16416
		.amdhsa_private_segment_fixed_size 0
		.amdhsa_kernarg_size 16
		.amdhsa_user_sgpr_count 6
		.amdhsa_user_sgpr_private_segment_buffer 1
		.amdhsa_user_sgpr_dispatch_ptr 0
		.amdhsa_user_sgpr_queue_ptr 0
		.amdhsa_user_sgpr_kernarg_segment_ptr 1
		.amdhsa_user_sgpr_dispatch_id 0
		.amdhsa_user_sgpr_flat_scratch_init 0
		.amdhsa_user_sgpr_kernarg_preload_length 0
		.amdhsa_user_sgpr_kernarg_preload_offset 0
		.amdhsa_user_sgpr_private_segment_size 0
		.amdhsa_uses_dynamic_stack 0
		.amdhsa_system_sgpr_private_segment_wavefront_offset 0
		.amdhsa_system_sgpr_workgroup_id_x 1
		.amdhsa_system_sgpr_workgroup_id_y 0
		.amdhsa_system_sgpr_workgroup_id_z 0
		.amdhsa_system_sgpr_workgroup_info 0
		.amdhsa_system_vgpr_workitem_id 0
		.amdhsa_next_free_vgpr 46
		.amdhsa_next_free_sgpr 37
		.amdhsa_accum_offset 48
		.amdhsa_reserve_vcc 1
		.amdhsa_reserve_flat_scratch 0
		.amdhsa_float_round_mode_32 0
		.amdhsa_float_round_mode_16_64 0
		.amdhsa_float_denorm_mode_32 3
		.amdhsa_float_denorm_mode_16_64 3
		.amdhsa_dx10_clamp 1
		.amdhsa_ieee_mode 1
		.amdhsa_fp16_overflow 0
		.amdhsa_tg_split 0
		.amdhsa_exception_fp_ieee_invalid_op 0
		.amdhsa_exception_fp_denorm_src 0
		.amdhsa_exception_fp_ieee_div_zero 0
		.amdhsa_exception_fp_ieee_overflow 0
		.amdhsa_exception_fp_ieee_underflow 0
		.amdhsa_exception_fp_ieee_inexact 0
		.amdhsa_exception_int_div_zero 0
	.end_amdhsa_kernel
	.section	.text._Z11rank_kernelIiLj4ELb0EL18RadixRankAlgorithm0ELj512ELj8ELj10EEvPKT_Pi,"axG",@progbits,_Z11rank_kernelIiLj4ELb0EL18RadixRankAlgorithm0ELj512ELj8ELj10EEvPKT_Pi,comdat
.Lfunc_end36:
	.size	_Z11rank_kernelIiLj4ELb0EL18RadixRankAlgorithm0ELj512ELj8ELj10EEvPKT_Pi, .Lfunc_end36-_Z11rank_kernelIiLj4ELb0EL18RadixRankAlgorithm0ELj512ELj8ELj10EEvPKT_Pi
                                        ; -- End function
	.section	.AMDGPU.csdata,"",@progbits
; Kernel info:
; codeLenInByte = 1708
; NumSgprs: 41
; NumVgprs: 46
; NumAgprs: 0
; TotalNumVgprs: 46
; ScratchSize: 0
; MemoryBound: 0
; FloatMode: 240
; IeeeMode: 1
; LDSByteSize: 16416 bytes/workgroup (compile time only)
; SGPRBlocks: 5
; VGPRBlocks: 5
; NumSGPRsForWavesPerEU: 41
; NumVGPRsForWavesPerEU: 46
; AccumOffset: 48
; Occupancy: 6
; WaveLimiterHint : 0
; COMPUTE_PGM_RSRC2:SCRATCH_EN: 0
; COMPUTE_PGM_RSRC2:USER_SGPR: 6
; COMPUTE_PGM_RSRC2:TRAP_HANDLER: 0
; COMPUTE_PGM_RSRC2:TGID_X_EN: 1
; COMPUTE_PGM_RSRC2:TGID_Y_EN: 0
; COMPUTE_PGM_RSRC2:TGID_Z_EN: 0
; COMPUTE_PGM_RSRC2:TIDIG_COMP_CNT: 0
; COMPUTE_PGM_RSRC3_GFX90A:ACCUM_OFFSET: 11
; COMPUTE_PGM_RSRC3_GFX90A:TG_SPLIT: 0
	.section	.text._Z11rank_kernelIiLj4ELb0EL18RadixRankAlgorithm1ELj512ELj8ELj10EEvPKT_Pi,"axG",@progbits,_Z11rank_kernelIiLj4ELb0EL18RadixRankAlgorithm1ELj512ELj8ELj10EEvPKT_Pi,comdat
	.protected	_Z11rank_kernelIiLj4ELb0EL18RadixRankAlgorithm1ELj512ELj8ELj10EEvPKT_Pi ; -- Begin function _Z11rank_kernelIiLj4ELb0EL18RadixRankAlgorithm1ELj512ELj8ELj10EEvPKT_Pi
	.globl	_Z11rank_kernelIiLj4ELb0EL18RadixRankAlgorithm1ELj512ELj8ELj10EEvPKT_Pi
	.p2align	8
	.type	_Z11rank_kernelIiLj4ELb0EL18RadixRankAlgorithm1ELj512ELj8ELj10EEvPKT_Pi,@function
_Z11rank_kernelIiLj4ELb0EL18RadixRankAlgorithm1ELj512ELj8ELj10EEvPKT_Pi: ; @_Z11rank_kernelIiLj4ELb0EL18RadixRankAlgorithm1ELj512ELj8ELj10EEvPKT_Pi
; %bb.0:
	s_load_dwordx4 s[24:27], s[4:5], 0x0
	s_lshl_b32 s30, s6, 12
	s_mov_b32 s31, 0
	s_lshl_b64 s[28:29], s[30:31], 2
	v_lshlrev_b32_e32 v1, 5, v0
	s_waitcnt lgkmcnt(0)
	s_add_u32 s0, s24, s28
	s_addc_u32 s1, s25, s29
	global_load_dwordx4 v[4:7], v1, s[0:1]
	global_load_dwordx4 v[8:11], v1, s[0:1] offset:16
	v_mbcnt_lo_u32_b32 v12, -1, 0
	v_mbcnt_hi_u32_b32 v21, -1, v12
	v_add_u32_e32 v24, -1, v21
	v_and_b32_e32 v25, 64, v21
	v_cmp_lt_i32_e64 s[18:19], v24, v25
	v_or_b32_e32 v13, 63, v0
	v_lshrrev_b32_e32 v14, 4, v0
	v_lshlrev_b32_e32 v12, 2, v0
	v_and_b32_e32 v22, 15, v21
	v_and_b32_e32 v23, 16, v21
	v_cmp_lt_u32_e64 s[2:3], 31, v21
	v_cmp_eq_u32_e64 s[6:7], 0, v21
	v_and_b32_e32 v26, 7, v21
	v_cndmask_b32_e64 v21, v24, v21, s[18:19]
	v_mov_b32_e32 v3, 0
	s_mov_b64 s[24:25], -1
	v_lshlrev_b32_e32 v2, 3, v0
	v_cmp_gt_u32_e32 vcc, 8, v0
	v_cmp_lt_u32_e64 s[0:1], 63, v0
	v_cmp_eq_u32_e64 s[4:5], v13, v0
	v_and_b32_e32 v13, 28, v14
	v_or_b32_e32 v14, 0x800, v12
	v_or_b32_e32 v15, 0x1000, v12
	v_or_b32_e32 v16, 0x1800, v12
	v_or_b32_e32 v17, 0x2000, v12
	v_or_b32_e32 v18, 0x2800, v12
	v_or_b32_e32 v19, 0x3000, v12
	v_or_b32_e32 v20, 0x3800, v12
	v_cmp_eq_u32_e64 s[8:9], 0, v22
	v_cmp_lt_u32_e64 s[10:11], 1, v22
	v_cmp_lt_u32_e64 s[12:13], 3, v22
	;; [unrolled: 1-line block ×3, first 2 shown]
	v_cmp_eq_u32_e64 s[16:17], 0, v23
	v_cmp_eq_u32_e64 s[18:19], 0, v26
	v_cmp_lt_u32_e64 s[20:21], 1, v26
	v_cmp_lt_u32_e64 s[22:23], 3, v26
	v_lshlrev_b32_e32 v21, 2, v21
	s_movk_i32 s30, 0xe00
	s_waitcnt vmcnt(1)
	v_xor_b32_e32 v22, 0x80000000, v4
	v_xor_b32_e32 v23, 0x80000000, v5
	;; [unrolled: 1-line block ×4, first 2 shown]
	s_waitcnt vmcnt(0)
	v_xor_b32_e32 v26, 0x80000000, v8
	v_xor_b32_e32 v27, 0x80000000, v9
	;; [unrolled: 1-line block ×4, first 2 shown]
	s_branch .LBB37_2
.LBB37_1:                               ;   in Loop: Header=BB37_2 Depth=1
	s_add_i32 s31, s31, 1
	s_cmp_eq_u32 s31, 10
	s_cbranch_scc1 .LBB37_18
.LBB37_2:                               ; =>This Loop Header: Depth=1
                                        ;     Child Loop BB37_4 Depth 2
	s_mov_b32 s33, -4
	s_mov_b32 s36, 28
	s_branch .LBB37_4
.LBB37_3:                               ;   in Loop: Header=BB37_4 Depth=2
	s_or_b64 exec, exec, s[34:35]
	s_waitcnt lgkmcnt(0)
	v_add_u32_e32 v5, v46, v5
	ds_bpermute_b32 v5, v21, v5
	ds_read_b32 v47, v3 offset:16412
	s_add_i32 s36, s36, -4
	s_add_i32 s33, s33, 4
	s_cmp_lt_u32 s33, 28
	s_waitcnt lgkmcnt(1)
	v_cndmask_b32_e64 v5, v5, v46, s[6:7]
	s_waitcnt lgkmcnt(0)
	v_lshl_add_u32 v5, v47, 16, v5
	v_add_u32_e32 v10, v5, v10
	v_add_u32_e32 v11, v10, v11
	ds_write2_b32 v1, v5, v10 offset1:1
	v_add_u32_e32 v5, v11, v8
	v_add_u32_e32 v8, v5, v9
	ds_write2_b32 v1, v11, v5 offset0:2 offset1:3
	v_add_u32_e32 v5, v8, v6
	v_add_u32_e32 v6, v5, v7
	;; [unrolled: 1-line block ×3, first 2 shown]
	ds_write2_b32 v1, v8, v5 offset0:4 offset1:5
	ds_write2_b32 v1, v6, v4 offset0:6 offset1:7
	s_waitcnt lgkmcnt(0)
	s_barrier
	s_cbranch_scc0 .LBB37_1
.LBB37_4:                               ;   Parent Loop BB37_2 Depth=1
                                        ; =>  This Inner Loop Header: Depth=2
	ds_write_b32 v12, v3
	ds_write_b32 v14, v3
	;; [unrolled: 1-line block ×4, first 2 shown]
	s_and_saveexec_b64 s[34:35], s[24:25]
	s_cbranch_execnz .LBB37_15
; %bb.5:                                ;   in Loop: Header=BB37_4 Depth=2
	s_or_b64 exec, exec, s[34:35]
	s_and_saveexec_b64 s[34:35], s[24:25]
	s_cbranch_execnz .LBB37_16
.LBB37_6:                               ;   in Loop: Header=BB37_4 Depth=2
	s_or_b64 exec, exec, s[34:35]
	s_and_saveexec_b64 s[34:35], s[24:25]
	s_cbranch_execnz .LBB37_17
.LBB37_7:                               ;   in Loop: Header=BB37_4 Depth=2
	s_or_b64 exec, exec, s[34:35]
	s_and_saveexec_b64 s[34:35], s[24:25]
	s_cbranch_execz .LBB37_9
.LBB37_8:                               ;   in Loop: Header=BB37_4 Depth=2
	ds_write_b32 v20, v3
.LBB37_9:                               ;   in Loop: Header=BB37_4 Depth=2
	s_or_b64 exec, exec, s[34:35]
	v_lshlrev_b32_e32 v4, s36, v22
	v_lshrrev_b32_e32 v5, 19, v4
	v_and_or_b32 v5, v5, s30, v0
	v_alignbit_b32 v4, v5, v4, 31
	v_lshlrev_b32_e32 v31, 1, v4
	ds_read_u16 v30, v31
	v_lshlrev_b32_e32 v4, s36, v23
	v_lshrrev_b32_e32 v5, 19, v4
	v_and_or_b32 v5, v5, s30, v0
	v_alignbit_b32 v4, v5, v4, 31
	s_waitcnt lgkmcnt(0)
	v_add_u16_e32 v5, 1, v30
	ds_write_b16 v31, v5
	v_lshlrev_b32_e32 v33, 1, v4
	ds_read_u16 v32, v33
	v_lshlrev_b32_e32 v4, s36, v24
	v_lshrrev_b32_e32 v5, 19, v4
	v_and_or_b32 v5, v5, s30, v0
	v_alignbit_b32 v4, v5, v4, 31
	s_waitcnt lgkmcnt(0)
	v_add_u16_e32 v6, 1, v32
	ds_write_b16 v33, v6
	;; [unrolled: 9-line block ×3, first 2 shown]
	v_lshlrev_b32_e32 v38, 1, v4
	ds_read_u16 v36, v38
	v_lshlrev_b32_e32 v4, s36, v26
	s_waitcnt lgkmcnt(0)
	v_add_u16_e32 v5, 1, v36
	ds_write_b16 v38, v5
	v_lshrrev_b32_e32 v5, 19, v4
	v_and_or_b32 v5, v5, s30, v0
	v_alignbit_b32 v4, v5, v4, 31
	v_lshlrev_b32_e32 v39, 1, v4
	ds_read_u16 v37, v39
	s_waitcnt lgkmcnt(0)
	v_add_u16_e32 v4, 1, v37
	ds_write_b16 v39, v4
	v_lshlrev_b32_e32 v4, s36, v27
	v_lshrrev_b32_e32 v5, 19, v4
	v_and_or_b32 v5, v5, s30, v0
	v_alignbit_b32 v4, v5, v4, 31
	v_lshlrev_b32_e32 v41, 1, v4
	ds_read_u16 v40, v41
	s_waitcnt lgkmcnt(0)
	v_add_u16_e32 v4, 1, v40
	ds_write_b16 v41, v4
	v_lshlrev_b32_e32 v4, s36, v28
	;; [unrolled: 9-line block ×3, first 2 shown]
	v_lshrrev_b32_e32 v5, 19, v4
	v_and_or_b32 v5, v5, s30, v0
	v_alignbit_b32 v4, v5, v4, 31
	v_lshlrev_b32_e32 v45, 1, v4
	ds_read_u16 v43, v45
	s_waitcnt lgkmcnt(0)
	v_add_u16_e32 v4, 1, v43
	ds_write_b16 v45, v4
	s_waitcnt lgkmcnt(0)
	s_barrier
	ds_read2_b32 v[10:11], v1 offset1:1
	ds_read2_b32 v[8:9], v1 offset0:2 offset1:3
	ds_read2_b32 v[6:7], v1 offset0:4 offset1:5
	;; [unrolled: 1-line block ×3, first 2 shown]
	s_waitcnt lgkmcnt(3)
	v_add_u32_e32 v46, v11, v10
	s_waitcnt lgkmcnt(2)
	v_add3_u32 v46, v46, v8, v9
	s_waitcnt lgkmcnt(1)
	v_add3_u32 v46, v46, v6, v7
	;; [unrolled: 2-line block ×3, first 2 shown]
	s_nop 1
	v_mov_b32_dpp v46, v5 row_shr:1 row_mask:0xf bank_mask:0xf
	v_cndmask_b32_e64 v46, v46, 0, s[8:9]
	v_add_u32_e32 v5, v46, v5
	s_nop 1
	v_mov_b32_dpp v46, v5 row_shr:2 row_mask:0xf bank_mask:0xf
	v_cndmask_b32_e64 v46, 0, v46, s[10:11]
	v_add_u32_e32 v5, v5, v46
	;; [unrolled: 4-line block ×4, first 2 shown]
	s_nop 1
	v_mov_b32_dpp v46, v5 row_bcast:15 row_mask:0xf bank_mask:0xf
	v_cndmask_b32_e64 v46, v46, 0, s[16:17]
	v_add_u32_e32 v5, v5, v46
	s_nop 1
	v_mov_b32_dpp v46, v5 row_bcast:31 row_mask:0xf bank_mask:0xf
	v_cndmask_b32_e64 v46, 0, v46, s[2:3]
	v_add_u32_e32 v5, v5, v46
	s_and_saveexec_b64 s[34:35], s[4:5]
	s_cbranch_execz .LBB37_11
; %bb.10:                               ;   in Loop: Header=BB37_4 Depth=2
	ds_write_b32 v13, v5 offset:16384
.LBB37_11:                              ;   in Loop: Header=BB37_4 Depth=2
	s_or_b64 exec, exec, s[34:35]
	s_waitcnt lgkmcnt(0)
	s_barrier
	s_and_saveexec_b64 s[34:35], vcc
	s_cbranch_execz .LBB37_13
; %bb.12:                               ;   in Loop: Header=BB37_4 Depth=2
	ds_read_b32 v46, v12 offset:16384
	s_waitcnt lgkmcnt(0)
	s_nop 0
	v_mov_b32_dpp v47, v46 row_shr:1 row_mask:0xf bank_mask:0xf
	v_cndmask_b32_e64 v47, v47, 0, s[18:19]
	v_add_u32_e32 v46, v47, v46
	s_nop 1
	v_mov_b32_dpp v47, v46 row_shr:2 row_mask:0xf bank_mask:0xf
	v_cndmask_b32_e64 v47, 0, v47, s[20:21]
	v_add_u32_e32 v46, v46, v47
	;; [unrolled: 4-line block ×3, first 2 shown]
	ds_write_b32 v12, v46 offset:16384
.LBB37_13:                              ;   in Loop: Header=BB37_4 Depth=2
	s_or_b64 exec, exec, s[34:35]
	v_mov_b32_e32 v46, 0
	s_waitcnt lgkmcnt(0)
	s_barrier
	s_and_saveexec_b64 s[34:35], s[0:1]
	s_cbranch_execz .LBB37_3
; %bb.14:                               ;   in Loop: Header=BB37_4 Depth=2
	ds_read_b32 v46, v13 offset:16380
	s_branch .LBB37_3
.LBB37_15:                              ;   in Loop: Header=BB37_4 Depth=2
	ds_write_b32 v17, v3
	s_or_b64 exec, exec, s[34:35]
	s_and_saveexec_b64 s[34:35], s[24:25]
	s_cbranch_execz .LBB37_6
.LBB37_16:                              ;   in Loop: Header=BB37_4 Depth=2
	ds_write_b32 v18, v3
	s_or_b64 exec, exec, s[34:35]
	s_and_saveexec_b64 s[34:35], s[24:25]
	s_cbranch_execz .LBB37_7
.LBB37_17:                              ;   in Loop: Header=BB37_4 Depth=2
	ds_write_b32 v19, v3
	s_or_b64 exec, exec, s[34:35]
	s_and_saveexec_b64 s[34:35], s[24:25]
	s_cbranch_execnz .LBB37_8
	s_branch .LBB37_9
.LBB37_18:
	ds_read_u16 v0, v38
	ds_read_u16 v1, v35
	;; [unrolled: 1-line block ×8, first 2 shown]
	s_add_u32 s0, s26, s28
	s_waitcnt lgkmcnt(4)
	v_add_u32_sdwa v4, v4, v30 dst_sel:DWORD dst_unused:UNUSED_PAD src0_sel:DWORD src1_sel:WORD_0
	v_add_u32_sdwa v5, v3, v32 dst_sel:DWORD dst_unused:UNUSED_PAD src0_sel:DWORD src1_sel:WORD_0
	;; [unrolled: 1-line block ×4, first 2 shown]
	s_addc_u32 s1, s27, s29
	v_lshlrev_b32_e32 v0, 2, v2
	s_waitcnt lgkmcnt(0)
	v_add_u32_sdwa v8, v8, v37 dst_sel:DWORD dst_unused:UNUSED_PAD src0_sel:DWORD src1_sel:WORD_0
	v_add_u32_sdwa v9, v9, v40 dst_sel:DWORD dst_unused:UNUSED_PAD src0_sel:DWORD src1_sel:WORD_0
	;; [unrolled: 1-line block ×4, first 2 shown]
	global_store_dwordx4 v0, v[4:7], s[0:1]
	global_store_dwordx4 v0, v[8:11], s[0:1] offset:16
	s_endpgm
	.section	.rodata,"a",@progbits
	.p2align	6, 0x0
	.amdhsa_kernel _Z11rank_kernelIiLj4ELb0EL18RadixRankAlgorithm1ELj512ELj8ELj10EEvPKT_Pi
		.amdhsa_group_segment_fixed_size 16416
		.amdhsa_private_segment_fixed_size 0
		.amdhsa_kernarg_size 16
		.amdhsa_user_sgpr_count 6
		.amdhsa_user_sgpr_private_segment_buffer 1
		.amdhsa_user_sgpr_dispatch_ptr 0
		.amdhsa_user_sgpr_queue_ptr 0
		.amdhsa_user_sgpr_kernarg_segment_ptr 1
		.amdhsa_user_sgpr_dispatch_id 0
		.amdhsa_user_sgpr_flat_scratch_init 0
		.amdhsa_user_sgpr_kernarg_preload_length 0
		.amdhsa_user_sgpr_kernarg_preload_offset 0
		.amdhsa_user_sgpr_private_segment_size 0
		.amdhsa_uses_dynamic_stack 0
		.amdhsa_system_sgpr_private_segment_wavefront_offset 0
		.amdhsa_system_sgpr_workgroup_id_x 1
		.amdhsa_system_sgpr_workgroup_id_y 0
		.amdhsa_system_sgpr_workgroup_id_z 0
		.amdhsa_system_sgpr_workgroup_info 0
		.amdhsa_system_vgpr_workitem_id 0
		.amdhsa_next_free_vgpr 48
		.amdhsa_next_free_sgpr 37
		.amdhsa_accum_offset 48
		.amdhsa_reserve_vcc 1
		.amdhsa_reserve_flat_scratch 0
		.amdhsa_float_round_mode_32 0
		.amdhsa_float_round_mode_16_64 0
		.amdhsa_float_denorm_mode_32 3
		.amdhsa_float_denorm_mode_16_64 3
		.amdhsa_dx10_clamp 1
		.amdhsa_ieee_mode 1
		.amdhsa_fp16_overflow 0
		.amdhsa_tg_split 0
		.amdhsa_exception_fp_ieee_invalid_op 0
		.amdhsa_exception_fp_denorm_src 0
		.amdhsa_exception_fp_ieee_div_zero 0
		.amdhsa_exception_fp_ieee_overflow 0
		.amdhsa_exception_fp_ieee_underflow 0
		.amdhsa_exception_fp_ieee_inexact 0
		.amdhsa_exception_int_div_zero 0
	.end_amdhsa_kernel
	.section	.text._Z11rank_kernelIiLj4ELb0EL18RadixRankAlgorithm1ELj512ELj8ELj10EEvPKT_Pi,"axG",@progbits,_Z11rank_kernelIiLj4ELb0EL18RadixRankAlgorithm1ELj512ELj8ELj10EEvPKT_Pi,comdat
.Lfunc_end37:
	.size	_Z11rank_kernelIiLj4ELb0EL18RadixRankAlgorithm1ELj512ELj8ELj10EEvPKT_Pi, .Lfunc_end37-_Z11rank_kernelIiLj4ELb0EL18RadixRankAlgorithm1ELj512ELj8ELj10EEvPKT_Pi
                                        ; -- End function
	.section	.AMDGPU.csdata,"",@progbits
; Kernel info:
; codeLenInByte = 1660
; NumSgprs: 41
; NumVgprs: 48
; NumAgprs: 0
; TotalNumVgprs: 48
; ScratchSize: 0
; MemoryBound: 0
; FloatMode: 240
; IeeeMode: 1
; LDSByteSize: 16416 bytes/workgroup (compile time only)
; SGPRBlocks: 5
; VGPRBlocks: 5
; NumSGPRsForWavesPerEU: 41
; NumVGPRsForWavesPerEU: 48
; AccumOffset: 48
; Occupancy: 6
; WaveLimiterHint : 0
; COMPUTE_PGM_RSRC2:SCRATCH_EN: 0
; COMPUTE_PGM_RSRC2:USER_SGPR: 6
; COMPUTE_PGM_RSRC2:TRAP_HANDLER: 0
; COMPUTE_PGM_RSRC2:TGID_X_EN: 1
; COMPUTE_PGM_RSRC2:TGID_Y_EN: 0
; COMPUTE_PGM_RSRC2:TGID_Z_EN: 0
; COMPUTE_PGM_RSRC2:TIDIG_COMP_CNT: 0
; COMPUTE_PGM_RSRC3_GFX90A:ACCUM_OFFSET: 11
; COMPUTE_PGM_RSRC3_GFX90A:TG_SPLIT: 0
	.section	.text._Z11rank_kernelIiLj4ELb0EL18RadixRankAlgorithm2ELj512ELj8ELj10EEvPKT_Pi,"axG",@progbits,_Z11rank_kernelIiLj4ELb0EL18RadixRankAlgorithm2ELj512ELj8ELj10EEvPKT_Pi,comdat
	.protected	_Z11rank_kernelIiLj4ELb0EL18RadixRankAlgorithm2ELj512ELj8ELj10EEvPKT_Pi ; -- Begin function _Z11rank_kernelIiLj4ELb0EL18RadixRankAlgorithm2ELj512ELj8ELj10EEvPKT_Pi
	.globl	_Z11rank_kernelIiLj4ELb0EL18RadixRankAlgorithm2ELj512ELj8ELj10EEvPKT_Pi
	.p2align	8
	.type	_Z11rank_kernelIiLj4ELb0EL18RadixRankAlgorithm2ELj512ELj8ELj10EEvPKT_Pi,@function
_Z11rank_kernelIiLj4ELb0EL18RadixRankAlgorithm2ELj512ELj8ELj10EEvPKT_Pi: ; @_Z11rank_kernelIiLj4ELb0EL18RadixRankAlgorithm2ELj512ELj8ELj10EEvPKT_Pi
; %bb.0:
	s_load_dwordx4 s[28:31], s[4:5], 0x0
	s_load_dword s24, s[4:5], 0x1c
	s_lshl_b32 s36, s6, 12
	s_mov_b32 s37, 0
	s_lshl_b64 s[34:35], s[36:37], 2
	s_waitcnt lgkmcnt(0)
	s_add_u32 s0, s28, s34
	v_and_b32_e32 v4, 0x3ff, v0
	s_addc_u32 s1, s29, s35
	v_lshlrev_b32_e32 v1, 5, v4
	global_load_dwordx4 v[10:13], v1, s[0:1]
	global_load_dwordx4 v[14:17], v1, s[0:1] offset:16
	v_mbcnt_lo_u32_b32 v1, -1, 0
	v_mbcnt_hi_u32_b32 v6, -1, v1
	v_bfe_u32 v3, v0, 10, 10
	v_bfe_u32 v5, v0, 20, 10
	v_add_u32_e32 v18, -1, v6
	v_and_b32_e32 v19, 64, v6
	s_lshr_b32 s25, s24, 16
	v_and_b32_e32 v7, 15, v6
	v_or_b32_e32 v9, 63, v4
	v_lshrrev_b32_e32 v20, 4, v4
	v_cmp_lt_i32_e64 s[18:19], v18, v19
	s_and_b32 s24, s24, 0xffff
	v_mad_u32_u24 v3, v5, s25, v3
	v_lshlrev_b32_e32 v0, 3, v4
	v_lshlrev_b32_e32 v1, 2, v4
	v_and_b32_e32 v8, 16, v6
	v_cmp_lt_u32_e32 vcc, 31, v6
	v_cmp_gt_u32_e64 s[0:1], 8, v4
	v_cmp_lt_u32_e64 s[2:3], 63, v4
	v_cmp_eq_u32_e64 s[4:5], 0, v6
	v_and_b32_e32 v21, 7, v6
	v_cmp_eq_u32_e64 s[6:7], 0, v7
	v_cmp_lt_u32_e64 s[8:9], 1, v7
	v_cmp_lt_u32_e64 s[10:11], 3, v7
	;; [unrolled: 1-line block ×3, first 2 shown]
	v_cmp_eq_u32_e64 s[16:17], v9, v4
	v_cndmask_b32_e64 v7, v18, v6, s[18:19]
	v_and_b32_e32 v6, 28, v20
	v_mad_u64_u32 v[4:5], s[24:25], v3, s24, v[4:5]
	v_mov_b32_e32 v2, 0
	v_cmp_eq_u32_e64 s[14:15], 0, v8
	v_cmp_eq_u32_e64 s[18:19], 0, v21
	v_cmp_lt_u32_e64 s[20:21], 1, v21
	v_cmp_lt_u32_e64 s[22:23], 3, v21
	v_lshlrev_b32_e32 v7, 2, v7
	v_lshrrev_b32_e32 v8, 6, v4
	s_waitcnt vmcnt(1)
	v_xor_b32_e32 v9, 0x80000000, v10
	v_xor_b32_e32 v10, 0x80000000, v11
	;; [unrolled: 1-line block ×4, first 2 shown]
	s_waitcnt vmcnt(0)
	v_xor_b32_e32 v13, 0x80000000, v14
	v_xor_b32_e32 v14, 0x80000000, v15
	;; [unrolled: 1-line block ×4, first 2 shown]
	v_add_u32_e32 v17, -4, v6
	s_branch .LBB38_2
.LBB38_1:                               ;   in Loop: Header=BB38_2 Depth=1
	s_add_i32 s37, s37, 1
	s_cmp_eq_u32 s37, 10
	s_cbranch_scc1 .LBB38_26
.LBB38_2:                               ; =>This Loop Header: Depth=1
                                        ;     Child Loop BB38_4 Depth 2
	s_mov_b32 s28, -4
	s_mov_b32 s29, 28
	s_branch .LBB38_4
.LBB38_3:                               ;   in Loop: Header=BB38_4 Depth=2
	s_or_b64 exec, exec, s[24:25]
	s_waitcnt lgkmcnt(0)
	v_add_u32_e32 v4, v5, v4
	ds_bpermute_b32 v4, v7, v4
	s_add_i32 s29, s29, -4
	s_add_i32 s28, s28, 4
	s_cmp_lt_u32 s28, 28
	s_waitcnt lgkmcnt(0)
	v_cndmask_b32_e64 v4, v4, v5, s[4:5]
	ds_write_b32 v1, v4 offset:32
	s_waitcnt lgkmcnt(0)
	s_barrier
	s_cbranch_scc0 .LBB38_1
.LBB38_4:                               ;   Parent Loop BB38_2 Depth=1
                                        ; =>  This Inner Loop Header: Depth=2
	v_lshlrev_b32_e32 v4, s29, v9
	v_lshrrev_b32_e32 v5, 28, v4
	v_mad_u32_u24 v3, v5, 9, v8
	v_lshl_add_u32 v18, v3, 2, 32
	v_bfe_u32 v3, v4, 28, 1
	v_add_co_u32_e64 v19, s[24:25], -1, v3
	v_addc_co_u32_e64 v20, s[24:25], 0, -1, s[24:25]
	v_cmp_ne_u32_e64 s[24:25], 0, v3
	v_xor_b32_e32 v3, s25, v20
	v_and_b32_e32 v20, exec_hi, v3
	v_lshlrev_b32_e32 v3, 30, v5
	v_xor_b32_e32 v19, s24, v19
	v_cmp_gt_i64_e64 s[24:25], 0, v[2:3]
	v_not_b32_e32 v3, v3
	v_ashrrev_i32_e32 v3, 31, v3
	v_and_b32_e32 v19, exec_lo, v19
	v_xor_b32_e32 v21, s25, v3
	v_xor_b32_e32 v3, s24, v3
	v_and_b32_e32 v19, v19, v3
	v_lshlrev_b32_e32 v3, 29, v5
	v_cmp_gt_i64_e64 s[24:25], 0, v[2:3]
	v_not_b32_e32 v3, v3
	v_ashrrev_i32_e32 v3, 31, v3
	v_xor_b32_e32 v5, s25, v3
	v_xor_b32_e32 v3, s24, v3
	v_and_b32_e32 v19, v19, v3
	v_and_b32_e32 v3, 0xf0000000, v4
	v_cmp_gt_i64_e64 s[24:25], 0, v[2:3]
	v_not_b32_e32 v3, v3
	v_and_b32_e32 v20, v20, v21
	v_ashrrev_i32_e32 v3, 31, v3
	v_and_b32_e32 v5, v20, v5
	v_xor_b32_e32 v4, s25, v3
	v_xor_b32_e32 v3, s24, v3
	v_and_b32_e32 v5, v5, v4
	v_and_b32_e32 v4, v19, v3
	v_mbcnt_lo_u32_b32 v3, v4, 0
	v_mbcnt_hi_u32_b32 v19, v5, v3
	v_cmp_eq_u32_e64 s[24:25], 0, v19
	v_cmp_ne_u64_e64 s[26:27], 0, v[4:5]
	s_and_b64 s[26:27], s[26:27], s[24:25]
	ds_write_b32 v1, v2 offset:32
	s_waitcnt lgkmcnt(0)
	s_barrier
	s_waitcnt lgkmcnt(0)
	; wave barrier
	s_and_saveexec_b64 s[24:25], s[26:27]
	s_cbranch_execz .LBB38_6
; %bb.5:                                ;   in Loop: Header=BB38_4 Depth=2
	v_bcnt_u32_b32 v3, v4, 0
	v_bcnt_u32_b32 v3, v5, v3
	ds_write_b32 v18, v3
.LBB38_6:                               ;   in Loop: Header=BB38_4 Depth=2
	s_or_b64 exec, exec, s[24:25]
	v_lshlrev_b32_e32 v4, s29, v10
	v_lshrrev_b32_e32 v5, 28, v4
	v_mul_u32_u24_e32 v3, 9, v5
	v_add_lshl_u32 v3, v8, v3, 2
	; wave barrier
	v_add_u32_e32 v21, 32, v3
	ds_read_b32 v20, v3 offset:32
	v_bfe_u32 v3, v4, 28, 1
	v_add_co_u32_e64 v22, s[24:25], -1, v3
	v_addc_co_u32_e64 v23, s[24:25], 0, -1, s[24:25]
	v_cmp_ne_u32_e64 s[24:25], 0, v3
	v_xor_b32_e32 v3, s25, v23
	v_and_b32_e32 v23, exec_hi, v3
	v_lshlrev_b32_e32 v3, 30, v5
	v_xor_b32_e32 v22, s24, v22
	v_cmp_gt_i64_e64 s[24:25], 0, v[2:3]
	v_not_b32_e32 v3, v3
	v_ashrrev_i32_e32 v3, 31, v3
	v_and_b32_e32 v22, exec_lo, v22
	v_xor_b32_e32 v24, s25, v3
	v_xor_b32_e32 v3, s24, v3
	v_and_b32_e32 v22, v22, v3
	v_lshlrev_b32_e32 v3, 29, v5
	v_cmp_gt_i64_e64 s[24:25], 0, v[2:3]
	v_not_b32_e32 v3, v3
	v_ashrrev_i32_e32 v3, 31, v3
	v_xor_b32_e32 v5, s25, v3
	v_xor_b32_e32 v3, s24, v3
	v_and_b32_e32 v22, v22, v3
	v_and_b32_e32 v3, 0xf0000000, v4
	v_cmp_gt_i64_e64 s[24:25], 0, v[2:3]
	v_not_b32_e32 v3, v3
	v_and_b32_e32 v23, v23, v24
	v_ashrrev_i32_e32 v3, 31, v3
	v_and_b32_e32 v5, v23, v5
	v_xor_b32_e32 v4, s25, v3
	v_xor_b32_e32 v3, s24, v3
	v_and_b32_e32 v5, v5, v4
	v_and_b32_e32 v4, v22, v3
	v_mbcnt_lo_u32_b32 v3, v4, 0
	v_mbcnt_hi_u32_b32 v22, v5, v3
	v_cmp_eq_u32_e64 s[24:25], 0, v22
	v_cmp_ne_u64_e64 s[26:27], 0, v[4:5]
	s_and_b64 s[26:27], s[26:27], s[24:25]
	; wave barrier
	s_and_saveexec_b64 s[24:25], s[26:27]
	s_cbranch_execz .LBB38_8
; %bb.7:                                ;   in Loop: Header=BB38_4 Depth=2
	v_bcnt_u32_b32 v3, v4, 0
	v_bcnt_u32_b32 v3, v5, v3
	s_waitcnt lgkmcnt(0)
	v_add_u32_e32 v3, v20, v3
	ds_write_b32 v21, v3
.LBB38_8:                               ;   in Loop: Header=BB38_4 Depth=2
	s_or_b64 exec, exec, s[24:25]
	v_lshlrev_b32_e32 v4, s29, v11
	v_lshrrev_b32_e32 v5, 28, v4
	v_mul_u32_u24_e32 v3, 9, v5
	v_add_lshl_u32 v3, v8, v3, 2
	; wave barrier
	v_add_u32_e32 v24, 32, v3
	ds_read_b32 v23, v3 offset:32
	v_bfe_u32 v3, v4, 28, 1
	v_add_co_u32_e64 v25, s[24:25], -1, v3
	v_addc_co_u32_e64 v26, s[24:25], 0, -1, s[24:25]
	v_cmp_ne_u32_e64 s[24:25], 0, v3
	v_xor_b32_e32 v3, s25, v26
	v_and_b32_e32 v26, exec_hi, v3
	v_lshlrev_b32_e32 v3, 30, v5
	v_xor_b32_e32 v25, s24, v25
	v_cmp_gt_i64_e64 s[24:25], 0, v[2:3]
	v_not_b32_e32 v3, v3
	v_ashrrev_i32_e32 v3, 31, v3
	v_and_b32_e32 v25, exec_lo, v25
	v_xor_b32_e32 v27, s25, v3
	v_xor_b32_e32 v3, s24, v3
	v_and_b32_e32 v25, v25, v3
	v_lshlrev_b32_e32 v3, 29, v5
	v_cmp_gt_i64_e64 s[24:25], 0, v[2:3]
	v_not_b32_e32 v3, v3
	v_ashrrev_i32_e32 v3, 31, v3
	v_xor_b32_e32 v5, s25, v3
	v_xor_b32_e32 v3, s24, v3
	v_and_b32_e32 v25, v25, v3
	v_and_b32_e32 v3, 0xf0000000, v4
	v_cmp_gt_i64_e64 s[24:25], 0, v[2:3]
	v_not_b32_e32 v3, v3
	v_and_b32_e32 v26, v26, v27
	v_ashrrev_i32_e32 v3, 31, v3
	v_and_b32_e32 v5, v26, v5
	v_xor_b32_e32 v4, s25, v3
	v_xor_b32_e32 v3, s24, v3
	v_and_b32_e32 v5, v5, v4
	v_and_b32_e32 v4, v25, v3
	v_mbcnt_lo_u32_b32 v3, v4, 0
	v_mbcnt_hi_u32_b32 v25, v5, v3
	v_cmp_eq_u32_e64 s[24:25], 0, v25
	v_cmp_ne_u64_e64 s[26:27], 0, v[4:5]
	s_and_b64 s[26:27], s[26:27], s[24:25]
	; wave barrier
	s_and_saveexec_b64 s[24:25], s[26:27]
	s_cbranch_execz .LBB38_10
; %bb.9:                                ;   in Loop: Header=BB38_4 Depth=2
	v_bcnt_u32_b32 v3, v4, 0
	v_bcnt_u32_b32 v3, v5, v3
	s_waitcnt lgkmcnt(0)
	v_add_u32_e32 v3, v23, v3
	ds_write_b32 v24, v3
.LBB38_10:                              ;   in Loop: Header=BB38_4 Depth=2
	s_or_b64 exec, exec, s[24:25]
	v_lshlrev_b32_e32 v4, s29, v12
	v_lshrrev_b32_e32 v5, 28, v4
	v_mul_u32_u24_e32 v3, 9, v5
	v_add_lshl_u32 v3, v8, v3, 2
	; wave barrier
	v_add_u32_e32 v27, 32, v3
	ds_read_b32 v26, v3 offset:32
	v_bfe_u32 v3, v4, 28, 1
	v_add_co_u32_e64 v28, s[24:25], -1, v3
	v_addc_co_u32_e64 v29, s[24:25], 0, -1, s[24:25]
	v_cmp_ne_u32_e64 s[24:25], 0, v3
	v_xor_b32_e32 v3, s25, v29
	v_and_b32_e32 v29, exec_hi, v3
	v_lshlrev_b32_e32 v3, 30, v5
	v_xor_b32_e32 v28, s24, v28
	v_cmp_gt_i64_e64 s[24:25], 0, v[2:3]
	v_not_b32_e32 v3, v3
	v_ashrrev_i32_e32 v3, 31, v3
	v_and_b32_e32 v28, exec_lo, v28
	v_xor_b32_e32 v30, s25, v3
	v_xor_b32_e32 v3, s24, v3
	v_and_b32_e32 v28, v28, v3
	v_lshlrev_b32_e32 v3, 29, v5
	v_cmp_gt_i64_e64 s[24:25], 0, v[2:3]
	v_not_b32_e32 v3, v3
	v_ashrrev_i32_e32 v3, 31, v3
	v_xor_b32_e32 v5, s25, v3
	v_xor_b32_e32 v3, s24, v3
	v_and_b32_e32 v28, v28, v3
	v_and_b32_e32 v3, 0xf0000000, v4
	v_cmp_gt_i64_e64 s[24:25], 0, v[2:3]
	v_not_b32_e32 v3, v3
	v_and_b32_e32 v29, v29, v30
	v_ashrrev_i32_e32 v3, 31, v3
	v_and_b32_e32 v5, v29, v5
	v_xor_b32_e32 v4, s25, v3
	v_xor_b32_e32 v3, s24, v3
	v_and_b32_e32 v5, v5, v4
	v_and_b32_e32 v4, v28, v3
	v_mbcnt_lo_u32_b32 v3, v4, 0
	v_mbcnt_hi_u32_b32 v28, v5, v3
	v_cmp_eq_u32_e64 s[24:25], 0, v28
	v_cmp_ne_u64_e64 s[26:27], 0, v[4:5]
	s_and_b64 s[26:27], s[26:27], s[24:25]
	; wave barrier
	s_and_saveexec_b64 s[24:25], s[26:27]
	s_cbranch_execz .LBB38_12
; %bb.11:                               ;   in Loop: Header=BB38_4 Depth=2
	v_bcnt_u32_b32 v3, v4, 0
	v_bcnt_u32_b32 v3, v5, v3
	s_waitcnt lgkmcnt(0)
	v_add_u32_e32 v3, v26, v3
	ds_write_b32 v27, v3
.LBB38_12:                              ;   in Loop: Header=BB38_4 Depth=2
	s_or_b64 exec, exec, s[24:25]
	v_lshlrev_b32_e32 v4, s29, v13
	v_lshrrev_b32_e32 v5, 28, v4
	v_mul_u32_u24_e32 v3, 9, v5
	v_add_lshl_u32 v3, v8, v3, 2
	; wave barrier
	v_add_u32_e32 v30, 32, v3
	ds_read_b32 v29, v3 offset:32
	v_bfe_u32 v3, v4, 28, 1
	v_add_co_u32_e64 v31, s[24:25], -1, v3
	v_addc_co_u32_e64 v32, s[24:25], 0, -1, s[24:25]
	v_cmp_ne_u32_e64 s[24:25], 0, v3
	v_xor_b32_e32 v3, s25, v32
	v_and_b32_e32 v32, exec_hi, v3
	v_lshlrev_b32_e32 v3, 30, v5
	v_xor_b32_e32 v31, s24, v31
	v_cmp_gt_i64_e64 s[24:25], 0, v[2:3]
	v_not_b32_e32 v3, v3
	v_ashrrev_i32_e32 v3, 31, v3
	v_and_b32_e32 v31, exec_lo, v31
	v_xor_b32_e32 v33, s25, v3
	v_xor_b32_e32 v3, s24, v3
	v_and_b32_e32 v31, v31, v3
	v_lshlrev_b32_e32 v3, 29, v5
	v_cmp_gt_i64_e64 s[24:25], 0, v[2:3]
	v_not_b32_e32 v3, v3
	v_ashrrev_i32_e32 v3, 31, v3
	v_xor_b32_e32 v5, s25, v3
	v_xor_b32_e32 v3, s24, v3
	v_and_b32_e32 v31, v31, v3
	v_and_b32_e32 v3, 0xf0000000, v4
	v_cmp_gt_i64_e64 s[24:25], 0, v[2:3]
	v_not_b32_e32 v3, v3
	v_and_b32_e32 v32, v32, v33
	v_ashrrev_i32_e32 v3, 31, v3
	v_and_b32_e32 v5, v32, v5
	v_xor_b32_e32 v4, s25, v3
	v_xor_b32_e32 v3, s24, v3
	v_and_b32_e32 v5, v5, v4
	v_and_b32_e32 v4, v31, v3
	v_mbcnt_lo_u32_b32 v3, v4, 0
	v_mbcnt_hi_u32_b32 v31, v5, v3
	v_cmp_eq_u32_e64 s[24:25], 0, v31
	v_cmp_ne_u64_e64 s[26:27], 0, v[4:5]
	s_and_b64 s[26:27], s[26:27], s[24:25]
	; wave barrier
	s_and_saveexec_b64 s[24:25], s[26:27]
	s_cbranch_execz .LBB38_14
; %bb.13:                               ;   in Loop: Header=BB38_4 Depth=2
	v_bcnt_u32_b32 v3, v4, 0
	v_bcnt_u32_b32 v3, v5, v3
	s_waitcnt lgkmcnt(0)
	v_add_u32_e32 v3, v29, v3
	ds_write_b32 v30, v3
.LBB38_14:                              ;   in Loop: Header=BB38_4 Depth=2
	;; [unrolled: 55-line block ×5, first 2 shown]
	s_or_b64 exec, exec, s[24:25]
	; wave barrier
	s_waitcnt lgkmcnt(0)
	s_barrier
	ds_read_b32 v4, v1 offset:32
	s_waitcnt lgkmcnt(0)
	s_nop 0
	v_mov_b32_dpp v5, v4 row_shr:1 row_mask:0xf bank_mask:0xf
	v_cndmask_b32_e64 v5, v5, 0, s[6:7]
	v_add_u32_e32 v4, v5, v4
	s_nop 1
	v_mov_b32_dpp v5, v4 row_shr:2 row_mask:0xf bank_mask:0xf
	v_cndmask_b32_e64 v5, 0, v5, s[8:9]
	v_add_u32_e32 v4, v4, v5
	s_nop 1
	v_mov_b32_dpp v5, v4 row_shr:4 row_mask:0xf bank_mask:0xf
	v_cndmask_b32_e64 v5, 0, v5, s[10:11]
	v_add_u32_e32 v4, v4, v5
	s_nop 1
	v_mov_b32_dpp v5, v4 row_shr:8 row_mask:0xf bank_mask:0xf
	v_cndmask_b32_e64 v5, 0, v5, s[12:13]
	v_add_u32_e32 v4, v4, v5
	s_nop 1
	v_mov_b32_dpp v5, v4 row_bcast:15 row_mask:0xf bank_mask:0xf
	v_cndmask_b32_e64 v5, v5, 0, s[14:15]
	v_add_u32_e32 v4, v4, v5
	s_nop 1
	v_mov_b32_dpp v5, v4 row_bcast:31 row_mask:0xf bank_mask:0xf
	v_cndmask_b32_e32 v5, 0, v5, vcc
	v_add_u32_e32 v4, v4, v5
	s_and_saveexec_b64 s[24:25], s[16:17]
	s_xor_b64 s[24:25], exec, s[24:25]
	s_cbranch_execz .LBB38_22
; %bb.21:                               ;   in Loop: Header=BB38_4 Depth=2
	ds_write_b32 v6, v4
.LBB38_22:                              ;   in Loop: Header=BB38_4 Depth=2
	s_or_b64 exec, exec, s[24:25]
	s_waitcnt lgkmcnt(0)
	s_barrier
	s_and_saveexec_b64 s[24:25], s[0:1]
	s_cbranch_execz .LBB38_24
; %bb.23:                               ;   in Loop: Header=BB38_4 Depth=2
	ds_read_b32 v5, v1
	s_waitcnt lgkmcnt(0)
	s_nop 0
	v_mov_b32_dpp v40, v5 row_shr:1 row_mask:0xf bank_mask:0xf
	v_cndmask_b32_e64 v40, v40, 0, s[18:19]
	v_add_u32_e32 v5, v40, v5
	s_nop 1
	v_mov_b32_dpp v40, v5 row_shr:2 row_mask:0xf bank_mask:0xf
	v_cndmask_b32_e64 v40, 0, v40, s[20:21]
	v_add_u32_e32 v5, v5, v40
	s_nop 1
	v_mov_b32_dpp v40, v5 row_shr:4 row_mask:0xf bank_mask:0xf
	v_cndmask_b32_e64 v40, 0, v40, s[22:23]
	v_add_u32_e32 v5, v5, v40
	ds_write_b32 v1, v5
.LBB38_24:                              ;   in Loop: Header=BB38_4 Depth=2
	s_or_b64 exec, exec, s[24:25]
	v_mov_b32_e32 v5, 0
	s_waitcnt lgkmcnt(0)
	s_barrier
	s_and_saveexec_b64 s[24:25], s[2:3]
	s_cbranch_execz .LBB38_3
; %bb.25:                               ;   in Loop: Header=BB38_4 Depth=2
	ds_read_b32 v5, v17
	s_branch .LBB38_3
.LBB38_26:
	ds_read_b32 v2, v39
	ds_read_b32 v8, v36
	;; [unrolled: 1-line block ×8, first 2 shown]
	s_add_u32 s0, s30, s34
	s_addc_u32 s1, s31, s35
	v_lshlrev_b32_e32 v11, 2, v0
	s_waitcnt lgkmcnt(1)
	v_add3_u32 v5, v22, v20, v4
	s_waitcnt lgkmcnt(0)
	v_add_u32_e32 v4, v7, v19
	v_add3_u32 v7, v28, v26, v6
	v_add3_u32 v6, v25, v23, v10
	;; [unrolled: 1-line block ×6, first 2 shown]
	global_store_dwordx4 v11, v[4:7], s[0:1]
	global_store_dwordx4 v11, v[0:3], s[0:1] offset:16
	s_endpgm
	.section	.rodata,"a",@progbits
	.p2align	6, 0x0
	.amdhsa_kernel _Z11rank_kernelIiLj4ELb0EL18RadixRankAlgorithm2ELj512ELj8ELj10EEvPKT_Pi
		.amdhsa_group_segment_fixed_size 2080
		.amdhsa_private_segment_fixed_size 0
		.amdhsa_kernarg_size 272
		.amdhsa_user_sgpr_count 6
		.amdhsa_user_sgpr_private_segment_buffer 1
		.amdhsa_user_sgpr_dispatch_ptr 0
		.amdhsa_user_sgpr_queue_ptr 0
		.amdhsa_user_sgpr_kernarg_segment_ptr 1
		.amdhsa_user_sgpr_dispatch_id 0
		.amdhsa_user_sgpr_flat_scratch_init 0
		.amdhsa_user_sgpr_kernarg_preload_length 0
		.amdhsa_user_sgpr_kernarg_preload_offset 0
		.amdhsa_user_sgpr_private_segment_size 0
		.amdhsa_uses_dynamic_stack 0
		.amdhsa_system_sgpr_private_segment_wavefront_offset 0
		.amdhsa_system_sgpr_workgroup_id_x 1
		.amdhsa_system_sgpr_workgroup_id_y 0
		.amdhsa_system_sgpr_workgroup_id_z 0
		.amdhsa_system_sgpr_workgroup_info 0
		.amdhsa_system_vgpr_workitem_id 2
		.amdhsa_next_free_vgpr 43
		.amdhsa_next_free_sgpr 38
		.amdhsa_accum_offset 44
		.amdhsa_reserve_vcc 1
		.amdhsa_reserve_flat_scratch 0
		.amdhsa_float_round_mode_32 0
		.amdhsa_float_round_mode_16_64 0
		.amdhsa_float_denorm_mode_32 3
		.amdhsa_float_denorm_mode_16_64 3
		.amdhsa_dx10_clamp 1
		.amdhsa_ieee_mode 1
		.amdhsa_fp16_overflow 0
		.amdhsa_tg_split 0
		.amdhsa_exception_fp_ieee_invalid_op 0
		.amdhsa_exception_fp_denorm_src 0
		.amdhsa_exception_fp_ieee_div_zero 0
		.amdhsa_exception_fp_ieee_overflow 0
		.amdhsa_exception_fp_ieee_underflow 0
		.amdhsa_exception_fp_ieee_inexact 0
		.amdhsa_exception_int_div_zero 0
	.end_amdhsa_kernel
	.section	.text._Z11rank_kernelIiLj4ELb0EL18RadixRankAlgorithm2ELj512ELj8ELj10EEvPKT_Pi,"axG",@progbits,_Z11rank_kernelIiLj4ELb0EL18RadixRankAlgorithm2ELj512ELj8ELj10EEvPKT_Pi,comdat
.Lfunc_end38:
	.size	_Z11rank_kernelIiLj4ELb0EL18RadixRankAlgorithm2ELj512ELj8ELj10EEvPKT_Pi, .Lfunc_end38-_Z11rank_kernelIiLj4ELb0EL18RadixRankAlgorithm2ELj512ELj8ELj10EEvPKT_Pi
                                        ; -- End function
	.section	.AMDGPU.csdata,"",@progbits
; Kernel info:
; codeLenInByte = 3136
; NumSgprs: 42
; NumVgprs: 43
; NumAgprs: 0
; TotalNumVgprs: 43
; ScratchSize: 0
; MemoryBound: 0
; FloatMode: 240
; IeeeMode: 1
; LDSByteSize: 2080 bytes/workgroup (compile time only)
; SGPRBlocks: 5
; VGPRBlocks: 5
; NumSGPRsForWavesPerEU: 42
; NumVGPRsForWavesPerEU: 43
; AccumOffset: 44
; Occupancy: 8
; WaveLimiterHint : 0
; COMPUTE_PGM_RSRC2:SCRATCH_EN: 0
; COMPUTE_PGM_RSRC2:USER_SGPR: 6
; COMPUTE_PGM_RSRC2:TRAP_HANDLER: 0
; COMPUTE_PGM_RSRC2:TGID_X_EN: 1
; COMPUTE_PGM_RSRC2:TGID_Y_EN: 0
; COMPUTE_PGM_RSRC2:TGID_Z_EN: 0
; COMPUTE_PGM_RSRC2:TIDIG_COMP_CNT: 2
; COMPUTE_PGM_RSRC3_GFX90A:ACCUM_OFFSET: 10
; COMPUTE_PGM_RSRC3_GFX90A:TG_SPLIT: 0
	.section	.text._Z11rank_kernelIiLj4ELb0EL18RadixRankAlgorithm0ELj512ELj16ELj10EEvPKT_Pi,"axG",@progbits,_Z11rank_kernelIiLj4ELb0EL18RadixRankAlgorithm0ELj512ELj16ELj10EEvPKT_Pi,comdat
	.protected	_Z11rank_kernelIiLj4ELb0EL18RadixRankAlgorithm0ELj512ELj16ELj10EEvPKT_Pi ; -- Begin function _Z11rank_kernelIiLj4ELb0EL18RadixRankAlgorithm0ELj512ELj16ELj10EEvPKT_Pi
	.globl	_Z11rank_kernelIiLj4ELb0EL18RadixRankAlgorithm0ELj512ELj16ELj10EEvPKT_Pi
	.p2align	8
	.type	_Z11rank_kernelIiLj4ELb0EL18RadixRankAlgorithm0ELj512ELj16ELj10EEvPKT_Pi,@function
_Z11rank_kernelIiLj4ELb0EL18RadixRankAlgorithm0ELj512ELj16ELj10EEvPKT_Pi: ; @_Z11rank_kernelIiLj4ELb0EL18RadixRankAlgorithm0ELj512ELj16ELj10EEvPKT_Pi
; %bb.0:
	s_load_dwordx4 s[24:27], s[4:5], 0x0
	s_lshl_b32 s30, s6, 13
	s_mov_b32 s31, 0
	s_lshl_b64 s[28:29], s[30:31], 2
	v_lshlrev_b32_e32 v1, 6, v0
	s_waitcnt lgkmcnt(0)
	s_add_u32 s0, s24, s28
	s_addc_u32 s1, s25, s29
	global_load_dwordx4 v[14:17], v1, s[0:1]
	global_load_dwordx4 v[18:21], v1, s[0:1] offset:16
	global_load_dwordx4 v[22:25], v1, s[0:1] offset:32
	;; [unrolled: 1-line block ×3, first 2 shown]
	v_mbcnt_lo_u32_b32 v4, -1, 0
	v_mbcnt_hi_u32_b32 v13, -1, v4
	v_add_u32_e32 v32, -1, v13
	v_and_b32_e32 v33, 64, v13
	v_cmp_lt_i32_e64 s[18:19], v32, v33
	v_or_b32_e32 v5, 63, v0
	v_lshrrev_b32_e32 v6, 4, v0
	v_lshlrev_b32_e32 v4, 2, v0
	v_and_b32_e32 v30, 15, v13
	v_and_b32_e32 v31, 16, v13
	v_cmp_lt_u32_e64 s[2:3], 31, v13
	v_cmp_eq_u32_e64 s[6:7], 0, v13
	v_and_b32_e32 v34, 7, v13
	v_cndmask_b32_e64 v13, v32, v13, s[18:19]
	v_mov_b32_e32 v1, 0
	s_mov_b64 s[24:25], -1
	v_lshlrev_b32_e32 v2, 4, v0
	v_lshlrev_b32_e32 v3, 5, v0
	v_cmp_gt_u32_e32 vcc, 8, v0
	v_cmp_lt_u32_e64 s[0:1], 63, v0
	v_cmp_eq_u32_e64 s[4:5], v5, v0
	v_and_b32_e32 v5, 28, v6
	v_or_b32_e32 v6, 0x800, v4
	v_or_b32_e32 v7, 0x1000, v4
	;; [unrolled: 1-line block ×7, first 2 shown]
	v_cmp_eq_u32_e64 s[8:9], 0, v30
	v_cmp_lt_u32_e64 s[10:11], 1, v30
	v_cmp_lt_u32_e64 s[12:13], 3, v30
	;; [unrolled: 1-line block ×3, first 2 shown]
	v_cmp_eq_u32_e64 s[16:17], 0, v31
	v_cmp_eq_u32_e64 s[18:19], 0, v34
	v_cmp_lt_u32_e64 s[20:21], 1, v34
	v_cmp_lt_u32_e64 s[22:23], 3, v34
	v_lshlrev_b32_e32 v13, 2, v13
	s_movk_i32 s30, 0xe00
	s_waitcnt vmcnt(3)
	v_xor_b32_e32 v14, 0x80000000, v14
	v_xor_b32_e32 v15, 0x80000000, v15
	v_xor_b32_e32 v16, 0x80000000, v16
	v_xor_b32_e32 v17, 0x80000000, v17
	s_waitcnt vmcnt(2)
	v_xor_b32_e32 v18, 0x80000000, v18
	v_xor_b32_e32 v19, 0x80000000, v19
	v_xor_b32_e32 v20, 0x80000000, v20
	v_xor_b32_e32 v21, 0x80000000, v21
	s_waitcnt vmcnt(1)
	v_xor_b32_e32 v22, 0x80000000, v22
	v_xor_b32_e32 v23, 0x80000000, v23
	v_xor_b32_e32 v24, 0x80000000, v24
	v_xor_b32_e32 v25, 0x80000000, v25
	s_waitcnt vmcnt(0)
	v_xor_b32_e32 v26, 0x80000000, v26
	v_xor_b32_e32 v27, 0x80000000, v27
	v_xor_b32_e32 v28, 0x80000000, v28
	v_xor_b32_e32 v29, 0x80000000, v29
	s_branch .LBB39_2
.LBB39_1:                               ;   in Loop: Header=BB39_2 Depth=1
	s_add_i32 s31, s31, 1
	s_cmp_eq_u32 s31, 10
	s_cbranch_scc1 .LBB39_18
.LBB39_2:                               ; =>This Loop Header: Depth=1
                                        ;     Child Loop BB39_4 Depth 2
	s_mov_b32 s33, -4
	s_mov_b32 s36, 28
	s_branch .LBB39_4
.LBB39_3:                               ;   in Loop: Header=BB39_4 Depth=2
	s_or_b64 exec, exec, s[34:35]
	s_waitcnt lgkmcnt(0)
	v_add_u32_e32 v62, v63, v62
	ds_bpermute_b32 v62, v13, v62
	ds_read_b32 v64, v1 offset:16412
	s_add_i32 s36, s36, -4
	s_add_i32 s33, s33, 4
	s_cmp_lt_u32 s33, 28
	s_waitcnt lgkmcnt(1)
	v_cndmask_b32_e64 v65, v62, v63, s[6:7]
	ds_read2_b32 v[62:63], v3 offset1:1
	s_waitcnt lgkmcnt(1)
	v_lshl_add_u32 v68, v64, 16, v65
	ds_read2_b32 v[64:65], v3 offset0:2 offset1:3
	ds_read2_b32 v[66:67], v3 offset0:4 offset1:5
	ds_read_b32 v69, v3 offset:24
	s_waitcnt lgkmcnt(3)
	v_add_u32_e32 v62, v68, v62
	ds_write2_b32 v3, v68, v62 offset1:1
	v_add_u32_e32 v62, v63, v62
	s_waitcnt lgkmcnt(3)
	v_add_u32_e32 v63, v64, v62
	ds_write2_b32 v3, v62, v63 offset0:2 offset1:3
	v_add_u32_e32 v62, v65, v63
	s_waitcnt lgkmcnt(3)
	v_add_u32_e32 v63, v66, v62
	ds_write2_b32 v3, v62, v63 offset0:4 offset1:5
	;; [unrolled: 4-line block ×3, first 2 shown]
	s_waitcnt lgkmcnt(0)
	s_barrier
	s_cbranch_scc0 .LBB39_1
.LBB39_4:                               ;   Parent Loop BB39_2 Depth=1
                                        ; =>  This Inner Loop Header: Depth=2
	ds_write_b32 v4, v1
	ds_write_b32 v6, v1
	;; [unrolled: 1-line block ×4, first 2 shown]
	s_and_saveexec_b64 s[34:35], s[24:25]
	s_cbranch_execnz .LBB39_15
; %bb.5:                                ;   in Loop: Header=BB39_4 Depth=2
	s_or_b64 exec, exec, s[34:35]
	s_and_saveexec_b64 s[34:35], s[24:25]
	s_cbranch_execnz .LBB39_16
.LBB39_6:                               ;   in Loop: Header=BB39_4 Depth=2
	s_or_b64 exec, exec, s[34:35]
	s_and_saveexec_b64 s[34:35], s[24:25]
	s_cbranch_execnz .LBB39_17
.LBB39_7:                               ;   in Loop: Header=BB39_4 Depth=2
	s_or_b64 exec, exec, s[34:35]
	s_and_saveexec_b64 s[34:35], s[24:25]
	s_cbranch_execz .LBB39_9
.LBB39_8:                               ;   in Loop: Header=BB39_4 Depth=2
	ds_write_b32 v12, v1
.LBB39_9:                               ;   in Loop: Header=BB39_4 Depth=2
	s_or_b64 exec, exec, s[34:35]
	v_lshlrev_b32_e32 v30, s36, v14
	v_lshrrev_b32_e32 v31, 19, v30
	v_and_or_b32 v31, v31, s30, v0
	v_alignbit_b32 v30, v31, v30, 31
	v_lshlrev_b32_e32 v32, 1, v30
	ds_read_u16 v30, v32
	v_lshlrev_b32_e32 v31, s36, v15
	v_lshrrev_b32_e32 v33, 19, v31
	v_and_or_b32 v33, v33, s30, v0
	v_alignbit_b32 v31, v33, v31, 31
	s_waitcnt lgkmcnt(0)
	v_add_u16_e32 v33, 1, v30
	ds_write_b16 v32, v33
	v_lshlrev_b32_e32 v34, 1, v31
	ds_read_u16 v31, v34
	v_lshlrev_b32_e32 v33, s36, v16
	v_lshrrev_b32_e32 v35, 19, v33
	v_and_or_b32 v35, v35, s30, v0
	v_alignbit_b32 v33, v35, v33, 31
	s_waitcnt lgkmcnt(0)
	v_add_u16_e32 v36, 1, v31
	ds_write_b16 v34, v36
	;; [unrolled: 9-line block ×3, first 2 shown]
	v_lshlrev_b32_e32 v38, 1, v35
	ds_read_u16 v35, v38
	v_lshlrev_b32_e32 v37, s36, v18
	s_waitcnt lgkmcnt(0)
	v_add_u16_e32 v39, 1, v35
	ds_write_b16 v38, v39
	v_lshrrev_b32_e32 v39, 19, v37
	v_and_or_b32 v39, v39, s30, v0
	v_alignbit_b32 v37, v39, v37, 31
	v_lshlrev_b32_e32 v40, 1, v37
	ds_read_u16 v37, v40
	s_waitcnt lgkmcnt(0)
	v_add_u16_e32 v39, 1, v37
	ds_write_b16 v40, v39
	v_lshlrev_b32_e32 v39, s36, v19
	v_lshrrev_b32_e32 v41, 19, v39
	v_and_or_b32 v41, v41, s30, v0
	v_alignbit_b32 v39, v41, v39, 31
	v_lshlrev_b32_e32 v42, 1, v39
	ds_read_u16 v39, v42
	s_waitcnt lgkmcnt(0)
	v_add_u16_e32 v41, 1, v39
	ds_write_b16 v42, v41
	v_lshlrev_b32_e32 v41, s36, v20
	;; [unrolled: 9-line block ×11, first 2 shown]
	v_lshrrev_b32_e32 v61, 19, v59
	v_and_or_b32 v61, v61, s30, v0
	v_alignbit_b32 v59, v61, v59, 31
	v_lshlrev_b32_e32 v61, 1, v59
	ds_read_u16 v59, v61
	s_waitcnt lgkmcnt(0)
	v_add_u16_e32 v62, 1, v59
	ds_write_b16 v61, v62
	s_waitcnt lgkmcnt(0)
	s_barrier
	ds_read2_b32 v[62:63], v3 offset1:1
	ds_read2_b32 v[64:65], v3 offset0:2 offset1:3
	ds_read2_b32 v[66:67], v3 offset0:4 offset1:5
	;; [unrolled: 1-line block ×3, first 2 shown]
	s_waitcnt lgkmcnt(3)
	v_add_u32_e32 v62, v63, v62
	s_waitcnt lgkmcnt(2)
	v_add3_u32 v62, v62, v64, v65
	s_waitcnt lgkmcnt(1)
	v_add3_u32 v62, v62, v66, v67
	;; [unrolled: 2-line block ×3, first 2 shown]
	s_nop 1
	v_mov_b32_dpp v63, v62 row_shr:1 row_mask:0xf bank_mask:0xf
	v_cndmask_b32_e64 v63, v63, 0, s[8:9]
	v_add_u32_e32 v62, v63, v62
	s_nop 1
	v_mov_b32_dpp v63, v62 row_shr:2 row_mask:0xf bank_mask:0xf
	v_cndmask_b32_e64 v63, 0, v63, s[10:11]
	v_add_u32_e32 v62, v62, v63
	;; [unrolled: 4-line block ×4, first 2 shown]
	s_nop 1
	v_mov_b32_dpp v63, v62 row_bcast:15 row_mask:0xf bank_mask:0xf
	v_cndmask_b32_e64 v63, v63, 0, s[16:17]
	v_add_u32_e32 v62, v62, v63
	s_nop 1
	v_mov_b32_dpp v63, v62 row_bcast:31 row_mask:0xf bank_mask:0xf
	v_cndmask_b32_e64 v63, 0, v63, s[2:3]
	v_add_u32_e32 v62, v62, v63
	s_and_saveexec_b64 s[34:35], s[4:5]
	s_cbranch_execz .LBB39_11
; %bb.10:                               ;   in Loop: Header=BB39_4 Depth=2
	ds_write_b32 v5, v62 offset:16384
.LBB39_11:                              ;   in Loop: Header=BB39_4 Depth=2
	s_or_b64 exec, exec, s[34:35]
	s_waitcnt lgkmcnt(0)
	s_barrier
	s_and_saveexec_b64 s[34:35], vcc
	s_cbranch_execz .LBB39_13
; %bb.12:                               ;   in Loop: Header=BB39_4 Depth=2
	ds_read_b32 v63, v4 offset:16384
	s_waitcnt lgkmcnt(0)
	s_nop 0
	v_mov_b32_dpp v64, v63 row_shr:1 row_mask:0xf bank_mask:0xf
	v_cndmask_b32_e64 v64, v64, 0, s[18:19]
	v_add_u32_e32 v63, v64, v63
	s_nop 1
	v_mov_b32_dpp v64, v63 row_shr:2 row_mask:0xf bank_mask:0xf
	v_cndmask_b32_e64 v64, 0, v64, s[20:21]
	v_add_u32_e32 v63, v63, v64
	;; [unrolled: 4-line block ×3, first 2 shown]
	ds_write_b32 v4, v63 offset:16384
.LBB39_13:                              ;   in Loop: Header=BB39_4 Depth=2
	s_or_b64 exec, exec, s[34:35]
	v_mov_b32_e32 v63, 0
	s_waitcnt lgkmcnt(0)
	s_barrier
	s_and_saveexec_b64 s[34:35], s[0:1]
	s_cbranch_execz .LBB39_3
; %bb.14:                               ;   in Loop: Header=BB39_4 Depth=2
	ds_read_b32 v63, v5 offset:16380
	s_branch .LBB39_3
.LBB39_15:                              ;   in Loop: Header=BB39_4 Depth=2
	ds_write_b32 v9, v1
	s_or_b64 exec, exec, s[34:35]
	s_and_saveexec_b64 s[34:35], s[24:25]
	s_cbranch_execz .LBB39_6
.LBB39_16:                              ;   in Loop: Header=BB39_4 Depth=2
	ds_write_b32 v10, v1
	s_or_b64 exec, exec, s[34:35]
	s_and_saveexec_b64 s[34:35], s[24:25]
	s_cbranch_execz .LBB39_7
.LBB39_17:                              ;   in Loop: Header=BB39_4 Depth=2
	ds_write_b32 v11, v1
	s_or_b64 exec, exec, s[34:35]
	s_and_saveexec_b64 s[34:35], s[24:25]
	s_cbranch_execnz .LBB39_8
	s_branch .LBB39_9
.LBB39_18:
	ds_read_u16 v0, v61
	ds_read_u16 v1, v60
	;; [unrolled: 1-line block ×16, first 2 shown]
	s_add_u32 s0, s26, s28
	s_waitcnt lgkmcnt(14)
	v_add_u32_sdwa v7, v0, v59 dst_sel:DWORD dst_unused:UNUSED_PAD src0_sel:DWORD src1_sel:WORD_0
	s_waitcnt lgkmcnt(11)
	v_add_u32_sdwa v11, v8, v51 dst_sel:DWORD dst_unused:UNUSED_PAD src0_sel:DWORD src1_sel:WORD_0
	;; [unrolled: 2-line block ×13, first 2 shown]
	s_addc_u32 s1, s27, s29
	v_lshlrev_b32_e32 v0, 2, v2
	v_add_u32_sdwa v6, v1, v57 dst_sel:DWORD dst_unused:UNUSED_PAD src0_sel:DWORD src1_sel:WORD_0
	v_add_u32_sdwa v5, v3, v55 dst_sel:DWORD dst_unused:UNUSED_PAD src0_sel:DWORD src1_sel:WORD_0
	v_add_u32_sdwa v4, v4, v53 dst_sel:DWORD dst_unused:UNUSED_PAD src0_sel:DWORD src1_sel:WORD_0
	global_store_dwordx4 v0, v[16:19], s[0:1]
	global_store_dwordx4 v0, v[12:15], s[0:1] offset:16
	global_store_dwordx4 v0, v[8:11], s[0:1] offset:32
	;; [unrolled: 1-line block ×3, first 2 shown]
	s_endpgm
	.section	.rodata,"a",@progbits
	.p2align	6, 0x0
	.amdhsa_kernel _Z11rank_kernelIiLj4ELb0EL18RadixRankAlgorithm0ELj512ELj16ELj10EEvPKT_Pi
		.amdhsa_group_segment_fixed_size 16416
		.amdhsa_private_segment_fixed_size 0
		.amdhsa_kernarg_size 16
		.amdhsa_user_sgpr_count 6
		.amdhsa_user_sgpr_private_segment_buffer 1
		.amdhsa_user_sgpr_dispatch_ptr 0
		.amdhsa_user_sgpr_queue_ptr 0
		.amdhsa_user_sgpr_kernarg_segment_ptr 1
		.amdhsa_user_sgpr_dispatch_id 0
		.amdhsa_user_sgpr_flat_scratch_init 0
		.amdhsa_user_sgpr_kernarg_preload_length 0
		.amdhsa_user_sgpr_kernarg_preload_offset 0
		.amdhsa_user_sgpr_private_segment_size 0
		.amdhsa_uses_dynamic_stack 0
		.amdhsa_system_sgpr_private_segment_wavefront_offset 0
		.amdhsa_system_sgpr_workgroup_id_x 1
		.amdhsa_system_sgpr_workgroup_id_y 0
		.amdhsa_system_sgpr_workgroup_id_z 0
		.amdhsa_system_sgpr_workgroup_info 0
		.amdhsa_system_vgpr_workitem_id 0
		.amdhsa_next_free_vgpr 70
		.amdhsa_next_free_sgpr 37
		.amdhsa_accum_offset 72
		.amdhsa_reserve_vcc 1
		.amdhsa_reserve_flat_scratch 0
		.amdhsa_float_round_mode_32 0
		.amdhsa_float_round_mode_16_64 0
		.amdhsa_float_denorm_mode_32 3
		.amdhsa_float_denorm_mode_16_64 3
		.amdhsa_dx10_clamp 1
		.amdhsa_ieee_mode 1
		.amdhsa_fp16_overflow 0
		.amdhsa_tg_split 0
		.amdhsa_exception_fp_ieee_invalid_op 0
		.amdhsa_exception_fp_denorm_src 0
		.amdhsa_exception_fp_ieee_div_zero 0
		.amdhsa_exception_fp_ieee_overflow 0
		.amdhsa_exception_fp_ieee_underflow 0
		.amdhsa_exception_fp_ieee_inexact 0
		.amdhsa_exception_int_div_zero 0
	.end_amdhsa_kernel
	.section	.text._Z11rank_kernelIiLj4ELb0EL18RadixRankAlgorithm0ELj512ELj16ELj10EEvPKT_Pi,"axG",@progbits,_Z11rank_kernelIiLj4ELb0EL18RadixRankAlgorithm0ELj512ELj16ELj10EEvPKT_Pi,comdat
.Lfunc_end39:
	.size	_Z11rank_kernelIiLj4ELb0EL18RadixRankAlgorithm0ELj512ELj16ELj10EEvPKT_Pi, .Lfunc_end39-_Z11rank_kernelIiLj4ELb0EL18RadixRankAlgorithm0ELj512ELj16ELj10EEvPKT_Pi
                                        ; -- End function
	.section	.AMDGPU.csdata,"",@progbits
; Kernel info:
; codeLenInByte = 2404
; NumSgprs: 41
; NumVgprs: 70
; NumAgprs: 0
; TotalNumVgprs: 70
; ScratchSize: 0
; MemoryBound: 0
; FloatMode: 240
; IeeeMode: 1
; LDSByteSize: 16416 bytes/workgroup (compile time only)
; SGPRBlocks: 5
; VGPRBlocks: 8
; NumSGPRsForWavesPerEU: 41
; NumVGPRsForWavesPerEU: 70
; AccumOffset: 72
; Occupancy: 6
; WaveLimiterHint : 0
; COMPUTE_PGM_RSRC2:SCRATCH_EN: 0
; COMPUTE_PGM_RSRC2:USER_SGPR: 6
; COMPUTE_PGM_RSRC2:TRAP_HANDLER: 0
; COMPUTE_PGM_RSRC2:TGID_X_EN: 1
; COMPUTE_PGM_RSRC2:TGID_Y_EN: 0
; COMPUTE_PGM_RSRC2:TGID_Z_EN: 0
; COMPUTE_PGM_RSRC2:TIDIG_COMP_CNT: 0
; COMPUTE_PGM_RSRC3_GFX90A:ACCUM_OFFSET: 17
; COMPUTE_PGM_RSRC3_GFX90A:TG_SPLIT: 0
	.section	.text._Z11rank_kernelIiLj4ELb0EL18RadixRankAlgorithm1ELj512ELj16ELj10EEvPKT_Pi,"axG",@progbits,_Z11rank_kernelIiLj4ELb0EL18RadixRankAlgorithm1ELj512ELj16ELj10EEvPKT_Pi,comdat
	.protected	_Z11rank_kernelIiLj4ELb0EL18RadixRankAlgorithm1ELj512ELj16ELj10EEvPKT_Pi ; -- Begin function _Z11rank_kernelIiLj4ELb0EL18RadixRankAlgorithm1ELj512ELj16ELj10EEvPKT_Pi
	.globl	_Z11rank_kernelIiLj4ELb0EL18RadixRankAlgorithm1ELj512ELj16ELj10EEvPKT_Pi
	.p2align	8
	.type	_Z11rank_kernelIiLj4ELb0EL18RadixRankAlgorithm1ELj512ELj16ELj10EEvPKT_Pi,@function
_Z11rank_kernelIiLj4ELb0EL18RadixRankAlgorithm1ELj512ELj16ELj10EEvPKT_Pi: ; @_Z11rank_kernelIiLj4ELb0EL18RadixRankAlgorithm1ELj512ELj16ELj10EEvPKT_Pi
; %bb.0:
	s_load_dwordx4 s[24:27], s[4:5], 0x0
	s_lshl_b32 s30, s6, 13
	s_mov_b32 s31, 0
	s_lshl_b64 s[28:29], s[30:31], 2
	v_lshlrev_b32_e32 v1, 6, v0
	s_waitcnt lgkmcnt(0)
	s_add_u32 s0, s24, s28
	s_addc_u32 s1, s25, s29
	global_load_dwordx4 v[4:7], v1, s[0:1]
	global_load_dwordx4 v[8:11], v1, s[0:1] offset:16
	global_load_dwordx4 v[30:33], v1, s[0:1] offset:32
	global_load_dwordx4 v[34:37], v1, s[0:1] offset:48
	v_mbcnt_lo_u32_b32 v12, -1, 0
	v_mbcnt_hi_u32_b32 v21, -1, v12
	v_add_u32_e32 v24, -1, v21
	v_and_b32_e32 v25, 64, v21
	v_cmp_lt_i32_e64 s[18:19], v24, v25
	v_or_b32_e32 v13, 63, v0
	v_lshrrev_b32_e32 v14, 4, v0
	v_lshlrev_b32_e32 v12, 2, v0
	v_and_b32_e32 v22, 15, v21
	v_and_b32_e32 v23, 16, v21
	v_cmp_lt_u32_e64 s[2:3], 31, v21
	v_cmp_eq_u32_e64 s[6:7], 0, v21
	v_and_b32_e32 v26, 7, v21
	v_cndmask_b32_e64 v21, v24, v21, s[18:19]
	v_mov_b32_e32 v1, 0
	s_mov_b64 s[24:25], -1
	v_lshlrev_b32_e32 v2, 4, v0
	v_lshlrev_b32_e32 v3, 5, v0
	v_cmp_gt_u32_e32 vcc, 8, v0
	v_cmp_lt_u32_e64 s[0:1], 63, v0
	v_cmp_eq_u32_e64 s[4:5], v13, v0
	v_and_b32_e32 v13, 28, v14
	v_or_b32_e32 v14, 0x800, v12
	v_or_b32_e32 v15, 0x1000, v12
	;; [unrolled: 1-line block ×7, first 2 shown]
	v_cmp_eq_u32_e64 s[8:9], 0, v22
	v_cmp_lt_u32_e64 s[10:11], 1, v22
	v_cmp_lt_u32_e64 s[12:13], 3, v22
	;; [unrolled: 1-line block ×3, first 2 shown]
	v_cmp_eq_u32_e64 s[16:17], 0, v23
	v_cmp_eq_u32_e64 s[18:19], 0, v26
	v_cmp_lt_u32_e64 s[20:21], 1, v26
	v_cmp_lt_u32_e64 s[22:23], 3, v26
	v_lshlrev_b32_e32 v21, 2, v21
	s_movk_i32 s30, 0xe00
	s_waitcnt vmcnt(3)
	v_xor_b32_e32 v22, 0x80000000, v4
	v_xor_b32_e32 v23, 0x80000000, v5
	v_xor_b32_e32 v24, 0x80000000, v6
	v_xor_b32_e32 v25, 0x80000000, v7
	s_waitcnt vmcnt(2)
	v_xor_b32_e32 v26, 0x80000000, v8
	v_xor_b32_e32 v27, 0x80000000, v9
	v_xor_b32_e32 v28, 0x80000000, v10
	v_xor_b32_e32 v29, 0x80000000, v11
	;; [unrolled: 5-line block ×4, first 2 shown]
	s_branch .LBB40_2
.LBB40_1:                               ;   in Loop: Header=BB40_2 Depth=1
	s_add_i32 s31, s31, 1
	s_cmp_eq_u32 s31, 10
	s_cbranch_scc1 .LBB40_18
.LBB40_2:                               ; =>This Loop Header: Depth=1
                                        ;     Child Loop BB40_4 Depth 2
	s_mov_b32 s33, -4
	s_mov_b32 s36, 28
	s_branch .LBB40_4
.LBB40_3:                               ;   in Loop: Header=BB40_4 Depth=2
	s_or_b64 exec, exec, s[34:35]
	s_waitcnt lgkmcnt(0)
	v_add_u32_e32 v5, v70, v5
	ds_bpermute_b32 v5, v21, v5
	ds_read_b32 v71, v1 offset:16412
	s_add_i32 s36, s36, -4
	s_add_i32 s33, s33, 4
	s_cmp_lt_u32 s33, 28
	s_waitcnt lgkmcnt(1)
	v_cndmask_b32_e64 v5, v5, v70, s[6:7]
	s_waitcnt lgkmcnt(0)
	v_lshl_add_u32 v5, v71, 16, v5
	v_add_u32_e32 v10, v5, v10
	v_add_u32_e32 v11, v10, v11
	ds_write2_b32 v3, v5, v10 offset1:1
	v_add_u32_e32 v5, v11, v8
	v_add_u32_e32 v8, v5, v9
	ds_write2_b32 v3, v11, v5 offset0:2 offset1:3
	v_add_u32_e32 v5, v8, v6
	v_add_u32_e32 v6, v5, v7
	;; [unrolled: 1-line block ×3, first 2 shown]
	ds_write2_b32 v3, v8, v5 offset0:4 offset1:5
	ds_write2_b32 v3, v6, v4 offset0:6 offset1:7
	s_waitcnt lgkmcnt(0)
	s_barrier
	s_cbranch_scc0 .LBB40_1
.LBB40_4:                               ;   Parent Loop BB40_2 Depth=1
                                        ; =>  This Inner Loop Header: Depth=2
	ds_write_b32 v12, v1
	ds_write_b32 v14, v1
	;; [unrolled: 1-line block ×4, first 2 shown]
	s_and_saveexec_b64 s[34:35], s[24:25]
	s_cbranch_execnz .LBB40_15
; %bb.5:                                ;   in Loop: Header=BB40_4 Depth=2
	s_or_b64 exec, exec, s[34:35]
	s_and_saveexec_b64 s[34:35], s[24:25]
	s_cbranch_execnz .LBB40_16
.LBB40_6:                               ;   in Loop: Header=BB40_4 Depth=2
	s_or_b64 exec, exec, s[34:35]
	s_and_saveexec_b64 s[34:35], s[24:25]
	s_cbranch_execnz .LBB40_17
.LBB40_7:                               ;   in Loop: Header=BB40_4 Depth=2
	s_or_b64 exec, exec, s[34:35]
	s_and_saveexec_b64 s[34:35], s[24:25]
	s_cbranch_execz .LBB40_9
.LBB40_8:                               ;   in Loop: Header=BB40_4 Depth=2
	ds_write_b32 v20, v1
.LBB40_9:                               ;   in Loop: Header=BB40_4 Depth=2
	s_or_b64 exec, exec, s[34:35]
	v_lshlrev_b32_e32 v4, s36, v22
	v_lshrrev_b32_e32 v5, 19, v4
	v_and_or_b32 v5, v5, s30, v0
	v_alignbit_b32 v4, v5, v4, 31
	v_lshlrev_b32_e32 v40, 1, v4
	ds_read_u16 v38, v40
	v_lshlrev_b32_e32 v4, s36, v23
	v_lshrrev_b32_e32 v5, 19, v4
	v_and_or_b32 v5, v5, s30, v0
	v_alignbit_b32 v4, v5, v4, 31
	s_waitcnt lgkmcnt(0)
	v_add_u16_e32 v5, 1, v38
	ds_write_b16 v40, v5
	v_lshlrev_b32_e32 v42, 1, v4
	ds_read_u16 v39, v42
	v_lshlrev_b32_e32 v4, s36, v24
	v_lshrrev_b32_e32 v5, 19, v4
	v_and_or_b32 v5, v5, s30, v0
	v_alignbit_b32 v4, v5, v4, 31
	s_waitcnt lgkmcnt(0)
	v_add_u16_e32 v6, 1, v39
	ds_write_b16 v42, v6
	;; [unrolled: 9-line block ×3, first 2 shown]
	v_lshlrev_b32_e32 v46, 1, v4
	ds_read_u16 v43, v46
	v_lshlrev_b32_e32 v4, s36, v26
	s_waitcnt lgkmcnt(0)
	v_add_u16_e32 v5, 1, v43
	ds_write_b16 v46, v5
	v_lshrrev_b32_e32 v5, 19, v4
	v_and_or_b32 v5, v5, s30, v0
	v_alignbit_b32 v4, v5, v4, 31
	v_lshlrev_b32_e32 v48, 1, v4
	ds_read_u16 v45, v48
	s_waitcnt lgkmcnt(0)
	v_add_u16_e32 v4, 1, v45
	ds_write_b16 v48, v4
	v_lshlrev_b32_e32 v4, s36, v27
	v_lshrrev_b32_e32 v5, 19, v4
	v_and_or_b32 v5, v5, s30, v0
	v_alignbit_b32 v4, v5, v4, 31
	v_lshlrev_b32_e32 v50, 1, v4
	ds_read_u16 v47, v50
	s_waitcnt lgkmcnt(0)
	v_add_u16_e32 v4, 1, v47
	ds_write_b16 v50, v4
	v_lshlrev_b32_e32 v4, s36, v28
	;; [unrolled: 9-line block ×11, first 2 shown]
	v_lshrrev_b32_e32 v5, 19, v4
	v_and_or_b32 v5, v5, s30, v0
	v_alignbit_b32 v4, v5, v4, 31
	v_lshlrev_b32_e32 v69, 1, v4
	ds_read_u16 v67, v69
	s_waitcnt lgkmcnt(0)
	v_add_u16_e32 v4, 1, v67
	ds_write_b16 v69, v4
	s_waitcnt lgkmcnt(0)
	s_barrier
	ds_read2_b32 v[10:11], v3 offset1:1
	ds_read2_b32 v[8:9], v3 offset0:2 offset1:3
	ds_read2_b32 v[6:7], v3 offset0:4 offset1:5
	ds_read2_b32 v[4:5], v3 offset0:6 offset1:7
	s_waitcnt lgkmcnt(3)
	v_add_u32_e32 v70, v11, v10
	s_waitcnt lgkmcnt(2)
	v_add3_u32 v70, v70, v8, v9
	s_waitcnt lgkmcnt(1)
	v_add3_u32 v70, v70, v6, v7
	;; [unrolled: 2-line block ×3, first 2 shown]
	s_nop 1
	v_mov_b32_dpp v70, v5 row_shr:1 row_mask:0xf bank_mask:0xf
	v_cndmask_b32_e64 v70, v70, 0, s[8:9]
	v_add_u32_e32 v5, v70, v5
	s_nop 1
	v_mov_b32_dpp v70, v5 row_shr:2 row_mask:0xf bank_mask:0xf
	v_cndmask_b32_e64 v70, 0, v70, s[10:11]
	v_add_u32_e32 v5, v5, v70
	;; [unrolled: 4-line block ×4, first 2 shown]
	s_nop 1
	v_mov_b32_dpp v70, v5 row_bcast:15 row_mask:0xf bank_mask:0xf
	v_cndmask_b32_e64 v70, v70, 0, s[16:17]
	v_add_u32_e32 v5, v5, v70
	s_nop 1
	v_mov_b32_dpp v70, v5 row_bcast:31 row_mask:0xf bank_mask:0xf
	v_cndmask_b32_e64 v70, 0, v70, s[2:3]
	v_add_u32_e32 v5, v5, v70
	s_and_saveexec_b64 s[34:35], s[4:5]
	s_cbranch_execz .LBB40_11
; %bb.10:                               ;   in Loop: Header=BB40_4 Depth=2
	ds_write_b32 v13, v5 offset:16384
.LBB40_11:                              ;   in Loop: Header=BB40_4 Depth=2
	s_or_b64 exec, exec, s[34:35]
	s_waitcnt lgkmcnt(0)
	s_barrier
	s_and_saveexec_b64 s[34:35], vcc
	s_cbranch_execz .LBB40_13
; %bb.12:                               ;   in Loop: Header=BB40_4 Depth=2
	ds_read_b32 v70, v12 offset:16384
	s_waitcnt lgkmcnt(0)
	s_nop 0
	v_mov_b32_dpp v71, v70 row_shr:1 row_mask:0xf bank_mask:0xf
	v_cndmask_b32_e64 v71, v71, 0, s[18:19]
	v_add_u32_e32 v70, v71, v70
	s_nop 1
	v_mov_b32_dpp v71, v70 row_shr:2 row_mask:0xf bank_mask:0xf
	v_cndmask_b32_e64 v71, 0, v71, s[20:21]
	v_add_u32_e32 v70, v70, v71
	;; [unrolled: 4-line block ×3, first 2 shown]
	ds_write_b32 v12, v70 offset:16384
.LBB40_13:                              ;   in Loop: Header=BB40_4 Depth=2
	s_or_b64 exec, exec, s[34:35]
	v_mov_b32_e32 v70, 0
	s_waitcnt lgkmcnt(0)
	s_barrier
	s_and_saveexec_b64 s[34:35], s[0:1]
	s_cbranch_execz .LBB40_3
; %bb.14:                               ;   in Loop: Header=BB40_4 Depth=2
	ds_read_b32 v70, v13 offset:16380
	s_branch .LBB40_3
.LBB40_15:                              ;   in Loop: Header=BB40_4 Depth=2
	ds_write_b32 v17, v1
	s_or_b64 exec, exec, s[34:35]
	s_and_saveexec_b64 s[34:35], s[24:25]
	s_cbranch_execz .LBB40_6
.LBB40_16:                              ;   in Loop: Header=BB40_4 Depth=2
	ds_write_b32 v18, v1
	s_or_b64 exec, exec, s[34:35]
	s_and_saveexec_b64 s[34:35], s[24:25]
	s_cbranch_execz .LBB40_7
.LBB40_17:                              ;   in Loop: Header=BB40_4 Depth=2
	ds_write_b32 v19, v1
	s_or_b64 exec, exec, s[34:35]
	s_and_saveexec_b64 s[34:35], s[24:25]
	s_cbranch_execnz .LBB40_8
	s_branch .LBB40_9
.LBB40_18:
	ds_read_u16 v0, v69
	ds_read_u16 v1, v68
	;; [unrolled: 1-line block ×16, first 2 shown]
	s_add_u32 s0, s26, s28
	s_waitcnt lgkmcnt(14)
	v_add_u32_sdwa v7, v0, v67 dst_sel:DWORD dst_unused:UNUSED_PAD src0_sel:DWORD src1_sel:WORD_0
	s_waitcnt lgkmcnt(11)
	v_add_u32_sdwa v11, v8, v59 dst_sel:DWORD dst_unused:UNUSED_PAD src0_sel:DWORD src1_sel:WORD_0
	s_waitcnt lgkmcnt(10)
	v_add_u32_sdwa v10, v9, v57 dst_sel:DWORD dst_unused:UNUSED_PAD src0_sel:DWORD src1_sel:WORD_0
	s_waitcnt lgkmcnt(9)
	v_add_u32_sdwa v9, v12, v55 dst_sel:DWORD dst_unused:UNUSED_PAD src0_sel:DWORD src1_sel:WORD_0
	s_waitcnt lgkmcnt(8)
	v_add_u32_sdwa v8, v13, v53 dst_sel:DWORD dst_unused:UNUSED_PAD src0_sel:DWORD src1_sel:WORD_0
	s_waitcnt lgkmcnt(7)
	v_add_u32_sdwa v15, v14, v51 dst_sel:DWORD dst_unused:UNUSED_PAD src0_sel:DWORD src1_sel:WORD_0
	s_waitcnt lgkmcnt(6)
	v_add_u32_sdwa v14, v16, v49 dst_sel:DWORD dst_unused:UNUSED_PAD src0_sel:DWORD src1_sel:WORD_0
	s_waitcnt lgkmcnt(5)
	v_add_u32_sdwa v13, v17, v47 dst_sel:DWORD dst_unused:UNUSED_PAD src0_sel:DWORD src1_sel:WORD_0
	s_waitcnt lgkmcnt(4)
	v_add_u32_sdwa v12, v18, v45 dst_sel:DWORD dst_unused:UNUSED_PAD src0_sel:DWORD src1_sel:WORD_0
	s_waitcnt lgkmcnt(3)
	v_add_u32_sdwa v19, v19, v43 dst_sel:DWORD dst_unused:UNUSED_PAD src0_sel:DWORD src1_sel:WORD_0
	s_waitcnt lgkmcnt(2)
	v_add_u32_sdwa v18, v20, v41 dst_sel:DWORD dst_unused:UNUSED_PAD src0_sel:DWORD src1_sel:WORD_0
	s_waitcnt lgkmcnt(1)
	v_add_u32_sdwa v17, v21, v39 dst_sel:DWORD dst_unused:UNUSED_PAD src0_sel:DWORD src1_sel:WORD_0
	s_waitcnt lgkmcnt(0)
	v_add_u32_sdwa v16, v22, v38 dst_sel:DWORD dst_unused:UNUSED_PAD src0_sel:DWORD src1_sel:WORD_0
	s_addc_u32 s1, s27, s29
	v_lshlrev_b32_e32 v0, 2, v2
	v_add_u32_sdwa v6, v1, v65 dst_sel:DWORD dst_unused:UNUSED_PAD src0_sel:DWORD src1_sel:WORD_0
	v_add_u32_sdwa v5, v3, v63 dst_sel:DWORD dst_unused:UNUSED_PAD src0_sel:DWORD src1_sel:WORD_0
	;; [unrolled: 1-line block ×3, first 2 shown]
	global_store_dwordx4 v0, v[16:19], s[0:1]
	global_store_dwordx4 v0, v[12:15], s[0:1] offset:16
	global_store_dwordx4 v0, v[8:11], s[0:1] offset:32
	;; [unrolled: 1-line block ×3, first 2 shown]
	s_endpgm
	.section	.rodata,"a",@progbits
	.p2align	6, 0x0
	.amdhsa_kernel _Z11rank_kernelIiLj4ELb0EL18RadixRankAlgorithm1ELj512ELj16ELj10EEvPKT_Pi
		.amdhsa_group_segment_fixed_size 16416
		.amdhsa_private_segment_fixed_size 0
		.amdhsa_kernarg_size 16
		.amdhsa_user_sgpr_count 6
		.amdhsa_user_sgpr_private_segment_buffer 1
		.amdhsa_user_sgpr_dispatch_ptr 0
		.amdhsa_user_sgpr_queue_ptr 0
		.amdhsa_user_sgpr_kernarg_segment_ptr 1
		.amdhsa_user_sgpr_dispatch_id 0
		.amdhsa_user_sgpr_flat_scratch_init 0
		.amdhsa_user_sgpr_kernarg_preload_length 0
		.amdhsa_user_sgpr_kernarg_preload_offset 0
		.amdhsa_user_sgpr_private_segment_size 0
		.amdhsa_uses_dynamic_stack 0
		.amdhsa_system_sgpr_private_segment_wavefront_offset 0
		.amdhsa_system_sgpr_workgroup_id_x 1
		.amdhsa_system_sgpr_workgroup_id_y 0
		.amdhsa_system_sgpr_workgroup_id_z 0
		.amdhsa_system_sgpr_workgroup_info 0
		.amdhsa_system_vgpr_workitem_id 0
		.amdhsa_next_free_vgpr 72
		.amdhsa_next_free_sgpr 37
		.amdhsa_accum_offset 72
		.amdhsa_reserve_vcc 1
		.amdhsa_reserve_flat_scratch 0
		.amdhsa_float_round_mode_32 0
		.amdhsa_float_round_mode_16_64 0
		.amdhsa_float_denorm_mode_32 3
		.amdhsa_float_denorm_mode_16_64 3
		.amdhsa_dx10_clamp 1
		.amdhsa_ieee_mode 1
		.amdhsa_fp16_overflow 0
		.amdhsa_tg_split 0
		.amdhsa_exception_fp_ieee_invalid_op 0
		.amdhsa_exception_fp_denorm_src 0
		.amdhsa_exception_fp_ieee_div_zero 0
		.amdhsa_exception_fp_ieee_overflow 0
		.amdhsa_exception_fp_ieee_underflow 0
		.amdhsa_exception_fp_ieee_inexact 0
		.amdhsa_exception_int_div_zero 0
	.end_amdhsa_kernel
	.section	.text._Z11rank_kernelIiLj4ELb0EL18RadixRankAlgorithm1ELj512ELj16ELj10EEvPKT_Pi,"axG",@progbits,_Z11rank_kernelIiLj4ELb0EL18RadixRankAlgorithm1ELj512ELj16ELj10EEvPKT_Pi,comdat
.Lfunc_end40:
	.size	_Z11rank_kernelIiLj4ELb0EL18RadixRankAlgorithm1ELj512ELj16ELj10EEvPKT_Pi, .Lfunc_end40-_Z11rank_kernelIiLj4ELb0EL18RadixRankAlgorithm1ELj512ELj16ELj10EEvPKT_Pi
                                        ; -- End function
	.section	.AMDGPU.csdata,"",@progbits
; Kernel info:
; codeLenInByte = 2356
; NumSgprs: 41
; NumVgprs: 72
; NumAgprs: 0
; TotalNumVgprs: 72
; ScratchSize: 0
; MemoryBound: 0
; FloatMode: 240
; IeeeMode: 1
; LDSByteSize: 16416 bytes/workgroup (compile time only)
; SGPRBlocks: 5
; VGPRBlocks: 8
; NumSGPRsForWavesPerEU: 41
; NumVGPRsForWavesPerEU: 72
; AccumOffset: 72
; Occupancy: 6
; WaveLimiterHint : 0
; COMPUTE_PGM_RSRC2:SCRATCH_EN: 0
; COMPUTE_PGM_RSRC2:USER_SGPR: 6
; COMPUTE_PGM_RSRC2:TRAP_HANDLER: 0
; COMPUTE_PGM_RSRC2:TGID_X_EN: 1
; COMPUTE_PGM_RSRC2:TGID_Y_EN: 0
; COMPUTE_PGM_RSRC2:TGID_Z_EN: 0
; COMPUTE_PGM_RSRC2:TIDIG_COMP_CNT: 0
; COMPUTE_PGM_RSRC3_GFX90A:ACCUM_OFFSET: 17
; COMPUTE_PGM_RSRC3_GFX90A:TG_SPLIT: 0
	.section	.text._Z11rank_kernelIiLj4ELb0EL18RadixRankAlgorithm2ELj512ELj16ELj10EEvPKT_Pi,"axG",@progbits,_Z11rank_kernelIiLj4ELb0EL18RadixRankAlgorithm2ELj512ELj16ELj10EEvPKT_Pi,comdat
	.protected	_Z11rank_kernelIiLj4ELb0EL18RadixRankAlgorithm2ELj512ELj16ELj10EEvPKT_Pi ; -- Begin function _Z11rank_kernelIiLj4ELb0EL18RadixRankAlgorithm2ELj512ELj16ELj10EEvPKT_Pi
	.globl	_Z11rank_kernelIiLj4ELb0EL18RadixRankAlgorithm2ELj512ELj16ELj10EEvPKT_Pi
	.p2align	8
	.type	_Z11rank_kernelIiLj4ELb0EL18RadixRankAlgorithm2ELj512ELj16ELj10EEvPKT_Pi,@function
_Z11rank_kernelIiLj4ELb0EL18RadixRankAlgorithm2ELj512ELj16ELj10EEvPKT_Pi: ; @_Z11rank_kernelIiLj4ELb0EL18RadixRankAlgorithm2ELj512ELj16ELj10EEvPKT_Pi
; %bb.0:
	s_load_dwordx4 s[28:31], s[4:5], 0x0
	s_load_dword s24, s[4:5], 0x1c
	s_lshl_b32 s36, s6, 13
	s_mov_b32 s37, 0
	s_lshl_b64 s[34:35], s[36:37], 2
	s_waitcnt lgkmcnt(0)
	s_add_u32 s0, s28, s34
	v_and_b32_e32 v4, 0x3ff, v0
	s_addc_u32 s1, s29, s35
	v_lshlrev_b32_e32 v1, 6, v4
	global_load_dwordx4 v[10:13], v1, s[0:1]
	global_load_dwordx4 v[14:17], v1, s[0:1] offset:16
	global_load_dwordx4 v[18:21], v1, s[0:1] offset:32
	;; [unrolled: 1-line block ×3, first 2 shown]
	v_mbcnt_lo_u32_b32 v1, -1, 0
	v_mbcnt_hi_u32_b32 v6, -1, v1
	v_bfe_u32 v3, v0, 10, 10
	v_bfe_u32 v5, v0, 20, 10
	v_add_u32_e32 v26, -1, v6
	v_and_b32_e32 v27, 64, v6
	s_lshr_b32 s25, s24, 16
	v_and_b32_e32 v7, 15, v6
	v_or_b32_e32 v9, 63, v4
	v_lshrrev_b32_e32 v28, 4, v4
	v_cmp_lt_i32_e64 s[18:19], v26, v27
	s_and_b32 s24, s24, 0xffff
	v_mad_u32_u24 v3, v5, s25, v3
	v_lshlrev_b32_e32 v0, 4, v4
	v_lshlrev_b32_e32 v1, 2, v4
	v_and_b32_e32 v8, 16, v6
	v_cmp_lt_u32_e32 vcc, 31, v6
	v_cmp_gt_u32_e64 s[0:1], 8, v4
	v_cmp_lt_u32_e64 s[2:3], 63, v4
	v_cmp_eq_u32_e64 s[4:5], 0, v6
	v_and_b32_e32 v29, 7, v6
	v_cmp_eq_u32_e64 s[6:7], 0, v7
	v_cmp_lt_u32_e64 s[8:9], 1, v7
	v_cmp_lt_u32_e64 s[10:11], 3, v7
	;; [unrolled: 1-line block ×3, first 2 shown]
	v_cmp_eq_u32_e64 s[16:17], v9, v4
	v_cndmask_b32_e64 v7, v26, v6, s[18:19]
	v_and_b32_e32 v6, 28, v28
	v_mad_u64_u32 v[4:5], s[24:25], v3, s24, v[4:5]
	v_mov_b32_e32 v2, 0
	v_cmp_eq_u32_e64 s[14:15], 0, v8
	v_cmp_eq_u32_e64 s[18:19], 0, v29
	v_cmp_lt_u32_e64 s[20:21], 1, v29
	v_cmp_lt_u32_e64 s[22:23], 3, v29
	v_lshlrev_b32_e32 v7, 2, v7
	v_lshrrev_b32_e32 v8, 6, v4
	s_waitcnt vmcnt(3)
	v_xor_b32_e32 v9, 0x80000000, v10
	v_xor_b32_e32 v10, 0x80000000, v11
	v_xor_b32_e32 v11, 0x80000000, v12
	v_xor_b32_e32 v12, 0x80000000, v13
	s_waitcnt vmcnt(2)
	v_xor_b32_e32 v13, 0x80000000, v14
	v_xor_b32_e32 v14, 0x80000000, v15
	v_xor_b32_e32 v15, 0x80000000, v16
	v_xor_b32_e32 v16, 0x80000000, v17
	;; [unrolled: 5-line block ×4, first 2 shown]
	v_add_u32_e32 v25, -4, v6
	s_branch .LBB41_2
.LBB41_1:                               ;   in Loop: Header=BB41_2 Depth=1
	s_add_i32 s37, s37, 1
	s_cmp_eq_u32 s37, 10
	s_cbranch_scc1 .LBB41_42
.LBB41_2:                               ; =>This Loop Header: Depth=1
                                        ;     Child Loop BB41_4 Depth 2
	s_mov_b32 s28, -4
	s_mov_b32 s29, 28
	s_branch .LBB41_4
.LBB41_3:                               ;   in Loop: Header=BB41_4 Depth=2
	s_or_b64 exec, exec, s[24:25]
	s_waitcnt lgkmcnt(0)
	v_add_u32_e32 v4, v5, v4
	ds_bpermute_b32 v4, v7, v4
	s_add_i32 s29, s29, -4
	s_add_i32 s28, s28, 4
	s_cmp_lt_u32 s28, 28
	s_waitcnt lgkmcnt(0)
	v_cndmask_b32_e64 v4, v4, v5, s[4:5]
	ds_write_b32 v1, v4 offset:32
	s_waitcnt lgkmcnt(0)
	s_barrier
	s_cbranch_scc0 .LBB41_1
.LBB41_4:                               ;   Parent Loop BB41_2 Depth=1
                                        ; =>  This Inner Loop Header: Depth=2
	v_lshlrev_b32_e32 v4, s29, v9
	v_lshrrev_b32_e32 v5, 28, v4
	v_mad_u32_u24 v3, v5, 9, v8
	v_lshl_add_u32 v26, v3, 2, 32
	v_bfe_u32 v3, v4, 28, 1
	v_add_co_u32_e64 v27, s[24:25], -1, v3
	v_addc_co_u32_e64 v28, s[24:25], 0, -1, s[24:25]
	v_cmp_ne_u32_e64 s[24:25], 0, v3
	v_xor_b32_e32 v3, s25, v28
	v_and_b32_e32 v28, exec_hi, v3
	v_lshlrev_b32_e32 v3, 30, v5
	v_xor_b32_e32 v27, s24, v27
	v_cmp_gt_i64_e64 s[24:25], 0, v[2:3]
	v_not_b32_e32 v3, v3
	v_ashrrev_i32_e32 v3, 31, v3
	v_and_b32_e32 v27, exec_lo, v27
	v_xor_b32_e32 v29, s25, v3
	v_xor_b32_e32 v3, s24, v3
	v_and_b32_e32 v27, v27, v3
	v_lshlrev_b32_e32 v3, 29, v5
	v_cmp_gt_i64_e64 s[24:25], 0, v[2:3]
	v_not_b32_e32 v3, v3
	v_ashrrev_i32_e32 v3, 31, v3
	v_xor_b32_e32 v5, s25, v3
	v_xor_b32_e32 v3, s24, v3
	v_and_b32_e32 v27, v27, v3
	v_and_b32_e32 v3, 0xf0000000, v4
	v_cmp_gt_i64_e64 s[24:25], 0, v[2:3]
	v_not_b32_e32 v3, v3
	v_and_b32_e32 v28, v28, v29
	v_ashrrev_i32_e32 v3, 31, v3
	v_and_b32_e32 v5, v28, v5
	v_xor_b32_e32 v4, s25, v3
	v_xor_b32_e32 v3, s24, v3
	v_and_b32_e32 v5, v5, v4
	v_and_b32_e32 v4, v27, v3
	v_mbcnt_lo_u32_b32 v3, v4, 0
	v_mbcnt_hi_u32_b32 v27, v5, v3
	v_cmp_eq_u32_e64 s[24:25], 0, v27
	v_cmp_ne_u64_e64 s[26:27], 0, v[4:5]
	s_and_b64 s[26:27], s[26:27], s[24:25]
	ds_write_b32 v1, v2 offset:32
	s_waitcnt lgkmcnt(0)
	s_barrier
	s_waitcnt lgkmcnt(0)
	; wave barrier
	s_and_saveexec_b64 s[24:25], s[26:27]
	s_cbranch_execz .LBB41_6
; %bb.5:                                ;   in Loop: Header=BB41_4 Depth=2
	v_bcnt_u32_b32 v3, v4, 0
	v_bcnt_u32_b32 v3, v5, v3
	ds_write_b32 v26, v3
.LBB41_6:                               ;   in Loop: Header=BB41_4 Depth=2
	s_or_b64 exec, exec, s[24:25]
	v_lshlrev_b32_e32 v4, s29, v10
	v_lshrrev_b32_e32 v5, 28, v4
	v_mul_u32_u24_e32 v3, 9, v5
	v_add_lshl_u32 v3, v8, v3, 2
	; wave barrier
	v_add_u32_e32 v29, 32, v3
	ds_read_b32 v28, v3 offset:32
	v_bfe_u32 v3, v4, 28, 1
	v_add_co_u32_e64 v30, s[24:25], -1, v3
	v_addc_co_u32_e64 v31, s[24:25], 0, -1, s[24:25]
	v_cmp_ne_u32_e64 s[24:25], 0, v3
	v_xor_b32_e32 v3, s25, v31
	v_and_b32_e32 v31, exec_hi, v3
	v_lshlrev_b32_e32 v3, 30, v5
	v_xor_b32_e32 v30, s24, v30
	v_cmp_gt_i64_e64 s[24:25], 0, v[2:3]
	v_not_b32_e32 v3, v3
	v_ashrrev_i32_e32 v3, 31, v3
	v_and_b32_e32 v30, exec_lo, v30
	v_xor_b32_e32 v32, s25, v3
	v_xor_b32_e32 v3, s24, v3
	v_and_b32_e32 v30, v30, v3
	v_lshlrev_b32_e32 v3, 29, v5
	v_cmp_gt_i64_e64 s[24:25], 0, v[2:3]
	v_not_b32_e32 v3, v3
	v_ashrrev_i32_e32 v3, 31, v3
	v_xor_b32_e32 v5, s25, v3
	v_xor_b32_e32 v3, s24, v3
	v_and_b32_e32 v30, v30, v3
	v_and_b32_e32 v3, 0xf0000000, v4
	v_cmp_gt_i64_e64 s[24:25], 0, v[2:3]
	v_not_b32_e32 v3, v3
	v_and_b32_e32 v31, v31, v32
	v_ashrrev_i32_e32 v3, 31, v3
	v_and_b32_e32 v5, v31, v5
	v_xor_b32_e32 v4, s25, v3
	v_xor_b32_e32 v3, s24, v3
	v_and_b32_e32 v5, v5, v4
	v_and_b32_e32 v4, v30, v3
	v_mbcnt_lo_u32_b32 v3, v4, 0
	v_mbcnt_hi_u32_b32 v30, v5, v3
	v_cmp_eq_u32_e64 s[24:25], 0, v30
	v_cmp_ne_u64_e64 s[26:27], 0, v[4:5]
	s_and_b64 s[26:27], s[26:27], s[24:25]
	; wave barrier
	s_and_saveexec_b64 s[24:25], s[26:27]
	s_cbranch_execz .LBB41_8
; %bb.7:                                ;   in Loop: Header=BB41_4 Depth=2
	v_bcnt_u32_b32 v3, v4, 0
	v_bcnt_u32_b32 v3, v5, v3
	s_waitcnt lgkmcnt(0)
	v_add_u32_e32 v3, v28, v3
	ds_write_b32 v29, v3
.LBB41_8:                               ;   in Loop: Header=BB41_4 Depth=2
	s_or_b64 exec, exec, s[24:25]
	v_lshlrev_b32_e32 v4, s29, v11
	v_lshrrev_b32_e32 v5, 28, v4
	v_mul_u32_u24_e32 v3, 9, v5
	v_add_lshl_u32 v3, v8, v3, 2
	; wave barrier
	v_add_u32_e32 v32, 32, v3
	ds_read_b32 v31, v3 offset:32
	v_bfe_u32 v3, v4, 28, 1
	v_add_co_u32_e64 v33, s[24:25], -1, v3
	v_addc_co_u32_e64 v34, s[24:25], 0, -1, s[24:25]
	v_cmp_ne_u32_e64 s[24:25], 0, v3
	v_xor_b32_e32 v3, s25, v34
	v_and_b32_e32 v34, exec_hi, v3
	v_lshlrev_b32_e32 v3, 30, v5
	v_xor_b32_e32 v33, s24, v33
	v_cmp_gt_i64_e64 s[24:25], 0, v[2:3]
	v_not_b32_e32 v3, v3
	v_ashrrev_i32_e32 v3, 31, v3
	v_and_b32_e32 v33, exec_lo, v33
	v_xor_b32_e32 v35, s25, v3
	v_xor_b32_e32 v3, s24, v3
	v_and_b32_e32 v33, v33, v3
	v_lshlrev_b32_e32 v3, 29, v5
	v_cmp_gt_i64_e64 s[24:25], 0, v[2:3]
	v_not_b32_e32 v3, v3
	v_ashrrev_i32_e32 v3, 31, v3
	v_xor_b32_e32 v5, s25, v3
	v_xor_b32_e32 v3, s24, v3
	v_and_b32_e32 v33, v33, v3
	v_and_b32_e32 v3, 0xf0000000, v4
	v_cmp_gt_i64_e64 s[24:25], 0, v[2:3]
	v_not_b32_e32 v3, v3
	v_and_b32_e32 v34, v34, v35
	v_ashrrev_i32_e32 v3, 31, v3
	v_and_b32_e32 v5, v34, v5
	v_xor_b32_e32 v4, s25, v3
	v_xor_b32_e32 v3, s24, v3
	v_and_b32_e32 v5, v5, v4
	v_and_b32_e32 v4, v33, v3
	v_mbcnt_lo_u32_b32 v3, v4, 0
	v_mbcnt_hi_u32_b32 v33, v5, v3
	v_cmp_eq_u32_e64 s[24:25], 0, v33
	v_cmp_ne_u64_e64 s[26:27], 0, v[4:5]
	s_and_b64 s[26:27], s[26:27], s[24:25]
	; wave barrier
	s_and_saveexec_b64 s[24:25], s[26:27]
	s_cbranch_execz .LBB41_10
; %bb.9:                                ;   in Loop: Header=BB41_4 Depth=2
	v_bcnt_u32_b32 v3, v4, 0
	v_bcnt_u32_b32 v3, v5, v3
	s_waitcnt lgkmcnt(0)
	v_add_u32_e32 v3, v31, v3
	ds_write_b32 v32, v3
.LBB41_10:                              ;   in Loop: Header=BB41_4 Depth=2
	s_or_b64 exec, exec, s[24:25]
	v_lshlrev_b32_e32 v4, s29, v12
	v_lshrrev_b32_e32 v5, 28, v4
	v_mul_u32_u24_e32 v3, 9, v5
	v_add_lshl_u32 v3, v8, v3, 2
	; wave barrier
	v_add_u32_e32 v35, 32, v3
	ds_read_b32 v34, v3 offset:32
	v_bfe_u32 v3, v4, 28, 1
	v_add_co_u32_e64 v36, s[24:25], -1, v3
	v_addc_co_u32_e64 v37, s[24:25], 0, -1, s[24:25]
	v_cmp_ne_u32_e64 s[24:25], 0, v3
	v_xor_b32_e32 v3, s25, v37
	v_and_b32_e32 v37, exec_hi, v3
	v_lshlrev_b32_e32 v3, 30, v5
	v_xor_b32_e32 v36, s24, v36
	v_cmp_gt_i64_e64 s[24:25], 0, v[2:3]
	v_not_b32_e32 v3, v3
	v_ashrrev_i32_e32 v3, 31, v3
	v_and_b32_e32 v36, exec_lo, v36
	v_xor_b32_e32 v38, s25, v3
	v_xor_b32_e32 v3, s24, v3
	v_and_b32_e32 v36, v36, v3
	v_lshlrev_b32_e32 v3, 29, v5
	v_cmp_gt_i64_e64 s[24:25], 0, v[2:3]
	v_not_b32_e32 v3, v3
	v_ashrrev_i32_e32 v3, 31, v3
	v_xor_b32_e32 v5, s25, v3
	v_xor_b32_e32 v3, s24, v3
	v_and_b32_e32 v36, v36, v3
	v_and_b32_e32 v3, 0xf0000000, v4
	v_cmp_gt_i64_e64 s[24:25], 0, v[2:3]
	v_not_b32_e32 v3, v3
	v_and_b32_e32 v37, v37, v38
	v_ashrrev_i32_e32 v3, 31, v3
	v_and_b32_e32 v5, v37, v5
	v_xor_b32_e32 v4, s25, v3
	v_xor_b32_e32 v3, s24, v3
	v_and_b32_e32 v5, v5, v4
	v_and_b32_e32 v4, v36, v3
	v_mbcnt_lo_u32_b32 v3, v4, 0
	v_mbcnt_hi_u32_b32 v36, v5, v3
	v_cmp_eq_u32_e64 s[24:25], 0, v36
	v_cmp_ne_u64_e64 s[26:27], 0, v[4:5]
	s_and_b64 s[26:27], s[26:27], s[24:25]
	; wave barrier
	s_and_saveexec_b64 s[24:25], s[26:27]
	s_cbranch_execz .LBB41_12
; %bb.11:                               ;   in Loop: Header=BB41_4 Depth=2
	v_bcnt_u32_b32 v3, v4, 0
	v_bcnt_u32_b32 v3, v5, v3
	s_waitcnt lgkmcnt(0)
	v_add_u32_e32 v3, v34, v3
	ds_write_b32 v35, v3
.LBB41_12:                              ;   in Loop: Header=BB41_4 Depth=2
	s_or_b64 exec, exec, s[24:25]
	v_lshlrev_b32_e32 v4, s29, v13
	v_lshrrev_b32_e32 v5, 28, v4
	v_mul_u32_u24_e32 v3, 9, v5
	v_add_lshl_u32 v3, v8, v3, 2
	; wave barrier
	v_add_u32_e32 v38, 32, v3
	ds_read_b32 v37, v3 offset:32
	v_bfe_u32 v3, v4, 28, 1
	v_add_co_u32_e64 v39, s[24:25], -1, v3
	v_addc_co_u32_e64 v40, s[24:25], 0, -1, s[24:25]
	v_cmp_ne_u32_e64 s[24:25], 0, v3
	v_xor_b32_e32 v3, s25, v40
	v_and_b32_e32 v40, exec_hi, v3
	v_lshlrev_b32_e32 v3, 30, v5
	v_xor_b32_e32 v39, s24, v39
	v_cmp_gt_i64_e64 s[24:25], 0, v[2:3]
	v_not_b32_e32 v3, v3
	v_ashrrev_i32_e32 v3, 31, v3
	v_and_b32_e32 v39, exec_lo, v39
	v_xor_b32_e32 v41, s25, v3
	v_xor_b32_e32 v3, s24, v3
	v_and_b32_e32 v39, v39, v3
	v_lshlrev_b32_e32 v3, 29, v5
	v_cmp_gt_i64_e64 s[24:25], 0, v[2:3]
	v_not_b32_e32 v3, v3
	v_ashrrev_i32_e32 v3, 31, v3
	v_xor_b32_e32 v5, s25, v3
	v_xor_b32_e32 v3, s24, v3
	v_and_b32_e32 v39, v39, v3
	v_and_b32_e32 v3, 0xf0000000, v4
	v_cmp_gt_i64_e64 s[24:25], 0, v[2:3]
	v_not_b32_e32 v3, v3
	v_and_b32_e32 v40, v40, v41
	v_ashrrev_i32_e32 v3, 31, v3
	v_and_b32_e32 v5, v40, v5
	v_xor_b32_e32 v4, s25, v3
	v_xor_b32_e32 v3, s24, v3
	v_and_b32_e32 v5, v5, v4
	v_and_b32_e32 v4, v39, v3
	v_mbcnt_lo_u32_b32 v3, v4, 0
	v_mbcnt_hi_u32_b32 v39, v5, v3
	v_cmp_eq_u32_e64 s[24:25], 0, v39
	v_cmp_ne_u64_e64 s[26:27], 0, v[4:5]
	s_and_b64 s[26:27], s[26:27], s[24:25]
	; wave barrier
	s_and_saveexec_b64 s[24:25], s[26:27]
	s_cbranch_execz .LBB41_14
; %bb.13:                               ;   in Loop: Header=BB41_4 Depth=2
	v_bcnt_u32_b32 v3, v4, 0
	v_bcnt_u32_b32 v3, v5, v3
	s_waitcnt lgkmcnt(0)
	v_add_u32_e32 v3, v37, v3
	ds_write_b32 v38, v3
.LBB41_14:                              ;   in Loop: Header=BB41_4 Depth=2
	;; [unrolled: 55-line block ×13, first 2 shown]
	s_or_b64 exec, exec, s[24:25]
	; wave barrier
	s_waitcnt lgkmcnt(0)
	s_barrier
	ds_read_b32 v4, v1 offset:32
	s_waitcnt lgkmcnt(0)
	s_nop 0
	v_mov_b32_dpp v5, v4 row_shr:1 row_mask:0xf bank_mask:0xf
	v_cndmask_b32_e64 v5, v5, 0, s[6:7]
	v_add_u32_e32 v4, v5, v4
	s_nop 1
	v_mov_b32_dpp v5, v4 row_shr:2 row_mask:0xf bank_mask:0xf
	v_cndmask_b32_e64 v5, 0, v5, s[8:9]
	v_add_u32_e32 v4, v4, v5
	;; [unrolled: 4-line block ×4, first 2 shown]
	s_nop 1
	v_mov_b32_dpp v5, v4 row_bcast:15 row_mask:0xf bank_mask:0xf
	v_cndmask_b32_e64 v5, v5, 0, s[14:15]
	v_add_u32_e32 v4, v4, v5
	s_nop 1
	v_mov_b32_dpp v5, v4 row_bcast:31 row_mask:0xf bank_mask:0xf
	v_cndmask_b32_e32 v5, 0, v5, vcc
	v_add_u32_e32 v4, v4, v5
	s_and_saveexec_b64 s[24:25], s[16:17]
	s_xor_b64 s[24:25], exec, s[24:25]
	s_cbranch_execz .LBB41_38
; %bb.37:                               ;   in Loop: Header=BB41_4 Depth=2
	ds_write_b32 v6, v4
.LBB41_38:                              ;   in Loop: Header=BB41_4 Depth=2
	s_or_b64 exec, exec, s[24:25]
	s_waitcnt lgkmcnt(0)
	s_barrier
	s_and_saveexec_b64 s[24:25], s[0:1]
	s_cbranch_execz .LBB41_40
; %bb.39:                               ;   in Loop: Header=BB41_4 Depth=2
	ds_read_b32 v5, v1
	s_waitcnt lgkmcnt(0)
	s_nop 0
	v_mov_b32_dpp v72, v5 row_shr:1 row_mask:0xf bank_mask:0xf
	v_cndmask_b32_e64 v72, v72, 0, s[18:19]
	v_add_u32_e32 v5, v72, v5
	s_nop 1
	v_mov_b32_dpp v72, v5 row_shr:2 row_mask:0xf bank_mask:0xf
	v_cndmask_b32_e64 v72, 0, v72, s[20:21]
	v_add_u32_e32 v5, v5, v72
	;; [unrolled: 4-line block ×3, first 2 shown]
	ds_write_b32 v1, v5
.LBB41_40:                              ;   in Loop: Header=BB41_4 Depth=2
	s_or_b64 exec, exec, s[24:25]
	v_mov_b32_e32 v5, 0
	s_waitcnt lgkmcnt(0)
	s_barrier
	s_and_saveexec_b64 s[24:25], s[2:3]
	s_cbranch_execz .LBB41_3
; %bb.41:                               ;   in Loop: Header=BB41_4 Depth=2
	ds_read_b32 v5, v25
	s_branch .LBB41_3
.LBB41_42:
	ds_read_b32 v2, v71
	ds_read_b32 v8, v69
	;; [unrolled: 1-line block ×16, first 2 shown]
	s_add_u32 s0, s30, s34
	s_addc_u32 s1, s31, s35
	v_lshlrev_b32_e32 v19, 2, v0
	s_waitcnt lgkmcnt(1)
	v_add3_u32 v5, v30, v28, v4
	s_waitcnt lgkmcnt(0)
	v_add_u32_e32 v4, v7, v27
	v_add3_u32 v7, v36, v34, v6
	v_add3_u32 v6, v33, v31, v18
	global_store_dwordx4 v19, v[4:7], s[0:1]
	v_add3_u32 v1, v66, v64, v1
	v_add3_u32 v5, v42, v40, v16
	v_add3_u32 v4, v39, v37, v17
	v_add3_u32 v7, v48, v46, v14
	v_add3_u32 v6, v45, v43, v15
	global_store_dwordx4 v19, v[4:7], s[0:1] offset:16
	v_add3_u32 v0, v63, v61, v9
	v_add3_u32 v5, v54, v52, v12
	;; [unrolled: 1-line block ×7, first 2 shown]
	global_store_dwordx4 v19, v[4:7], s[0:1] offset:32
	global_store_dwordx4 v19, v[0:3], s[0:1] offset:48
	s_endpgm
	.section	.rodata,"a",@progbits
	.p2align	6, 0x0
	.amdhsa_kernel _Z11rank_kernelIiLj4ELb0EL18RadixRankAlgorithm2ELj512ELj16ELj10EEvPKT_Pi
		.amdhsa_group_segment_fixed_size 2080
		.amdhsa_private_segment_fixed_size 0
		.amdhsa_kernarg_size 272
		.amdhsa_user_sgpr_count 6
		.amdhsa_user_sgpr_private_segment_buffer 1
		.amdhsa_user_sgpr_dispatch_ptr 0
		.amdhsa_user_sgpr_queue_ptr 0
		.amdhsa_user_sgpr_kernarg_segment_ptr 1
		.amdhsa_user_sgpr_dispatch_id 0
		.amdhsa_user_sgpr_flat_scratch_init 0
		.amdhsa_user_sgpr_kernarg_preload_length 0
		.amdhsa_user_sgpr_kernarg_preload_offset 0
		.amdhsa_user_sgpr_private_segment_size 0
		.amdhsa_uses_dynamic_stack 0
		.amdhsa_system_sgpr_private_segment_wavefront_offset 0
		.amdhsa_system_sgpr_workgroup_id_x 1
		.amdhsa_system_sgpr_workgroup_id_y 0
		.amdhsa_system_sgpr_workgroup_id_z 0
		.amdhsa_system_sgpr_workgroup_info 0
		.amdhsa_system_vgpr_workitem_id 2
		.amdhsa_next_free_vgpr 75
		.amdhsa_next_free_sgpr 38
		.amdhsa_accum_offset 76
		.amdhsa_reserve_vcc 1
		.amdhsa_reserve_flat_scratch 0
		.amdhsa_float_round_mode_32 0
		.amdhsa_float_round_mode_16_64 0
		.amdhsa_float_denorm_mode_32 3
		.amdhsa_float_denorm_mode_16_64 3
		.amdhsa_dx10_clamp 1
		.amdhsa_ieee_mode 1
		.amdhsa_fp16_overflow 0
		.amdhsa_tg_split 0
		.amdhsa_exception_fp_ieee_invalid_op 0
		.amdhsa_exception_fp_denorm_src 0
		.amdhsa_exception_fp_ieee_div_zero 0
		.amdhsa_exception_fp_ieee_overflow 0
		.amdhsa_exception_fp_ieee_underflow 0
		.amdhsa_exception_fp_ieee_inexact 0
		.amdhsa_exception_int_div_zero 0
	.end_amdhsa_kernel
	.section	.text._Z11rank_kernelIiLj4ELb0EL18RadixRankAlgorithm2ELj512ELj16ELj10EEvPKT_Pi,"axG",@progbits,_Z11rank_kernelIiLj4ELb0EL18RadixRankAlgorithm2ELj512ELj16ELj10EEvPKT_Pi,comdat
.Lfunc_end41:
	.size	_Z11rank_kernelIiLj4ELb0EL18RadixRankAlgorithm2ELj512ELj16ELj10EEvPKT_Pi, .Lfunc_end41-_Z11rank_kernelIiLj4ELb0EL18RadixRankAlgorithm2ELj512ELj16ELj10EEvPKT_Pi
                                        ; -- End function
	.section	.AMDGPU.csdata,"",@progbits
; Kernel info:
; codeLenInByte = 5544
; NumSgprs: 42
; NumVgprs: 75
; NumAgprs: 0
; TotalNumVgprs: 75
; ScratchSize: 0
; MemoryBound: 0
; FloatMode: 240
; IeeeMode: 1
; LDSByteSize: 2080 bytes/workgroup (compile time only)
; SGPRBlocks: 5
; VGPRBlocks: 9
; NumSGPRsForWavesPerEU: 42
; NumVGPRsForWavesPerEU: 75
; AccumOffset: 76
; Occupancy: 6
; WaveLimiterHint : 0
; COMPUTE_PGM_RSRC2:SCRATCH_EN: 0
; COMPUTE_PGM_RSRC2:USER_SGPR: 6
; COMPUTE_PGM_RSRC2:TRAP_HANDLER: 0
; COMPUTE_PGM_RSRC2:TGID_X_EN: 1
; COMPUTE_PGM_RSRC2:TGID_Y_EN: 0
; COMPUTE_PGM_RSRC2:TGID_Z_EN: 0
; COMPUTE_PGM_RSRC2:TIDIG_COMP_CNT: 2
; COMPUTE_PGM_RSRC3_GFX90A:ACCUM_OFFSET: 18
; COMPUTE_PGM_RSRC3_GFX90A:TG_SPLIT: 0
	.section	.text._Z11rank_kernelIiLj4ELb0EL18RadixRankAlgorithm0ELj512ELj32ELj10EEvPKT_Pi,"axG",@progbits,_Z11rank_kernelIiLj4ELb0EL18RadixRankAlgorithm0ELj512ELj32ELj10EEvPKT_Pi,comdat
	.protected	_Z11rank_kernelIiLj4ELb0EL18RadixRankAlgorithm0ELj512ELj32ELj10EEvPKT_Pi ; -- Begin function _Z11rank_kernelIiLj4ELb0EL18RadixRankAlgorithm0ELj512ELj32ELj10EEvPKT_Pi
	.globl	_Z11rank_kernelIiLj4ELb0EL18RadixRankAlgorithm0ELj512ELj32ELj10EEvPKT_Pi
	.p2align	8
	.type	_Z11rank_kernelIiLj4ELb0EL18RadixRankAlgorithm0ELj512ELj32ELj10EEvPKT_Pi,@function
_Z11rank_kernelIiLj4ELb0EL18RadixRankAlgorithm0ELj512ELj32ELj10EEvPKT_Pi: ; @_Z11rank_kernelIiLj4ELb0EL18RadixRankAlgorithm0ELj512ELj32ELj10EEvPKT_Pi
; %bb.0:
	s_load_dwordx4 s[24:27], s[4:5], 0x0
	s_lshl_b32 s30, s6, 14
	s_mov_b32 s31, 0
	s_lshl_b64 s[28:29], s[30:31], 2
	v_lshlrev_b32_e32 v1, 7, v0
	s_waitcnt lgkmcnt(0)
	s_add_u32 s0, s24, s28
	s_addc_u32 s1, s25, s29
	global_load_dwordx4 v[14:17], v1, s[0:1]
	global_load_dwordx4 v[18:21], v1, s[0:1] offset:16
	global_load_dwordx4 v[22:25], v1, s[0:1] offset:32
	global_load_dwordx4 v[26:29], v1, s[0:1] offset:48
	global_load_dwordx4 v[30:33], v1, s[0:1] offset:64
	global_load_dwordx4 v[34:37], v1, s[0:1] offset:80
	global_load_dwordx4 v[38:41], v1, s[0:1] offset:96
	global_load_dwordx4 v[42:45], v1, s[0:1] offset:112
	v_mbcnt_lo_u32_b32 v3, -1, 0
	v_mbcnt_hi_u32_b32 v12, -1, v3
	v_add_u32_e32 v47, -1, v12
	v_and_b32_e32 v48, 64, v12
	v_cmp_lt_i32_e64 s[18:19], v47, v48
	v_or_b32_e32 v4, 63, v0
	v_lshrrev_b32_e32 v5, 4, v0
	v_lshlrev_b32_e32 v3, 2, v0
	v_and_b32_e32 v13, 15, v12
	v_and_b32_e32 v46, 16, v12
	v_cmp_lt_u32_e64 s[2:3], 31, v12
	v_cmp_eq_u32_e64 s[6:7], 0, v12
	v_and_b32_e32 v49, 7, v12
	v_cndmask_b32_e64 v12, v47, v12, s[18:19]
	v_mov_b32_e32 v1, 0
	s_mov_b64 s[24:25], -1
	v_lshlrev_b32_e32 v2, 5, v0
	v_cmp_gt_u32_e32 vcc, 8, v0
	v_cmp_lt_u32_e64 s[0:1], 63, v0
	v_cmp_eq_u32_e64 s[4:5], v4, v0
	v_and_b32_e32 v4, 28, v5
	v_or_b32_e32 v5, 0x800, v3
	v_or_b32_e32 v6, 0x1000, v3
	;; [unrolled: 1-line block ×7, first 2 shown]
	v_cmp_eq_u32_e64 s[8:9], 0, v13
	v_cmp_lt_u32_e64 s[10:11], 1, v13
	v_cmp_lt_u32_e64 s[12:13], 3, v13
	;; [unrolled: 1-line block ×3, first 2 shown]
	v_cmp_eq_u32_e64 s[16:17], 0, v46
	v_cmp_eq_u32_e64 s[18:19], 0, v49
	v_cmp_lt_u32_e64 s[20:21], 1, v49
	v_cmp_lt_u32_e64 s[22:23], 3, v49
	v_lshlrev_b32_e32 v12, 2, v12
	s_movk_i32 s30, 0xe00
	s_waitcnt vmcnt(7)
	v_xor_b32_e32 v13, 0x80000000, v14
	v_xor_b32_e32 v14, 0x80000000, v15
	v_xor_b32_e32 v15, 0x80000000, v16
	v_xor_b32_e32 v16, 0x80000000, v17
	s_waitcnt vmcnt(6)
	v_xor_b32_e32 v17, 0x80000000, v18
	v_xor_b32_e32 v18, 0x80000000, v19
	v_xor_b32_e32 v19, 0x80000000, v20
	v_xor_b32_e32 v20, 0x80000000, v21
	;; [unrolled: 5-line block ×8, first 2 shown]
	s_branch .LBB42_2
.LBB42_1:                               ;   in Loop: Header=BB42_2 Depth=1
	s_add_i32 s31, s31, 1
	s_cmp_eq_u32 s31, 10
	s_cbranch_scc1 .LBB42_18
.LBB42_2:                               ; =>This Loop Header: Depth=1
                                        ;     Child Loop BB42_4 Depth 2
	s_mov_b32 s33, -4
	s_mov_b32 s36, 28
	s_branch .LBB42_4
.LBB42_3:                               ;   in Loop: Header=BB42_4 Depth=2
	s_or_b64 exec, exec, s[34:35]
	s_waitcnt lgkmcnt(0)
	v_add_u32_e32 v109, v110, v109
	ds_bpermute_b32 v109, v12, v109
	ds_read_b32 v112, v1 offset:16412
	s_add_i32 s36, s36, -4
	s_add_i32 s33, s33, 4
	s_cmp_lt_u32 s33, 28
	s_waitcnt lgkmcnt(1)
	v_cndmask_b32_e64 v109, v109, v110, s[6:7]
	ds_read2_b32 v[110:111], v2 offset1:1
	s_waitcnt lgkmcnt(1)
	v_lshl_add_u32 v109, v112, 16, v109
	ds_read2_b32 v[112:113], v2 offset0:2 offset1:3
	ds_read2_b32 v[114:115], v2 offset0:4 offset1:5
	ds_read_b32 v116, v2 offset:24
	s_waitcnt lgkmcnt(3)
	v_add_u32_e32 v110, v109, v110
	ds_write2_b32 v2, v109, v110 offset1:1
	v_add_u32_e32 v109, v111, v110
	s_waitcnt lgkmcnt(3)
	v_add_u32_e32 v110, v112, v109
	ds_write2_b32 v2, v109, v110 offset0:2 offset1:3
	v_add_u32_e32 v109, v113, v110
	s_waitcnt lgkmcnt(3)
	v_add_u32_e32 v110, v114, v109
	ds_write2_b32 v2, v109, v110 offset0:4 offset1:5
	;; [unrolled: 4-line block ×3, first 2 shown]
	s_waitcnt lgkmcnt(0)
	s_barrier
	s_cbranch_scc0 .LBB42_1
.LBB42_4:                               ;   Parent Loop BB42_2 Depth=1
                                        ; =>  This Inner Loop Header: Depth=2
	ds_write_b32 v3, v1
	ds_write_b32 v5, v1
	;; [unrolled: 1-line block ×4, first 2 shown]
	s_and_saveexec_b64 s[34:35], s[24:25]
	s_cbranch_execnz .LBB42_15
; %bb.5:                                ;   in Loop: Header=BB42_4 Depth=2
	s_or_b64 exec, exec, s[34:35]
	s_and_saveexec_b64 s[34:35], s[24:25]
	s_cbranch_execnz .LBB42_16
.LBB42_6:                               ;   in Loop: Header=BB42_4 Depth=2
	s_or_b64 exec, exec, s[34:35]
	s_and_saveexec_b64 s[34:35], s[24:25]
	s_cbranch_execnz .LBB42_17
.LBB42_7:                               ;   in Loop: Header=BB42_4 Depth=2
	s_or_b64 exec, exec, s[34:35]
	s_and_saveexec_b64 s[34:35], s[24:25]
	s_cbranch_execz .LBB42_9
.LBB42_8:                               ;   in Loop: Header=BB42_4 Depth=2
	ds_write_b32 v11, v1
.LBB42_9:                               ;   in Loop: Header=BB42_4 Depth=2
	s_or_b64 exec, exec, s[34:35]
	v_lshlrev_b32_e32 v45, s36, v13
	v_lshrrev_b32_e32 v46, 19, v45
	v_and_or_b32 v46, v46, s30, v0
	v_alignbit_b32 v45, v46, v45, 31
	v_lshlrev_b32_e32 v46, 1, v45
	ds_read_u16 v45, v46
	v_lshlrev_b32_e32 v47, s36, v14
	v_lshrrev_b32_e32 v48, 19, v47
	v_and_or_b32 v48, v48, s30, v0
	v_alignbit_b32 v47, v48, v47, 31
	s_waitcnt lgkmcnt(0)
	v_add_u16_e32 v48, 1, v45
	ds_write_b16 v46, v48
	v_lshlrev_b32_e32 v49, 1, v47
	ds_read_u16 v47, v49
	v_lshlrev_b32_e32 v48, s36, v15
	v_lshrrev_b32_e32 v50, 19, v48
	v_and_or_b32 v50, v50, s30, v0
	v_alignbit_b32 v48, v50, v48, 31
	s_waitcnt lgkmcnt(0)
	v_add_u16_e32 v51, 1, v47
	ds_write_b16 v49, v51
	;; [unrolled: 9-line block ×3, first 2 shown]
	v_lshlrev_b32_e32 v53, 1, v50
	ds_read_u16 v50, v53
	v_lshlrev_b32_e32 v52, s36, v17
	s_waitcnt lgkmcnt(0)
	v_add_u16_e32 v54, 1, v50
	ds_write_b16 v53, v54
	v_lshrrev_b32_e32 v54, 19, v52
	v_and_or_b32 v54, v54, s30, v0
	v_alignbit_b32 v52, v54, v52, 31
	v_lshlrev_b32_e32 v56, 1, v52
	ds_read_u16 v52, v56
	s_waitcnt lgkmcnt(0)
	v_add_u16_e32 v54, 1, v52
	ds_write_b16 v56, v54
	v_lshlrev_b32_e32 v54, s36, v18
	v_lshrrev_b32_e32 v55, 19, v54
	v_and_or_b32 v55, v55, s30, v0
	v_alignbit_b32 v54, v55, v54, 31
	v_lshlrev_b32_e32 v58, 1, v54
	ds_read_u16 v54, v58
	s_waitcnt lgkmcnt(0)
	v_add_u16_e32 v55, 1, v54
	ds_write_b16 v58, v55
	v_lshlrev_b32_e32 v55, s36, v19
	;; [unrolled: 9-line block ×27, first 2 shown]
	v_lshrrev_b32_e32 v108, 19, v100
	v_and_or_b32 v108, v108, s30, v0
	v_alignbit_b32 v100, v108, v100, 31
	v_lshlrev_b32_e32 v108, 1, v100
	ds_read_u16 v100, v108
	s_waitcnt lgkmcnt(0)
	v_add_u16_e32 v109, 1, v100
	ds_write_b16 v108, v109
	s_waitcnt lgkmcnt(0)
	s_barrier
	ds_read2_b32 v[110:111], v2 offset1:1
	ds_read2_b32 v[112:113], v2 offset0:2 offset1:3
	ds_read2_b32 v[114:115], v2 offset0:4 offset1:5
	;; [unrolled: 1-line block ×3, first 2 shown]
	s_waitcnt lgkmcnt(3)
	v_add_u32_e32 v109, v111, v110
	s_waitcnt lgkmcnt(2)
	v_add3_u32 v109, v109, v112, v113
	s_waitcnt lgkmcnt(1)
	v_add3_u32 v109, v109, v114, v115
	;; [unrolled: 2-line block ×3, first 2 shown]
	s_nop 1
	v_mov_b32_dpp v110, v109 row_shr:1 row_mask:0xf bank_mask:0xf
	v_cndmask_b32_e64 v110, v110, 0, s[8:9]
	v_add_u32_e32 v109, v110, v109
	s_nop 1
	v_mov_b32_dpp v110, v109 row_shr:2 row_mask:0xf bank_mask:0xf
	v_cndmask_b32_e64 v110, 0, v110, s[10:11]
	v_add_u32_e32 v109, v109, v110
	;; [unrolled: 4-line block ×4, first 2 shown]
	s_nop 1
	v_mov_b32_dpp v110, v109 row_bcast:15 row_mask:0xf bank_mask:0xf
	v_cndmask_b32_e64 v110, v110, 0, s[16:17]
	v_add_u32_e32 v109, v109, v110
	s_nop 1
	v_mov_b32_dpp v110, v109 row_bcast:31 row_mask:0xf bank_mask:0xf
	v_cndmask_b32_e64 v110, 0, v110, s[2:3]
	v_add_u32_e32 v109, v109, v110
	s_and_saveexec_b64 s[34:35], s[4:5]
	s_cbranch_execz .LBB42_11
; %bb.10:                               ;   in Loop: Header=BB42_4 Depth=2
	ds_write_b32 v4, v109 offset:16384
.LBB42_11:                              ;   in Loop: Header=BB42_4 Depth=2
	s_or_b64 exec, exec, s[34:35]
	s_waitcnt lgkmcnt(0)
	s_barrier
	s_and_saveexec_b64 s[34:35], vcc
	s_cbranch_execz .LBB42_13
; %bb.12:                               ;   in Loop: Header=BB42_4 Depth=2
	ds_read_b32 v110, v3 offset:16384
	s_waitcnt lgkmcnt(0)
	s_nop 0
	v_mov_b32_dpp v111, v110 row_shr:1 row_mask:0xf bank_mask:0xf
	v_cndmask_b32_e64 v111, v111, 0, s[18:19]
	v_add_u32_e32 v110, v111, v110
	s_nop 1
	v_mov_b32_dpp v111, v110 row_shr:2 row_mask:0xf bank_mask:0xf
	v_cndmask_b32_e64 v111, 0, v111, s[20:21]
	v_add_u32_e32 v110, v110, v111
	;; [unrolled: 4-line block ×3, first 2 shown]
	ds_write_b32 v3, v110 offset:16384
.LBB42_13:                              ;   in Loop: Header=BB42_4 Depth=2
	s_or_b64 exec, exec, s[34:35]
	v_mov_b32_e32 v110, 0
	s_waitcnt lgkmcnt(0)
	s_barrier
	s_and_saveexec_b64 s[34:35], s[0:1]
	s_cbranch_execz .LBB42_3
; %bb.14:                               ;   in Loop: Header=BB42_4 Depth=2
	ds_read_b32 v110, v4 offset:16380
	s_branch .LBB42_3
.LBB42_15:                              ;   in Loop: Header=BB42_4 Depth=2
	ds_write_b32 v8, v1
	s_or_b64 exec, exec, s[34:35]
	s_and_saveexec_b64 s[34:35], s[24:25]
	s_cbranch_execz .LBB42_6
.LBB42_16:                              ;   in Loop: Header=BB42_4 Depth=2
	ds_write_b32 v9, v1
	s_or_b64 exec, exec, s[34:35]
	s_and_saveexec_b64 s[34:35], s[24:25]
	s_cbranch_execz .LBB42_7
.LBB42_17:                              ;   in Loop: Header=BB42_4 Depth=2
	ds_write_b32 v10, v1
	s_or_b64 exec, exec, s[34:35]
	s_and_saveexec_b64 s[34:35], s[24:25]
	s_cbranch_execnz .LBB42_8
	s_branch .LBB42_9
.LBB42_18:
	ds_read_u16 v0, v108
	ds_read_u16 v1, v107
	;; [unrolled: 1-line block ×32, first 2 shown]
	s_add_u32 s0, s26, s28
	s_waitcnt lgkmcnt(8)
	v_add_u32_sdwa v4, v4, v45 dst_sel:DWORD dst_unused:UNUSED_PAD src0_sel:DWORD src1_sel:WORD_0
	v_add_u32_sdwa v5, v5, v47 dst_sel:DWORD dst_unused:UNUSED_PAD src0_sel:DWORD src1_sel:WORD_0
	;; [unrolled: 1-line block ×5, first 2 shown]
	s_addc_u32 s1, s27, s29
	v_lshlrev_b32_e32 v0, 2, v2
	v_add_u32_sdwa v8, v8, v52 dst_sel:DWORD dst_unused:UNUSED_PAD src0_sel:DWORD src1_sel:WORD_0
	v_add_u32_sdwa v9, v9, v54 dst_sel:DWORD dst_unused:UNUSED_PAD src0_sel:DWORD src1_sel:WORD_0
	;; [unrolled: 1-line block ×4, first 2 shown]
	s_waitcnt lgkmcnt(0)
	v_add_u32_sdwa v12, v12, v59 dst_sel:DWORD dst_unused:UNUSED_PAD src0_sel:DWORD src1_sel:WORD_0
	v_add_u32_sdwa v13, v13, v61 dst_sel:DWORD dst_unused:UNUSED_PAD src0_sel:DWORD src1_sel:WORD_0
	;; [unrolled: 1-line block ×23, first 2 shown]
	global_store_dwordx4 v0, v[4:7], s[0:1]
	global_store_dwordx4 v0, v[8:11], s[0:1] offset:16
	global_store_dwordx4 v0, v[12:15], s[0:1] offset:32
	;; [unrolled: 1-line block ×7, first 2 shown]
	s_endpgm
	.section	.rodata,"a",@progbits
	.p2align	6, 0x0
	.amdhsa_kernel _Z11rank_kernelIiLj4ELb0EL18RadixRankAlgorithm0ELj512ELj32ELj10EEvPKT_Pi
		.amdhsa_group_segment_fixed_size 16416
		.amdhsa_private_segment_fixed_size 0
		.amdhsa_kernarg_size 16
		.amdhsa_user_sgpr_count 6
		.amdhsa_user_sgpr_private_segment_buffer 1
		.amdhsa_user_sgpr_dispatch_ptr 0
		.amdhsa_user_sgpr_queue_ptr 0
		.amdhsa_user_sgpr_kernarg_segment_ptr 1
		.amdhsa_user_sgpr_dispatch_id 0
		.amdhsa_user_sgpr_flat_scratch_init 0
		.amdhsa_user_sgpr_kernarg_preload_length 0
		.amdhsa_user_sgpr_kernarg_preload_offset 0
		.amdhsa_user_sgpr_private_segment_size 0
		.amdhsa_uses_dynamic_stack 0
		.amdhsa_system_sgpr_private_segment_wavefront_offset 0
		.amdhsa_system_sgpr_workgroup_id_x 1
		.amdhsa_system_sgpr_workgroup_id_y 0
		.amdhsa_system_sgpr_workgroup_id_z 0
		.amdhsa_system_sgpr_workgroup_info 0
		.amdhsa_system_vgpr_workitem_id 0
		.amdhsa_next_free_vgpr 118
		.amdhsa_next_free_sgpr 37
		.amdhsa_accum_offset 120
		.amdhsa_reserve_vcc 1
		.amdhsa_reserve_flat_scratch 0
		.amdhsa_float_round_mode_32 0
		.amdhsa_float_round_mode_16_64 0
		.amdhsa_float_denorm_mode_32 3
		.amdhsa_float_denorm_mode_16_64 3
		.amdhsa_dx10_clamp 1
		.amdhsa_ieee_mode 1
		.amdhsa_fp16_overflow 0
		.amdhsa_tg_split 0
		.amdhsa_exception_fp_ieee_invalid_op 0
		.amdhsa_exception_fp_denorm_src 0
		.amdhsa_exception_fp_ieee_div_zero 0
		.amdhsa_exception_fp_ieee_overflow 0
		.amdhsa_exception_fp_ieee_underflow 0
		.amdhsa_exception_fp_ieee_inexact 0
		.amdhsa_exception_int_div_zero 0
	.end_amdhsa_kernel
	.section	.text._Z11rank_kernelIiLj4ELb0EL18RadixRankAlgorithm0ELj512ELj32ELj10EEvPKT_Pi,"axG",@progbits,_Z11rank_kernelIiLj4ELb0EL18RadixRankAlgorithm0ELj512ELj32ELj10EEvPKT_Pi,comdat
.Lfunc_end42:
	.size	_Z11rank_kernelIiLj4ELb0EL18RadixRankAlgorithm0ELj512ELj32ELj10EEvPKT_Pi, .Lfunc_end42-_Z11rank_kernelIiLj4ELb0EL18RadixRankAlgorithm0ELj512ELj32ELj10EEvPKT_Pi
                                        ; -- End function
	.section	.AMDGPU.csdata,"",@progbits
; Kernel info:
; codeLenInByte = 3652
; NumSgprs: 41
; NumVgprs: 118
; NumAgprs: 0
; TotalNumVgprs: 118
; ScratchSize: 0
; MemoryBound: 0
; FloatMode: 240
; IeeeMode: 1
; LDSByteSize: 16416 bytes/workgroup (compile time only)
; SGPRBlocks: 5
; VGPRBlocks: 14
; NumSGPRsForWavesPerEU: 41
; NumVGPRsForWavesPerEU: 118
; AccumOffset: 120
; Occupancy: 4
; WaveLimiterHint : 0
; COMPUTE_PGM_RSRC2:SCRATCH_EN: 0
; COMPUTE_PGM_RSRC2:USER_SGPR: 6
; COMPUTE_PGM_RSRC2:TRAP_HANDLER: 0
; COMPUTE_PGM_RSRC2:TGID_X_EN: 1
; COMPUTE_PGM_RSRC2:TGID_Y_EN: 0
; COMPUTE_PGM_RSRC2:TGID_Z_EN: 0
; COMPUTE_PGM_RSRC2:TIDIG_COMP_CNT: 0
; COMPUTE_PGM_RSRC3_GFX90A:ACCUM_OFFSET: 29
; COMPUTE_PGM_RSRC3_GFX90A:TG_SPLIT: 0
	.section	.text._Z11rank_kernelIiLj4ELb0EL18RadixRankAlgorithm1ELj512ELj32ELj10EEvPKT_Pi,"axG",@progbits,_Z11rank_kernelIiLj4ELb0EL18RadixRankAlgorithm1ELj512ELj32ELj10EEvPKT_Pi,comdat
	.protected	_Z11rank_kernelIiLj4ELb0EL18RadixRankAlgorithm1ELj512ELj32ELj10EEvPKT_Pi ; -- Begin function _Z11rank_kernelIiLj4ELb0EL18RadixRankAlgorithm1ELj512ELj32ELj10EEvPKT_Pi
	.globl	_Z11rank_kernelIiLj4ELb0EL18RadixRankAlgorithm1ELj512ELj32ELj10EEvPKT_Pi
	.p2align	8
	.type	_Z11rank_kernelIiLj4ELb0EL18RadixRankAlgorithm1ELj512ELj32ELj10EEvPKT_Pi,@function
_Z11rank_kernelIiLj4ELb0EL18RadixRankAlgorithm1ELj512ELj32ELj10EEvPKT_Pi: ; @_Z11rank_kernelIiLj4ELb0EL18RadixRankAlgorithm1ELj512ELj32ELj10EEvPKT_Pi
; %bb.0:
	s_load_dwordx4 s[24:27], s[4:5], 0x0
	s_lshl_b32 s30, s6, 14
	s_mov_b32 s31, 0
	s_lshl_b64 s[28:29], s[30:31], 2
	v_lshlrev_b32_e32 v1, 7, v0
	s_waitcnt lgkmcnt(0)
	s_add_u32 s0, s24, s28
	s_addc_u32 s1, s25, s29
	global_load_dwordx4 v[4:7], v1, s[0:1]
	global_load_dwordx4 v[8:11], v1, s[0:1] offset:16
	global_load_dwordx4 v[30:33], v1, s[0:1] offset:32
	;; [unrolled: 1-line block ×7, first 2 shown]
	v_mbcnt_lo_u32_b32 v3, -1, 0
	v_mbcnt_hi_u32_b32 v20, -1, v3
	v_add_u32_e32 v23, -1, v20
	v_and_b32_e32 v24, 64, v20
	v_cmp_lt_i32_e64 s[18:19], v23, v24
	v_or_b32_e32 v12, 63, v0
	v_lshrrev_b32_e32 v13, 4, v0
	v_lshlrev_b32_e32 v3, 2, v0
	v_and_b32_e32 v21, 15, v20
	v_and_b32_e32 v22, 16, v20
	v_cmp_lt_u32_e64 s[2:3], 31, v20
	v_cmp_eq_u32_e64 s[6:7], 0, v20
	v_and_b32_e32 v25, 7, v20
	v_cndmask_b32_e64 v20, v23, v20, s[18:19]
	v_mov_b32_e32 v1, 0
	s_mov_b64 s[24:25], -1
	v_lshlrev_b32_e32 v2, 5, v0
	v_cmp_gt_u32_e32 vcc, 8, v0
	v_cmp_lt_u32_e64 s[0:1], 63, v0
	v_cmp_eq_u32_e64 s[4:5], v12, v0
	v_and_b32_e32 v12, 28, v13
	v_or_b32_e32 v13, 0x800, v3
	v_or_b32_e32 v14, 0x1000, v3
	;; [unrolled: 1-line block ×7, first 2 shown]
	v_cmp_eq_u32_e64 s[8:9], 0, v21
	v_cmp_lt_u32_e64 s[10:11], 1, v21
	v_cmp_lt_u32_e64 s[12:13], 3, v21
	;; [unrolled: 1-line block ×3, first 2 shown]
	v_cmp_eq_u32_e64 s[16:17], 0, v22
	v_cmp_eq_u32_e64 s[18:19], 0, v25
	v_cmp_lt_u32_e64 s[20:21], 1, v25
	v_cmp_lt_u32_e64 s[22:23], 3, v25
	v_lshlrev_b32_e32 v20, 2, v20
	s_movk_i32 s30, 0xe00
	s_waitcnt vmcnt(7)
	v_xor_b32_e32 v21, 0x80000000, v4
	v_xor_b32_e32 v22, 0x80000000, v5
	v_xor_b32_e32 v23, 0x80000000, v6
	v_xor_b32_e32 v24, 0x80000000, v7
	s_waitcnt vmcnt(6)
	v_xor_b32_e32 v25, 0x80000000, v8
	v_xor_b32_e32 v26, 0x80000000, v9
	v_xor_b32_e32 v27, 0x80000000, v10
	v_xor_b32_e32 v28, 0x80000000, v11
	;; [unrolled: 5-line block ×8, first 2 shown]
	s_branch .LBB43_2
.LBB43_1:                               ;   in Loop: Header=BB43_2 Depth=1
	s_add_i32 s31, s31, 1
	s_cmp_eq_u32 s31, 10
	s_cbranch_scc1 .LBB43_18
.LBB43_2:                               ; =>This Loop Header: Depth=1
                                        ;     Child Loop BB43_4 Depth 2
	s_mov_b32 s33, -4
	s_mov_b32 s36, 28
	s_branch .LBB43_4
.LBB43_3:                               ;   in Loop: Header=BB43_4 Depth=2
	s_or_b64 exec, exec, s[34:35]
	s_waitcnt lgkmcnt(0)
	v_add_u32_e32 v7, v117, v7
	ds_bpermute_b32 v7, v20, v7
	ds_read_b32 v118, v1 offset:16412
	s_add_i32 s36, s36, -4
	s_add_i32 s33, s33, 4
	s_cmp_lt_u32 s33, 28
	s_waitcnt lgkmcnt(1)
	v_cndmask_b32_e64 v7, v7, v117, s[6:7]
	s_waitcnt lgkmcnt(0)
	v_lshl_add_u32 v7, v118, 16, v7
	v_add_u32_e32 v10, v7, v10
	v_add_u32_e32 v11, v10, v11
	ds_write2_b32 v2, v7, v10 offset1:1
	v_add_u32_e32 v7, v11, v8
	v_add_u32_e32 v8, v7, v9
	;; [unrolled: 1-line block ×4, first 2 shown]
	ds_write2_b32 v2, v8, v4 offset0:4 offset1:5
	v_add_u32_e32 v4, v5, v6
	ds_write2_b32 v2, v11, v7 offset0:2 offset1:3
	ds_write2_b32 v2, v5, v4 offset0:6 offset1:7
	s_waitcnt lgkmcnt(0)
	s_barrier
	s_cbranch_scc0 .LBB43_1
.LBB43_4:                               ;   Parent Loop BB43_2 Depth=1
                                        ; =>  This Inner Loop Header: Depth=2
	ds_write_b32 v3, v1
	ds_write_b32 v13, v1
	;; [unrolled: 1-line block ×4, first 2 shown]
	s_and_saveexec_b64 s[34:35], s[24:25]
	s_cbranch_execnz .LBB43_15
; %bb.5:                                ;   in Loop: Header=BB43_4 Depth=2
	s_or_b64 exec, exec, s[34:35]
	s_and_saveexec_b64 s[34:35], s[24:25]
	s_cbranch_execnz .LBB43_16
.LBB43_6:                               ;   in Loop: Header=BB43_4 Depth=2
	s_or_b64 exec, exec, s[34:35]
	s_and_saveexec_b64 s[34:35], s[24:25]
	s_cbranch_execnz .LBB43_17
.LBB43_7:                               ;   in Loop: Header=BB43_4 Depth=2
	s_or_b64 exec, exec, s[34:35]
	s_and_saveexec_b64 s[34:35], s[24:25]
	s_cbranch_execz .LBB43_9
.LBB43_8:                               ;   in Loop: Header=BB43_4 Depth=2
	ds_write_b32 v19, v1
.LBB43_9:                               ;   in Loop: Header=BB43_4 Depth=2
	s_or_b64 exec, exec, s[34:35]
	v_lshlrev_b32_e32 v4, s36, v21
	v_lshrrev_b32_e32 v5, 19, v4
	v_and_or_b32 v5, v5, s30, v0
	v_alignbit_b32 v4, v5, v4, 31
	v_lshlrev_b32_e32 v54, 1, v4
	ds_read_u16 v53, v54
	v_lshlrev_b32_e32 v4, s36, v22
	v_lshrrev_b32_e32 v5, 19, v4
	v_and_or_b32 v5, v5, s30, v0
	v_alignbit_b32 v4, v5, v4, 31
	s_waitcnt lgkmcnt(0)
	v_add_u16_e32 v5, 1, v53
	ds_write_b16 v54, v5
	v_lshlrev_b32_e32 v57, 1, v4
	ds_read_u16 v55, v57
	v_lshlrev_b32_e32 v4, s36, v23
	v_lshrrev_b32_e32 v5, 19, v4
	v_and_or_b32 v5, v5, s30, v0
	v_alignbit_b32 v4, v5, v4, 31
	s_waitcnt lgkmcnt(0)
	v_add_u16_e32 v6, 1, v55
	ds_write_b16 v57, v6
	;; [unrolled: 9-line block ×3, first 2 shown]
	v_lshlrev_b32_e32 v61, 1, v4
	ds_read_u16 v58, v61
	v_lshlrev_b32_e32 v4, s36, v25
	s_waitcnt lgkmcnt(0)
	v_add_u16_e32 v5, 1, v58
	ds_write_b16 v61, v5
	v_lshrrev_b32_e32 v5, 19, v4
	v_and_or_b32 v5, v5, s30, v0
	v_alignbit_b32 v4, v5, v4, 31
	v_lshlrev_b32_e32 v64, 1, v4
	ds_read_u16 v60, v64
	s_waitcnt lgkmcnt(0)
	v_add_u16_e32 v4, 1, v60
	ds_write_b16 v64, v4
	v_lshlrev_b32_e32 v4, s36, v26
	v_lshrrev_b32_e32 v5, 19, v4
	v_and_or_b32 v5, v5, s30, v0
	v_alignbit_b32 v4, v5, v4, 31
	v_lshlrev_b32_e32 v66, 1, v4
	ds_read_u16 v62, v66
	s_waitcnt lgkmcnt(0)
	v_add_u16_e32 v4, 1, v62
	ds_write_b16 v66, v4
	v_lshlrev_b32_e32 v4, s36, v27
	;; [unrolled: 9-line block ×27, first 2 shown]
	v_lshrrev_b32_e32 v5, 19, v4
	v_and_or_b32 v5, v5, s30, v0
	v_alignbit_b32 v4, v5, v4, 31
	v_lshlrev_b32_e32 v116, 1, v4
	ds_read_u16 v108, v116
	s_waitcnt lgkmcnt(0)
	v_add_u16_e32 v4, 1, v108
	ds_write_b16 v116, v4
	s_waitcnt lgkmcnt(0)
	s_barrier
	ds_read2_b32 v[10:11], v2 offset1:1
	ds_read2_b32 v[8:9], v2 offset0:2 offset1:3
	ds_read2_b32 v[4:5], v2 offset0:4 offset1:5
	ds_read2_b32 v[6:7], v2 offset0:6 offset1:7
	s_waitcnt lgkmcnt(3)
	v_add_u32_e32 v117, v11, v10
	s_waitcnt lgkmcnt(2)
	v_add3_u32 v117, v117, v8, v9
	s_waitcnt lgkmcnt(1)
	v_add3_u32 v117, v117, v4, v5
	;; [unrolled: 2-line block ×3, first 2 shown]
	s_nop 1
	v_mov_b32_dpp v117, v7 row_shr:1 row_mask:0xf bank_mask:0xf
	v_cndmask_b32_e64 v117, v117, 0, s[8:9]
	v_add_u32_e32 v7, v117, v7
	s_nop 1
	v_mov_b32_dpp v117, v7 row_shr:2 row_mask:0xf bank_mask:0xf
	v_cndmask_b32_e64 v117, 0, v117, s[10:11]
	v_add_u32_e32 v7, v7, v117
	;; [unrolled: 4-line block ×4, first 2 shown]
	s_nop 1
	v_mov_b32_dpp v117, v7 row_bcast:15 row_mask:0xf bank_mask:0xf
	v_cndmask_b32_e64 v117, v117, 0, s[16:17]
	v_add_u32_e32 v7, v7, v117
	s_nop 1
	v_mov_b32_dpp v117, v7 row_bcast:31 row_mask:0xf bank_mask:0xf
	v_cndmask_b32_e64 v117, 0, v117, s[2:3]
	v_add_u32_e32 v7, v7, v117
	s_and_saveexec_b64 s[34:35], s[4:5]
	s_cbranch_execz .LBB43_11
; %bb.10:                               ;   in Loop: Header=BB43_4 Depth=2
	ds_write_b32 v12, v7 offset:16384
.LBB43_11:                              ;   in Loop: Header=BB43_4 Depth=2
	s_or_b64 exec, exec, s[34:35]
	s_waitcnt lgkmcnt(0)
	s_barrier
	s_and_saveexec_b64 s[34:35], vcc
	s_cbranch_execz .LBB43_13
; %bb.12:                               ;   in Loop: Header=BB43_4 Depth=2
	ds_read_b32 v117, v3 offset:16384
	s_waitcnt lgkmcnt(0)
	s_nop 0
	v_mov_b32_dpp v118, v117 row_shr:1 row_mask:0xf bank_mask:0xf
	v_cndmask_b32_e64 v118, v118, 0, s[18:19]
	v_add_u32_e32 v117, v118, v117
	s_nop 1
	v_mov_b32_dpp v118, v117 row_shr:2 row_mask:0xf bank_mask:0xf
	v_cndmask_b32_e64 v118, 0, v118, s[20:21]
	v_add_u32_e32 v117, v117, v118
	s_nop 1
	v_mov_b32_dpp v118, v117 row_shr:4 row_mask:0xf bank_mask:0xf
	v_cndmask_b32_e64 v118, 0, v118, s[22:23]
	v_add_u32_e32 v117, v117, v118
	ds_write_b32 v3, v117 offset:16384
.LBB43_13:                              ;   in Loop: Header=BB43_4 Depth=2
	s_or_b64 exec, exec, s[34:35]
	v_mov_b32_e32 v117, 0
	s_waitcnt lgkmcnt(0)
	s_barrier
	s_and_saveexec_b64 s[34:35], s[0:1]
	s_cbranch_execz .LBB43_3
; %bb.14:                               ;   in Loop: Header=BB43_4 Depth=2
	ds_read_b32 v117, v12 offset:16380
	s_branch .LBB43_3
.LBB43_15:                              ;   in Loop: Header=BB43_4 Depth=2
	ds_write_b32 v16, v1
	s_or_b64 exec, exec, s[34:35]
	s_and_saveexec_b64 s[34:35], s[24:25]
	s_cbranch_execz .LBB43_6
.LBB43_16:                              ;   in Loop: Header=BB43_4 Depth=2
	ds_write_b32 v17, v1
	s_or_b64 exec, exec, s[34:35]
	s_and_saveexec_b64 s[34:35], s[24:25]
	s_cbranch_execz .LBB43_7
.LBB43_17:                              ;   in Loop: Header=BB43_4 Depth=2
	ds_write_b32 v18, v1
	s_or_b64 exec, exec, s[34:35]
	s_and_saveexec_b64 s[34:35], s[24:25]
	s_cbranch_execnz .LBB43_8
	s_branch .LBB43_9
.LBB43_18:
	ds_read_u16 v0, v116
	ds_read_u16 v1, v115
	;; [unrolled: 1-line block ×32, first 2 shown]
	s_add_u32 s0, s26, s28
	s_waitcnt lgkmcnt(8)
	v_add_u32_sdwa v4, v4, v53 dst_sel:DWORD dst_unused:UNUSED_PAD src0_sel:DWORD src1_sel:WORD_0
	v_add_u32_sdwa v5, v5, v55 dst_sel:DWORD dst_unused:UNUSED_PAD src0_sel:DWORD src1_sel:WORD_0
	;; [unrolled: 1-line block ×5, first 2 shown]
	s_addc_u32 s1, s27, s29
	v_lshlrev_b32_e32 v0, 2, v2
	v_add_u32_sdwa v8, v8, v60 dst_sel:DWORD dst_unused:UNUSED_PAD src0_sel:DWORD src1_sel:WORD_0
	v_add_u32_sdwa v9, v9, v62 dst_sel:DWORD dst_unused:UNUSED_PAD src0_sel:DWORD src1_sel:WORD_0
	;; [unrolled: 1-line block ×4, first 2 shown]
	s_waitcnt lgkmcnt(0)
	v_add_u32_sdwa v12, v12, v67 dst_sel:DWORD dst_unused:UNUSED_PAD src0_sel:DWORD src1_sel:WORD_0
	v_add_u32_sdwa v13, v13, v69 dst_sel:DWORD dst_unused:UNUSED_PAD src0_sel:DWORD src1_sel:WORD_0
	;; [unrolled: 1-line block ×23, first 2 shown]
	global_store_dwordx4 v0, v[4:7], s[0:1]
	global_store_dwordx4 v0, v[8:11], s[0:1] offset:16
	global_store_dwordx4 v0, v[12:15], s[0:1] offset:32
	;; [unrolled: 1-line block ×7, first 2 shown]
	s_endpgm
	.section	.rodata,"a",@progbits
	.p2align	6, 0x0
	.amdhsa_kernel _Z11rank_kernelIiLj4ELb0EL18RadixRankAlgorithm1ELj512ELj32ELj10EEvPKT_Pi
		.amdhsa_group_segment_fixed_size 16416
		.amdhsa_private_segment_fixed_size 0
		.amdhsa_kernarg_size 16
		.amdhsa_user_sgpr_count 6
		.amdhsa_user_sgpr_private_segment_buffer 1
		.amdhsa_user_sgpr_dispatch_ptr 0
		.amdhsa_user_sgpr_queue_ptr 0
		.amdhsa_user_sgpr_kernarg_segment_ptr 1
		.amdhsa_user_sgpr_dispatch_id 0
		.amdhsa_user_sgpr_flat_scratch_init 0
		.amdhsa_user_sgpr_kernarg_preload_length 0
		.amdhsa_user_sgpr_kernarg_preload_offset 0
		.amdhsa_user_sgpr_private_segment_size 0
		.amdhsa_uses_dynamic_stack 0
		.amdhsa_system_sgpr_private_segment_wavefront_offset 0
		.amdhsa_system_sgpr_workgroup_id_x 1
		.amdhsa_system_sgpr_workgroup_id_y 0
		.amdhsa_system_sgpr_workgroup_id_z 0
		.amdhsa_system_sgpr_workgroup_info 0
		.amdhsa_system_vgpr_workitem_id 0
		.amdhsa_next_free_vgpr 119
		.amdhsa_next_free_sgpr 37
		.amdhsa_accum_offset 120
		.amdhsa_reserve_vcc 1
		.amdhsa_reserve_flat_scratch 0
		.amdhsa_float_round_mode_32 0
		.amdhsa_float_round_mode_16_64 0
		.amdhsa_float_denorm_mode_32 3
		.amdhsa_float_denorm_mode_16_64 3
		.amdhsa_dx10_clamp 1
		.amdhsa_ieee_mode 1
		.amdhsa_fp16_overflow 0
		.amdhsa_tg_split 0
		.amdhsa_exception_fp_ieee_invalid_op 0
		.amdhsa_exception_fp_denorm_src 0
		.amdhsa_exception_fp_ieee_div_zero 0
		.amdhsa_exception_fp_ieee_overflow 0
		.amdhsa_exception_fp_ieee_underflow 0
		.amdhsa_exception_fp_ieee_inexact 0
		.amdhsa_exception_int_div_zero 0
	.end_amdhsa_kernel
	.section	.text._Z11rank_kernelIiLj4ELb0EL18RadixRankAlgorithm1ELj512ELj32ELj10EEvPKT_Pi,"axG",@progbits,_Z11rank_kernelIiLj4ELb0EL18RadixRankAlgorithm1ELj512ELj32ELj10EEvPKT_Pi,comdat
.Lfunc_end43:
	.size	_Z11rank_kernelIiLj4ELb0EL18RadixRankAlgorithm1ELj512ELj32ELj10EEvPKT_Pi, .Lfunc_end43-_Z11rank_kernelIiLj4ELb0EL18RadixRankAlgorithm1ELj512ELj32ELj10EEvPKT_Pi
                                        ; -- End function
	.section	.AMDGPU.csdata,"",@progbits
; Kernel info:
; codeLenInByte = 3604
; NumSgprs: 41
; NumVgprs: 119
; NumAgprs: 0
; TotalNumVgprs: 119
; ScratchSize: 0
; MemoryBound: 0
; FloatMode: 240
; IeeeMode: 1
; LDSByteSize: 16416 bytes/workgroup (compile time only)
; SGPRBlocks: 5
; VGPRBlocks: 14
; NumSGPRsForWavesPerEU: 41
; NumVGPRsForWavesPerEU: 119
; AccumOffset: 120
; Occupancy: 4
; WaveLimiterHint : 0
; COMPUTE_PGM_RSRC2:SCRATCH_EN: 0
; COMPUTE_PGM_RSRC2:USER_SGPR: 6
; COMPUTE_PGM_RSRC2:TRAP_HANDLER: 0
; COMPUTE_PGM_RSRC2:TGID_X_EN: 1
; COMPUTE_PGM_RSRC2:TGID_Y_EN: 0
; COMPUTE_PGM_RSRC2:TGID_Z_EN: 0
; COMPUTE_PGM_RSRC2:TIDIG_COMP_CNT: 0
; COMPUTE_PGM_RSRC3_GFX90A:ACCUM_OFFSET: 29
; COMPUTE_PGM_RSRC3_GFX90A:TG_SPLIT: 0
	.section	.text._Z11rank_kernelIiLj4ELb0EL18RadixRankAlgorithm2ELj512ELj32ELj10EEvPKT_Pi,"axG",@progbits,_Z11rank_kernelIiLj4ELb0EL18RadixRankAlgorithm2ELj512ELj32ELj10EEvPKT_Pi,comdat
	.protected	_Z11rank_kernelIiLj4ELb0EL18RadixRankAlgorithm2ELj512ELj32ELj10EEvPKT_Pi ; -- Begin function _Z11rank_kernelIiLj4ELb0EL18RadixRankAlgorithm2ELj512ELj32ELj10EEvPKT_Pi
	.globl	_Z11rank_kernelIiLj4ELb0EL18RadixRankAlgorithm2ELj512ELj32ELj10EEvPKT_Pi
	.p2align	8
	.type	_Z11rank_kernelIiLj4ELb0EL18RadixRankAlgorithm2ELj512ELj32ELj10EEvPKT_Pi,@function
_Z11rank_kernelIiLj4ELb0EL18RadixRankAlgorithm2ELj512ELj32ELj10EEvPKT_Pi: ; @_Z11rank_kernelIiLj4ELb0EL18RadixRankAlgorithm2ELj512ELj32ELj10EEvPKT_Pi
; %bb.0:
	s_load_dwordx4 s[28:31], s[4:5], 0x0
	s_load_dword s24, s[4:5], 0x1c
	s_lshl_b32 s36, s6, 14
	s_mov_b32 s37, 0
	s_lshl_b64 s[34:35], s[36:37], 2
	s_waitcnt lgkmcnt(0)
	s_add_u32 s0, s28, s34
	v_and_b32_e32 v4, 0x3ff, v0
	s_addc_u32 s1, s29, s35
	v_lshlrev_b32_e32 v1, 7, v4
	global_load_dwordx4 v[10:13], v1, s[0:1]
	global_load_dwordx4 v[14:17], v1, s[0:1] offset:16
	global_load_dwordx4 v[18:21], v1, s[0:1] offset:32
	;; [unrolled: 1-line block ×7, first 2 shown]
	v_mbcnt_lo_u32_b32 v1, -1, 0
	v_mbcnt_hi_u32_b32 v6, -1, v1
	v_bfe_u32 v3, v0, 10, 10
	v_bfe_u32 v5, v0, 20, 10
	v_add_u32_e32 v38, -1, v6
	v_and_b32_e32 v39, 64, v6
	s_lshr_b32 s25, s24, 16
	v_and_b32_e32 v7, 15, v6
	v_or_b32_e32 v9, 63, v4
	v_lshrrev_b32_e32 v44, 4, v4
	v_cmp_lt_i32_e64 s[18:19], v38, v39
	s_and_b32 s24, s24, 0xffff
	v_mad_u32_u24 v3, v5, s25, v3
	v_lshlrev_b32_e32 v0, 5, v4
	v_lshlrev_b32_e32 v1, 2, v4
	v_and_b32_e32 v8, 16, v6
	v_cmp_lt_u32_e32 vcc, 31, v6
	v_cmp_gt_u32_e64 s[0:1], 8, v4
	v_cmp_lt_u32_e64 s[2:3], 63, v4
	v_cmp_eq_u32_e64 s[4:5], 0, v6
	v_and_b32_e32 v45, 7, v6
	v_cmp_eq_u32_e64 s[6:7], 0, v7
	v_cmp_lt_u32_e64 s[8:9], 1, v7
	v_cmp_lt_u32_e64 s[10:11], 3, v7
	;; [unrolled: 1-line block ×3, first 2 shown]
	v_cmp_eq_u32_e64 s[16:17], v9, v4
	v_cndmask_b32_e64 v6, v38, v6, s[18:19]
	v_and_b32_e32 v7, 28, v44
	v_mad_u64_u32 v[4:5], s[24:25], v3, s24, v[4:5]
	v_mov_b32_e32 v2, 0
	v_cmp_eq_u32_e64 s[14:15], 0, v8
	v_cmp_eq_u32_e64 s[18:19], 0, v45
	v_cmp_lt_u32_e64 s[20:21], 1, v45
	v_cmp_lt_u32_e64 s[22:23], 3, v45
	v_lshlrev_b32_e32 v8, 2, v6
	v_lshrrev_b32_e32 v9, 6, v4
	s_waitcnt vmcnt(7)
	v_xor_b32_e32 v10, 0x80000000, v10
	v_xor_b32_e32 v11, 0x80000000, v11
	v_xor_b32_e32 v12, 0x80000000, v12
	v_xor_b32_e32 v13, 0x80000000, v13
	s_waitcnt vmcnt(6)
	v_xor_b32_e32 v14, 0x80000000, v14
	v_xor_b32_e32 v15, 0x80000000, v15
	v_xor_b32_e32 v16, 0x80000000, v16
	v_xor_b32_e32 v17, 0x80000000, v17
	;; [unrolled: 5-line block ×8, first 2 shown]
	v_add_u32_e32 v43, -4, v7
	s_branch .LBB44_2
.LBB44_1:                               ;   in Loop: Header=BB44_2 Depth=1
	s_add_i32 s37, s37, 1
	s_cmp_eq_u32 s37, 10
	s_cbranch_scc1 .LBB44_74
.LBB44_2:                               ; =>This Loop Header: Depth=1
                                        ;     Child Loop BB44_4 Depth 2
	s_mov_b32 s28, -4
	s_mov_b32 s29, 28
	s_branch .LBB44_4
.LBB44_3:                               ;   in Loop: Header=BB44_4 Depth=2
	s_or_b64 exec, exec, s[24:25]
	s_waitcnt lgkmcnt(0)
	v_add_u32_e32 v4, v5, v4
	ds_bpermute_b32 v4, v8, v4
	s_add_i32 s29, s29, -4
	s_add_i32 s28, s28, 4
	s_cmp_lt_u32 s28, 28
	s_waitcnt lgkmcnt(0)
	v_cndmask_b32_e64 v4, v4, v5, s[4:5]
	ds_write_b32 v1, v4 offset:32
	s_waitcnt lgkmcnt(0)
	s_barrier
	s_cbranch_scc0 .LBB44_1
.LBB44_4:                               ;   Parent Loop BB44_2 Depth=1
                                        ; =>  This Inner Loop Header: Depth=2
	v_lshlrev_b32_e32 v4, s29, v10
	v_lshrrev_b32_e32 v5, 28, v4
	v_mad_u32_u24 v3, v5, 9, v9
	v_lshl_add_u32 v6, v3, 2, 32
	v_bfe_u32 v3, v4, 28, 1
	v_add_co_u32_e64 v38, s[24:25], -1, v3
	v_addc_co_u32_e64 v44, s[24:25], 0, -1, s[24:25]
	v_cmp_ne_u32_e64 s[24:25], 0, v3
	v_xor_b32_e32 v3, s25, v44
	v_and_b32_e32 v44, exec_hi, v3
	v_lshlrev_b32_e32 v3, 30, v5
	v_xor_b32_e32 v38, s24, v38
	v_cmp_gt_i64_e64 s[24:25], 0, v[2:3]
	v_not_b32_e32 v3, v3
	v_ashrrev_i32_e32 v3, 31, v3
	v_and_b32_e32 v38, exec_lo, v38
	v_xor_b32_e32 v45, s25, v3
	v_xor_b32_e32 v3, s24, v3
	v_and_b32_e32 v38, v38, v3
	v_lshlrev_b32_e32 v3, 29, v5
	v_cmp_gt_i64_e64 s[24:25], 0, v[2:3]
	v_not_b32_e32 v3, v3
	v_ashrrev_i32_e32 v3, 31, v3
	v_xor_b32_e32 v5, s25, v3
	v_xor_b32_e32 v3, s24, v3
	v_and_b32_e32 v38, v38, v3
	v_and_b32_e32 v3, 0xf0000000, v4
	v_cmp_gt_i64_e64 s[24:25], 0, v[2:3]
	v_not_b32_e32 v3, v3
	v_and_b32_e32 v44, v44, v45
	v_ashrrev_i32_e32 v3, 31, v3
	v_and_b32_e32 v5, v44, v5
	v_xor_b32_e32 v4, s25, v3
	v_xor_b32_e32 v3, s24, v3
	v_and_b32_e32 v5, v5, v4
	v_and_b32_e32 v4, v38, v3
	v_mbcnt_lo_u32_b32 v3, v4, 0
	v_mbcnt_hi_u32_b32 v38, v5, v3
	v_cmp_eq_u32_e64 s[24:25], 0, v38
	v_cmp_ne_u64_e64 s[26:27], 0, v[4:5]
	s_and_b64 s[26:27], s[24:25], s[26:27]
	ds_write_b32 v1, v2 offset:32
	s_waitcnt lgkmcnt(0)
	s_barrier
	s_waitcnt lgkmcnt(0)
	; wave barrier
	s_and_saveexec_b64 s[24:25], s[26:27]
	s_cbranch_execz .LBB44_6
; %bb.5:                                ;   in Loop: Header=BB44_4 Depth=2
	v_bcnt_u32_b32 v3, v4, 0
	v_bcnt_u32_b32 v3, v5, v3
	ds_write_b32 v6, v3
.LBB44_6:                               ;   in Loop: Header=BB44_4 Depth=2
	s_or_b64 exec, exec, s[24:25]
	v_lshlrev_b32_e32 v4, s29, v11
	v_lshrrev_b32_e32 v5, 28, v4
	v_mul_u32_u24_e32 v3, 9, v5
	v_add_lshl_u32 v3, v3, v9, 2
	; wave barrier
	v_add_u32_e32 v45, 32, v3
	ds_read_b32 v44, v3 offset:32
	v_bfe_u32 v3, v4, 28, 1
	v_add_co_u32_e64 v46, s[24:25], -1, v3
	v_addc_co_u32_e64 v47, s[24:25], 0, -1, s[24:25]
	v_cmp_ne_u32_e64 s[24:25], 0, v3
	v_xor_b32_e32 v3, s25, v47
	v_and_b32_e32 v47, exec_hi, v3
	v_lshlrev_b32_e32 v3, 30, v5
	v_xor_b32_e32 v46, s24, v46
	v_cmp_gt_i64_e64 s[24:25], 0, v[2:3]
	v_not_b32_e32 v3, v3
	v_ashrrev_i32_e32 v3, 31, v3
	v_and_b32_e32 v46, exec_lo, v46
	v_xor_b32_e32 v48, s25, v3
	v_xor_b32_e32 v3, s24, v3
	v_and_b32_e32 v46, v46, v3
	v_lshlrev_b32_e32 v3, 29, v5
	v_cmp_gt_i64_e64 s[24:25], 0, v[2:3]
	v_not_b32_e32 v3, v3
	v_ashrrev_i32_e32 v3, 31, v3
	v_xor_b32_e32 v5, s25, v3
	v_xor_b32_e32 v3, s24, v3
	v_and_b32_e32 v46, v46, v3
	v_and_b32_e32 v3, 0xf0000000, v4
	v_cmp_gt_i64_e64 s[24:25], 0, v[2:3]
	v_not_b32_e32 v3, v3
	v_and_b32_e32 v47, v47, v48
	v_ashrrev_i32_e32 v3, 31, v3
	v_and_b32_e32 v5, v47, v5
	v_xor_b32_e32 v4, s25, v3
	v_xor_b32_e32 v3, s24, v3
	v_and_b32_e32 v5, v5, v4
	v_and_b32_e32 v4, v46, v3
	v_mbcnt_lo_u32_b32 v3, v4, 0
	v_mbcnt_hi_u32_b32 v46, v5, v3
	v_cmp_eq_u32_e64 s[24:25], 0, v46
	v_cmp_ne_u64_e64 s[26:27], 0, v[4:5]
	s_and_b64 s[26:27], s[26:27], s[24:25]
	; wave barrier
	s_and_saveexec_b64 s[24:25], s[26:27]
	s_cbranch_execz .LBB44_8
; %bb.7:                                ;   in Loop: Header=BB44_4 Depth=2
	v_bcnt_u32_b32 v3, v4, 0
	v_bcnt_u32_b32 v3, v5, v3
	s_waitcnt lgkmcnt(0)
	v_add_u32_e32 v3, v44, v3
	ds_write_b32 v45, v3
.LBB44_8:                               ;   in Loop: Header=BB44_4 Depth=2
	s_or_b64 exec, exec, s[24:25]
	v_lshlrev_b32_e32 v4, s29, v12
	v_lshrrev_b32_e32 v5, 28, v4
	v_mul_u32_u24_e32 v3, 9, v5
	v_add_lshl_u32 v3, v3, v9, 2
	; wave barrier
	v_add_u32_e32 v48, 32, v3
	ds_read_b32 v47, v3 offset:32
	v_bfe_u32 v3, v4, 28, 1
	v_add_co_u32_e64 v49, s[24:25], -1, v3
	v_addc_co_u32_e64 v50, s[24:25], 0, -1, s[24:25]
	v_cmp_ne_u32_e64 s[24:25], 0, v3
	v_xor_b32_e32 v3, s25, v50
	v_and_b32_e32 v50, exec_hi, v3
	v_lshlrev_b32_e32 v3, 30, v5
	v_xor_b32_e32 v49, s24, v49
	v_cmp_gt_i64_e64 s[24:25], 0, v[2:3]
	v_not_b32_e32 v3, v3
	v_ashrrev_i32_e32 v3, 31, v3
	v_and_b32_e32 v49, exec_lo, v49
	v_xor_b32_e32 v51, s25, v3
	v_xor_b32_e32 v3, s24, v3
	v_and_b32_e32 v49, v49, v3
	v_lshlrev_b32_e32 v3, 29, v5
	v_cmp_gt_i64_e64 s[24:25], 0, v[2:3]
	v_not_b32_e32 v3, v3
	v_ashrrev_i32_e32 v3, 31, v3
	v_xor_b32_e32 v5, s25, v3
	v_xor_b32_e32 v3, s24, v3
	v_and_b32_e32 v49, v49, v3
	v_and_b32_e32 v3, 0xf0000000, v4
	v_cmp_gt_i64_e64 s[24:25], 0, v[2:3]
	v_not_b32_e32 v3, v3
	v_and_b32_e32 v50, v50, v51
	v_ashrrev_i32_e32 v3, 31, v3
	v_and_b32_e32 v5, v50, v5
	v_xor_b32_e32 v4, s25, v3
	v_xor_b32_e32 v3, s24, v3
	v_and_b32_e32 v5, v5, v4
	v_and_b32_e32 v4, v49, v3
	v_mbcnt_lo_u32_b32 v3, v4, 0
	v_mbcnt_hi_u32_b32 v49, v5, v3
	v_cmp_eq_u32_e64 s[24:25], 0, v49
	v_cmp_ne_u64_e64 s[26:27], 0, v[4:5]
	s_and_b64 s[26:27], s[26:27], s[24:25]
	; wave barrier
	s_and_saveexec_b64 s[24:25], s[26:27]
	s_cbranch_execz .LBB44_10
; %bb.9:                                ;   in Loop: Header=BB44_4 Depth=2
	v_bcnt_u32_b32 v3, v4, 0
	v_bcnt_u32_b32 v3, v5, v3
	s_waitcnt lgkmcnt(0)
	v_add_u32_e32 v3, v47, v3
	ds_write_b32 v48, v3
.LBB44_10:                              ;   in Loop: Header=BB44_4 Depth=2
	s_or_b64 exec, exec, s[24:25]
	v_lshlrev_b32_e32 v4, s29, v13
	v_lshrrev_b32_e32 v5, 28, v4
	v_mul_u32_u24_e32 v3, 9, v5
	v_add_lshl_u32 v3, v3, v9, 2
	; wave barrier
	v_add_u32_e32 v51, 32, v3
	ds_read_b32 v50, v3 offset:32
	v_bfe_u32 v3, v4, 28, 1
	v_add_co_u32_e64 v52, s[24:25], -1, v3
	v_addc_co_u32_e64 v53, s[24:25], 0, -1, s[24:25]
	v_cmp_ne_u32_e64 s[24:25], 0, v3
	v_xor_b32_e32 v3, s25, v53
	v_and_b32_e32 v53, exec_hi, v3
	v_lshlrev_b32_e32 v3, 30, v5
	v_xor_b32_e32 v52, s24, v52
	v_cmp_gt_i64_e64 s[24:25], 0, v[2:3]
	v_not_b32_e32 v3, v3
	v_ashrrev_i32_e32 v3, 31, v3
	v_and_b32_e32 v52, exec_lo, v52
	v_xor_b32_e32 v54, s25, v3
	v_xor_b32_e32 v3, s24, v3
	v_and_b32_e32 v52, v52, v3
	v_lshlrev_b32_e32 v3, 29, v5
	v_cmp_gt_i64_e64 s[24:25], 0, v[2:3]
	v_not_b32_e32 v3, v3
	v_ashrrev_i32_e32 v3, 31, v3
	v_xor_b32_e32 v5, s25, v3
	v_xor_b32_e32 v3, s24, v3
	v_and_b32_e32 v52, v52, v3
	v_and_b32_e32 v3, 0xf0000000, v4
	v_cmp_gt_i64_e64 s[24:25], 0, v[2:3]
	v_not_b32_e32 v3, v3
	v_and_b32_e32 v53, v53, v54
	v_ashrrev_i32_e32 v3, 31, v3
	v_and_b32_e32 v5, v53, v5
	v_xor_b32_e32 v4, s25, v3
	v_xor_b32_e32 v3, s24, v3
	v_and_b32_e32 v5, v5, v4
	v_and_b32_e32 v4, v52, v3
	v_mbcnt_lo_u32_b32 v3, v4, 0
	v_mbcnt_hi_u32_b32 v52, v5, v3
	v_cmp_eq_u32_e64 s[24:25], 0, v52
	v_cmp_ne_u64_e64 s[26:27], 0, v[4:5]
	s_and_b64 s[26:27], s[26:27], s[24:25]
	; wave barrier
	s_and_saveexec_b64 s[24:25], s[26:27]
	s_cbranch_execz .LBB44_12
; %bb.11:                               ;   in Loop: Header=BB44_4 Depth=2
	v_bcnt_u32_b32 v3, v4, 0
	v_bcnt_u32_b32 v3, v5, v3
	s_waitcnt lgkmcnt(0)
	v_add_u32_e32 v3, v50, v3
	ds_write_b32 v51, v3
.LBB44_12:                              ;   in Loop: Header=BB44_4 Depth=2
	s_or_b64 exec, exec, s[24:25]
	v_lshlrev_b32_e32 v4, s29, v14
	v_lshrrev_b32_e32 v5, 28, v4
	v_mul_u32_u24_e32 v3, 9, v5
	v_add_lshl_u32 v3, v3, v9, 2
	; wave barrier
	v_add_u32_e32 v54, 32, v3
	ds_read_b32 v53, v3 offset:32
	v_bfe_u32 v3, v4, 28, 1
	v_add_co_u32_e64 v55, s[24:25], -1, v3
	v_addc_co_u32_e64 v56, s[24:25], 0, -1, s[24:25]
	v_cmp_ne_u32_e64 s[24:25], 0, v3
	v_xor_b32_e32 v3, s25, v56
	v_and_b32_e32 v56, exec_hi, v3
	v_lshlrev_b32_e32 v3, 30, v5
	v_xor_b32_e32 v55, s24, v55
	v_cmp_gt_i64_e64 s[24:25], 0, v[2:3]
	v_not_b32_e32 v3, v3
	v_ashrrev_i32_e32 v3, 31, v3
	v_and_b32_e32 v55, exec_lo, v55
	v_xor_b32_e32 v57, s25, v3
	v_xor_b32_e32 v3, s24, v3
	v_and_b32_e32 v55, v55, v3
	v_lshlrev_b32_e32 v3, 29, v5
	v_cmp_gt_i64_e64 s[24:25], 0, v[2:3]
	v_not_b32_e32 v3, v3
	v_ashrrev_i32_e32 v3, 31, v3
	v_xor_b32_e32 v5, s25, v3
	v_xor_b32_e32 v3, s24, v3
	v_and_b32_e32 v55, v55, v3
	v_and_b32_e32 v3, 0xf0000000, v4
	v_cmp_gt_i64_e64 s[24:25], 0, v[2:3]
	v_not_b32_e32 v3, v3
	v_and_b32_e32 v56, v56, v57
	v_ashrrev_i32_e32 v3, 31, v3
	v_and_b32_e32 v5, v56, v5
	v_xor_b32_e32 v4, s25, v3
	v_xor_b32_e32 v3, s24, v3
	v_and_b32_e32 v5, v5, v4
	v_and_b32_e32 v4, v55, v3
	v_mbcnt_lo_u32_b32 v3, v4, 0
	v_mbcnt_hi_u32_b32 v55, v5, v3
	v_cmp_eq_u32_e64 s[24:25], 0, v55
	v_cmp_ne_u64_e64 s[26:27], 0, v[4:5]
	s_and_b64 s[26:27], s[26:27], s[24:25]
	; wave barrier
	s_and_saveexec_b64 s[24:25], s[26:27]
	s_cbranch_execz .LBB44_14
; %bb.13:                               ;   in Loop: Header=BB44_4 Depth=2
	v_bcnt_u32_b32 v3, v4, 0
	v_bcnt_u32_b32 v3, v5, v3
	s_waitcnt lgkmcnt(0)
	v_add_u32_e32 v3, v53, v3
	ds_write_b32 v54, v3
.LBB44_14:                              ;   in Loop: Header=BB44_4 Depth=2
	;; [unrolled: 55-line block ×29, first 2 shown]
	s_or_b64 exec, exec, s[24:25]
	; wave barrier
	s_waitcnt lgkmcnt(0)
	s_barrier
	ds_read_b32 v4, v1 offset:32
	s_waitcnt lgkmcnt(0)
	s_nop 0
	v_mov_b32_dpp v5, v4 row_shr:1 row_mask:0xf bank_mask:0xf
	v_cndmask_b32_e64 v5, v5, 0, s[6:7]
	v_add_u32_e32 v4, v5, v4
	s_nop 1
	v_mov_b32_dpp v5, v4 row_shr:2 row_mask:0xf bank_mask:0xf
	v_cndmask_b32_e64 v5, 0, v5, s[8:9]
	v_add_u32_e32 v4, v4, v5
	;; [unrolled: 4-line block ×4, first 2 shown]
	s_nop 1
	v_mov_b32_dpp v5, v4 row_bcast:15 row_mask:0xf bank_mask:0xf
	v_cndmask_b32_e64 v5, v5, 0, s[14:15]
	v_add_u32_e32 v4, v4, v5
	s_nop 1
	v_mov_b32_dpp v5, v4 row_bcast:31 row_mask:0xf bank_mask:0xf
	v_cndmask_b32_e32 v5, 0, v5, vcc
	v_add_u32_e32 v4, v4, v5
	s_and_saveexec_b64 s[24:25], s[16:17]
	s_xor_b64 s[24:25], exec, s[24:25]
	s_cbranch_execz .LBB44_70
; %bb.69:                               ;   in Loop: Header=BB44_4 Depth=2
	ds_write_b32 v7, v4
.LBB44_70:                              ;   in Loop: Header=BB44_4 Depth=2
	s_or_b64 exec, exec, s[24:25]
	s_waitcnt lgkmcnt(0)
	s_barrier
	s_and_saveexec_b64 s[24:25], s[0:1]
	s_cbranch_execz .LBB44_72
; %bb.71:                               ;   in Loop: Header=BB44_4 Depth=2
	ds_read_b32 v5, v1
	s_waitcnt lgkmcnt(0)
	s_nop 0
	v_mov_b32_dpp v136, v5 row_shr:1 row_mask:0xf bank_mask:0xf
	v_cndmask_b32_e64 v136, v136, 0, s[18:19]
	v_add_u32_e32 v5, v136, v5
	s_nop 1
	v_mov_b32_dpp v136, v5 row_shr:2 row_mask:0xf bank_mask:0xf
	v_cndmask_b32_e64 v136, 0, v136, s[20:21]
	v_add_u32_e32 v5, v5, v136
	;; [unrolled: 4-line block ×3, first 2 shown]
	ds_write_b32 v1, v5
.LBB44_72:                              ;   in Loop: Header=BB44_4 Depth=2
	s_or_b64 exec, exec, s[24:25]
	v_mov_b32_e32 v5, 0
	s_waitcnt lgkmcnt(0)
	s_barrier
	s_and_saveexec_b64 s[24:25], s[2:3]
	s_cbranch_execz .LBB44_3
; %bb.73:                               ;   in Loop: Header=BB44_4 Depth=2
	ds_read_b32 v5, v43
	s_branch .LBB44_3
.LBB44_74:
	ds_read_b32 v1, v45
	ds_read_b32 v2, v61
	;; [unrolled: 1-line block ×8, first 2 shown]
	s_add_u32 s0, s30, s34
	s_waitcnt lgkmcnt(7)
	v_add3_u32 v5, v46, v44, v1
	s_waitcnt lgkmcnt(3)
	v_add3_u32 v7, v52, v50, v4
	;; [unrolled: 2-line block ×3, first 2 shown]
	s_waitcnt lgkmcnt(1)
	v_add_u32_e32 v4, v11, v38
	v_lshlrev_b32_e32 v10, 2, v0
	s_addc_u32 s1, s31, s35
	global_store_dwordx4 v10, v[4:7], s[0:1]
	s_nop 0
	v_add3_u32 v5, v59, v56, v8
	v_add3_u32 v4, v55, v53, v9
	ds_read_b32 v0, v87
	ds_read_b32 v1, v84
	;; [unrolled: 1-line block ×8, first 2 shown]
	s_waitcnt lgkmcnt(8)
	v_add3_u32 v7, v64, v62, v12
	v_add3_u32 v6, v60, v58, v2
	global_store_dwordx4 v10, v[4:7], s[0:1] offset:16
	s_waitcnt lgkmcnt(1)
	v_add3_u32 v5, v70, v68, v14
	s_waitcnt lgkmcnt(0)
	v_add3_u32 v4, v67, v65, v15
	v_add3_u32 v7, v76, v74, v11
	;; [unrolled: 1-line block ×3, first 2 shown]
	global_store_dwordx4 v10, v[4:7], s[0:1] offset:32
	s_nop 0
	v_add3_u32 v5, v82, v80, v8
	v_add3_u32 v4, v79, v77, v9
	ds_read_b32 v2, v135
	ds_read_b32 v8, v133
	ds_read_b32 v9, v130
	ds_read_b32 v11, v127
	ds_read_b32 v12, v123
	ds_read_b32 v13, v120
	ds_read_b32 v14, v117
	ds_read_b32 v15, v114
	ds_read_b32 v16, v111
	ds_read_b32 v17, v108
	ds_read_b32 v18, v105
	ds_read_b32 v19, v102
	ds_read_b32 v20, v99
	ds_read_b32 v21, v96
	ds_read_b32 v22, v93
	ds_read_b32 v23, v90
	v_add3_u32 v7, v88, v86, v0
	v_add3_u32 v6, v85, v83, v1
	global_store_dwordx4 v10, v[4:7], s[0:1] offset:48
	s_waitcnt lgkmcnt(13)
	v_add3_u32 v1, v129, v128, v9
	s_waitcnt lgkmcnt(1)
	v_add3_u32 v5, v94, v92, v22
	;; [unrolled: 2-line block ×3, first 2 shown]
	v_add3_u32 v7, v100, v98, v20
	v_add3_u32 v6, v97, v95, v21
	global_store_dwordx4 v10, v[4:7], s[0:1] offset:64
	v_add3_u32 v0, v126, v125, v11
	v_add3_u32 v5, v106, v104, v18
	;; [unrolled: 1-line block ×5, first 2 shown]
	global_store_dwordx4 v10, v[4:7], s[0:1] offset:80
	v_add3_u32 v3, v3, v134, v2
	v_add3_u32 v5, v118, v116, v14
	;; [unrolled: 1-line block ×6, first 2 shown]
	global_store_dwordx4 v10, v[4:7], s[0:1] offset:96
	global_store_dwordx4 v10, v[0:3], s[0:1] offset:112
	s_endpgm
	.section	.rodata,"a",@progbits
	.p2align	6, 0x0
	.amdhsa_kernel _Z11rank_kernelIiLj4ELb0EL18RadixRankAlgorithm2ELj512ELj32ELj10EEvPKT_Pi
		.amdhsa_group_segment_fixed_size 2080
		.amdhsa_private_segment_fixed_size 0
		.amdhsa_kernarg_size 272
		.amdhsa_user_sgpr_count 6
		.amdhsa_user_sgpr_private_segment_buffer 1
		.amdhsa_user_sgpr_dispatch_ptr 0
		.amdhsa_user_sgpr_queue_ptr 0
		.amdhsa_user_sgpr_kernarg_segment_ptr 1
		.amdhsa_user_sgpr_dispatch_id 0
		.amdhsa_user_sgpr_flat_scratch_init 0
		.amdhsa_user_sgpr_kernarg_preload_length 0
		.amdhsa_user_sgpr_kernarg_preload_offset 0
		.amdhsa_user_sgpr_private_segment_size 0
		.amdhsa_uses_dynamic_stack 0
		.amdhsa_system_sgpr_private_segment_wavefront_offset 0
		.amdhsa_system_sgpr_workgroup_id_x 1
		.amdhsa_system_sgpr_workgroup_id_y 0
		.amdhsa_system_sgpr_workgroup_id_z 0
		.amdhsa_system_sgpr_workgroup_info 0
		.amdhsa_system_vgpr_workitem_id 2
		.amdhsa_next_free_vgpr 139
		.amdhsa_next_free_sgpr 38
		.amdhsa_accum_offset 140
		.amdhsa_reserve_vcc 1
		.amdhsa_reserve_flat_scratch 0
		.amdhsa_float_round_mode_32 0
		.amdhsa_float_round_mode_16_64 0
		.amdhsa_float_denorm_mode_32 3
		.amdhsa_float_denorm_mode_16_64 3
		.amdhsa_dx10_clamp 1
		.amdhsa_ieee_mode 1
		.amdhsa_fp16_overflow 0
		.amdhsa_tg_split 0
		.amdhsa_exception_fp_ieee_invalid_op 0
		.amdhsa_exception_fp_denorm_src 0
		.amdhsa_exception_fp_ieee_div_zero 0
		.amdhsa_exception_fp_ieee_overflow 0
		.amdhsa_exception_fp_ieee_underflow 0
		.amdhsa_exception_fp_ieee_inexact 0
		.amdhsa_exception_int_div_zero 0
	.end_amdhsa_kernel
	.section	.text._Z11rank_kernelIiLj4ELb0EL18RadixRankAlgorithm2ELj512ELj32ELj10EEvPKT_Pi,"axG",@progbits,_Z11rank_kernelIiLj4ELb0EL18RadixRankAlgorithm2ELj512ELj32ELj10EEvPKT_Pi,comdat
.Lfunc_end44:
	.size	_Z11rank_kernelIiLj4ELb0EL18RadixRankAlgorithm2ELj512ELj32ELj10EEvPKT_Pi, .Lfunc_end44-_Z11rank_kernelIiLj4ELb0EL18RadixRankAlgorithm2ELj512ELj32ELj10EEvPKT_Pi
                                        ; -- End function
	.section	.AMDGPU.csdata,"",@progbits
; Kernel info:
; codeLenInByte = 10400
; NumSgprs: 42
; NumVgprs: 139
; NumAgprs: 0
; TotalNumVgprs: 139
; ScratchSize: 0
; MemoryBound: 0
; FloatMode: 240
; IeeeMode: 1
; LDSByteSize: 2080 bytes/workgroup (compile time only)
; SGPRBlocks: 5
; VGPRBlocks: 17
; NumSGPRsForWavesPerEU: 42
; NumVGPRsForWavesPerEU: 139
; AccumOffset: 140
; Occupancy: 3
; WaveLimiterHint : 0
; COMPUTE_PGM_RSRC2:SCRATCH_EN: 0
; COMPUTE_PGM_RSRC2:USER_SGPR: 6
; COMPUTE_PGM_RSRC2:TRAP_HANDLER: 0
; COMPUTE_PGM_RSRC2:TGID_X_EN: 1
; COMPUTE_PGM_RSRC2:TGID_Y_EN: 0
; COMPUTE_PGM_RSRC2:TGID_Z_EN: 0
; COMPUTE_PGM_RSRC2:TIDIG_COMP_CNT: 2
; COMPUTE_PGM_RSRC3_GFX90A:ACCUM_OFFSET: 34
; COMPUTE_PGM_RSRC3_GFX90A:TG_SPLIT: 0
	.section	.text._Z11rank_kernelIhLj4ELb0EL18RadixRankAlgorithm0ELj128ELj1ELj10EEvPKT_Pi,"axG",@progbits,_Z11rank_kernelIhLj4ELb0EL18RadixRankAlgorithm0ELj128ELj1ELj10EEvPKT_Pi,comdat
	.protected	_Z11rank_kernelIhLj4ELb0EL18RadixRankAlgorithm0ELj128ELj1ELj10EEvPKT_Pi ; -- Begin function _Z11rank_kernelIhLj4ELb0EL18RadixRankAlgorithm0ELj128ELj1ELj10EEvPKT_Pi
	.globl	_Z11rank_kernelIhLj4ELb0EL18RadixRankAlgorithm0ELj128ELj1ELj10EEvPKT_Pi
	.p2align	8
	.type	_Z11rank_kernelIhLj4ELb0EL18RadixRankAlgorithm0ELj128ELj1ELj10EEvPKT_Pi,@function
_Z11rank_kernelIhLj4ELb0EL18RadixRankAlgorithm0ELj128ELj1ELj10EEvPKT_Pi: ; @_Z11rank_kernelIhLj4ELb0EL18RadixRankAlgorithm0ELj128ELj1ELj10EEvPKT_Pi
; %bb.0:
	s_load_dwordx4 s[20:23], s[4:5], 0x0
	s_lshl_b32 s24, s6, 7
	v_mbcnt_lo_u32_b32 v1, -1, 0
	v_mbcnt_hi_u32_b32 v3, -1, v1
	v_add_u32_e32 v11, -1, v3
	s_waitcnt lgkmcnt(0)
	s_add_u32 s0, s20, s24
	s_addc_u32 s1, s21, 0
	global_load_ubyte v2, v0, s[0:1]
	v_and_b32_e32 v12, 64, v3
	v_or_b32_e32 v7, 63, v0
	v_lshrrev_b32_e32 v8, 4, v0
	v_cmp_lt_i32_e64 s[18:19], v11, v12
	v_and_b32_e32 v9, 15, v3
	v_and_b32_e32 v10, 16, v3
	v_cmp_lt_u32_e64 s[2:3], 31, v3
	v_cmp_eq_u32_e64 s[4:5], v7, v0
	v_cmp_eq_u32_e64 s[6:7], 0, v3
	v_and_b32_e32 v7, 4, v8
	v_and_b32_e32 v8, 1, v3
	v_cndmask_b32_e64 v3, v11, v3, s[18:19]
	s_movk_i32 s20, 0x380
	v_cmp_eq_u32_e64 s[8:9], 0, v9
	v_cmp_lt_u32_e64 s[10:11], 1, v9
	v_cmp_lt_u32_e64 s[12:13], 3, v9
	;; [unrolled: 1-line block ×3, first 2 shown]
	v_cmp_eq_u32_e64 s[16:17], 0, v10
	v_cmp_eq_u32_e64 s[18:19], 0, v8
	v_lshlrev_b32_e32 v8, 2, v3
	s_mov_b32 s25, 0
	v_mov_b32_e32 v4, 0
	v_lshlrev_b32_e32 v5, 5, v0
	v_cmp_gt_u32_e32 vcc, 2, v0
	v_cmp_lt_u32_e64 s[0:1], 63, v0
	v_lshlrev_b32_e32 v6, 2, v0
	v_or_b32_e32 v1, 0x80, v0
	s_mov_b32 s30, s25
	s_waitcnt vmcnt(0)
	v_lshlrev_b32_e32 v3, 3, v2
	v_lshrrev_b32_e32 v9, 6, v2
	v_lshlrev_b32_e32 v10, 7, v2
	v_lshrrev_b32_e32 v2, 2, v2
	v_and_or_b32 v3, v3, s20, v0
	v_and_b32_e32 v9, 2, v9
	v_and_or_b32 v10, v10, s20, v0
	v_and_b32_e32 v2, 2, v2
	v_lshl_or_b32 v9, v3, 2, v9
	v_lshl_or_b32 v10, v10, 2, v2
	s_branch .LBB45_2
.LBB45_1:                               ;   in Loop: Header=BB45_2 Depth=1
	s_or_b64 exec, exec, s[20:21]
	s_waitcnt lgkmcnt(0)
	v_add_u32_e32 v3, v11, v3
	ds_bpermute_b32 v3, v8, v3
	ds_read_b32 v14, v4 offset:4100
	ds_read2_b32 v[12:13], v5 offset1:1
	s_add_i32 s30, s30, 1
	s_cmp_eq_u32 s30, 10
	s_waitcnt lgkmcnt(2)
	v_cndmask_b32_e64 v3, v3, v11, s[6:7]
	s_waitcnt lgkmcnt(1)
	v_lshl_add_u32 v3, v14, 16, v3
	ds_read2_b32 v[14:15], v5 offset0:2 offset1:3
	ds_read2_b32 v[16:17], v5 offset0:4 offset1:5
	ds_read_b32 v11, v5 offset:24
	s_waitcnt lgkmcnt(3)
	v_add_u32_e32 v12, v3, v12
	ds_write2_b32 v5, v3, v12 offset1:1
	v_add_u32_e32 v3, v13, v12
	s_waitcnt lgkmcnt(3)
	v_add_u32_e32 v12, v14, v3
	ds_write2_b32 v5, v3, v12 offset0:2 offset1:3
	v_add_u32_e32 v3, v15, v12
	s_waitcnt lgkmcnt(3)
	v_add_u32_e32 v12, v16, v3
	ds_write2_b32 v5, v3, v12 offset0:4 offset1:5
	;; [unrolled: 4-line block ×3, first 2 shown]
	s_waitcnt lgkmcnt(0)
	s_barrier
	s_cbranch_scc1 .LBB45_26
.LBB45_2:                               ; =>This Loop Header: Depth=1
                                        ;     Child Loop BB45_4 Depth 2
                                        ;     Child Loop BB45_16 Depth 2
	s_mov_b64 s[20:21], 0
	s_mov_b32 s31, 0
	v_pk_mov_b32 v[2:3], v[0:1], v[0:1] op_sel:[0,1]
	s_branch .LBB45_4
.LBB45_3:                               ;   in Loop: Header=BB45_4 Depth=2
	s_or_b64 exec, exec, s[28:29]
	s_add_i32 s31, s31, 2
	v_cmp_eq_u32_e64 s[26:27], 8, s31
	v_add_u32_e32 v3, 0x100, v3
	s_or_b64 s[20:21], s[26:27], s[20:21]
	v_add_u32_e32 v2, 0x100, v2
	s_andn2_b64 exec, exec, s[20:21]
	s_cbranch_execz .LBB45_8
.LBB45_4:                               ;   Parent Loop BB45_2 Depth=1
                                        ; =>  This Inner Loop Header: Depth=2
	s_or_b32 s26, s31, 1
	v_cmp_le_u32_e64 s[26:27], s26, 7
	v_cmp_le_u32_e64 s[34:35], s31, 7
	s_and_saveexec_b64 s[28:29], s[34:35]
	s_cbranch_execz .LBB45_6
; %bb.5:                                ;   in Loop: Header=BB45_4 Depth=2
	v_lshlrev_b32_e32 v11, 2, v2
	ds_write_b32 v11, v4
.LBB45_6:                               ;   in Loop: Header=BB45_4 Depth=2
	s_or_b64 exec, exec, s[28:29]
	s_and_saveexec_b64 s[28:29], s[26:27]
	s_cbranch_execz .LBB45_3
; %bb.7:                                ;   in Loop: Header=BB45_4 Depth=2
	v_lshlrev_b32_e32 v11, 2, v3
	ds_write_b32 v11, v4
	s_branch .LBB45_3
.LBB45_8:                               ;   in Loop: Header=BB45_2 Depth=1
	s_or_b64 exec, exec, s[20:21]
	ds_read_u16 v2, v10
	s_waitcnt lgkmcnt(0)
	v_add_u16_e32 v2, 1, v2
	ds_write_b16 v10, v2
	s_waitcnt lgkmcnt(0)
	s_barrier
	ds_read2_b32 v[2:3], v5 offset1:1
	ds_read2_b32 v[12:13], v5 offset0:2 offset1:3
	ds_read2_b32 v[14:15], v5 offset0:4 offset1:5
	;; [unrolled: 1-line block ×3, first 2 shown]
	s_waitcnt lgkmcnt(3)
	v_add_u32_e32 v2, v3, v2
	s_waitcnt lgkmcnt(2)
	v_add3_u32 v2, v2, v12, v13
	s_waitcnt lgkmcnt(1)
	v_add3_u32 v2, v2, v14, v15
	;; [unrolled: 2-line block ×3, first 2 shown]
	s_nop 1
	v_mov_b32_dpp v3, v2 row_shr:1 row_mask:0xf bank_mask:0xf
	v_cndmask_b32_e64 v3, v3, 0, s[8:9]
	v_add_u32_e32 v2, v3, v2
	s_nop 1
	v_mov_b32_dpp v3, v2 row_shr:2 row_mask:0xf bank_mask:0xf
	v_cndmask_b32_e64 v3, 0, v3, s[10:11]
	v_add_u32_e32 v2, v2, v3
	;; [unrolled: 4-line block ×4, first 2 shown]
	s_nop 1
	v_mov_b32_dpp v3, v2 row_bcast:15 row_mask:0xf bank_mask:0xf
	v_cndmask_b32_e64 v3, v3, 0, s[16:17]
	v_add_u32_e32 v2, v2, v3
	s_nop 1
	v_mov_b32_dpp v3, v2 row_bcast:31 row_mask:0xf bank_mask:0xf
	v_cndmask_b32_e64 v3, 0, v3, s[2:3]
	v_add_u32_e32 v2, v2, v3
	s_and_saveexec_b64 s[20:21], s[4:5]
	s_cbranch_execz .LBB45_10
; %bb.9:                                ;   in Loop: Header=BB45_2 Depth=1
	ds_write_b32 v7, v2 offset:4096
.LBB45_10:                              ;   in Loop: Header=BB45_2 Depth=1
	s_or_b64 exec, exec, s[20:21]
	s_waitcnt lgkmcnt(0)
	s_barrier
	s_and_saveexec_b64 s[20:21], vcc
	s_cbranch_execz .LBB45_12
; %bb.11:                               ;   in Loop: Header=BB45_2 Depth=1
	ds_read_b32 v3, v6 offset:4096
	s_waitcnt lgkmcnt(0)
	s_nop 0
	v_mov_b32_dpp v11, v3 row_shr:1 row_mask:0xf bank_mask:0xf
	v_cndmask_b32_e64 v11, v11, 0, s[18:19]
	v_add_u32_e32 v3, v11, v3
	ds_write_b32 v6, v3 offset:4096
.LBB45_12:                              ;   in Loop: Header=BB45_2 Depth=1
	s_or_b64 exec, exec, s[20:21]
	v_mov_b32_e32 v3, 0
	s_waitcnt lgkmcnt(0)
	s_barrier
	s_and_saveexec_b64 s[20:21], s[0:1]
	s_cbranch_execz .LBB45_14
; %bb.13:                               ;   in Loop: Header=BB45_2 Depth=1
	ds_read_b32 v3, v7 offset:4092
.LBB45_14:                              ;   in Loop: Header=BB45_2 Depth=1
	s_or_b64 exec, exec, s[20:21]
	s_waitcnt lgkmcnt(0)
	v_add_u32_e32 v2, v3, v2
	ds_bpermute_b32 v2, v8, v2
	ds_read_b32 v11, v4 offset:4100
	s_mov_b32 s31, 0
	s_mov_b64 s[20:21], 0
	s_waitcnt lgkmcnt(1)
	v_cndmask_b32_e64 v12, v2, v3, s[6:7]
	ds_read2_b32 v[2:3], v5 offset1:1
	s_waitcnt lgkmcnt(1)
	v_lshl_add_u32 v11, v11, 16, v12
	ds_read2_b32 v[12:13], v5 offset0:2 offset1:3
	ds_read2_b32 v[14:15], v5 offset0:4 offset1:5
	ds_read_b32 v16, v5 offset:24
	s_waitcnt lgkmcnt(3)
	v_add_u32_e32 v2, v11, v2
	ds_write2_b32 v5, v11, v2 offset1:1
	v_add_u32_e32 v2, v3, v2
	s_waitcnt lgkmcnt(3)
	v_add_u32_e32 v3, v12, v2
	ds_write2_b32 v5, v2, v3 offset0:2 offset1:3
	v_add_u32_e32 v2, v13, v3
	s_waitcnt lgkmcnt(3)
	v_add_u32_e32 v3, v14, v2
	ds_write2_b32 v5, v2, v3 offset0:4 offset1:5
	;; [unrolled: 4-line block ×3, first 2 shown]
	v_pk_mov_b32 v[2:3], v[0:1], v[0:1] op_sel:[0,1]
	s_waitcnt lgkmcnt(0)
	s_barrier
	s_branch .LBB45_16
.LBB45_15:                              ;   in Loop: Header=BB45_16 Depth=2
	s_or_b64 exec, exec, s[28:29]
	s_add_i32 s31, s31, 2
	v_cmp_eq_u32_e64 s[26:27], 8, s31
	v_add_u32_e32 v3, 0x100, v3
	s_or_b64 s[20:21], s[26:27], s[20:21]
	v_add_u32_e32 v2, 0x100, v2
	s_andn2_b64 exec, exec, s[20:21]
	s_cbranch_execz .LBB45_20
.LBB45_16:                              ;   Parent Loop BB45_2 Depth=1
                                        ; =>  This Inner Loop Header: Depth=2
	s_or_b32 s26, s31, 1
	v_cmp_le_u32_e64 s[26:27], s26, 7
	v_cmp_le_u32_e64 s[34:35], s31, 7
	s_and_saveexec_b64 s[28:29], s[34:35]
	s_cbranch_execz .LBB45_18
; %bb.17:                               ;   in Loop: Header=BB45_16 Depth=2
	v_lshlrev_b32_e32 v11, 2, v2
	ds_write_b32 v11, v4
.LBB45_18:                              ;   in Loop: Header=BB45_16 Depth=2
	s_or_b64 exec, exec, s[28:29]
	s_and_saveexec_b64 s[28:29], s[26:27]
	s_cbranch_execz .LBB45_15
; %bb.19:                               ;   in Loop: Header=BB45_16 Depth=2
	v_lshlrev_b32_e32 v11, 2, v3
	ds_write_b32 v11, v4
	s_branch .LBB45_15
.LBB45_20:                              ;   in Loop: Header=BB45_2 Depth=1
	s_or_b64 exec, exec, s[20:21]
	ds_read_u16 v2, v9
	s_waitcnt lgkmcnt(0)
	v_add_u16_e32 v3, 1, v2
	ds_write_b16 v9, v3
	s_waitcnt lgkmcnt(0)
	s_barrier
	ds_read2_b32 v[12:13], v5 offset1:1
	ds_read2_b32 v[14:15], v5 offset0:2 offset1:3
	ds_read2_b32 v[16:17], v5 offset0:4 offset1:5
	;; [unrolled: 1-line block ×3, first 2 shown]
	s_waitcnt lgkmcnt(3)
	v_add_u32_e32 v3, v13, v12
	s_waitcnt lgkmcnt(2)
	v_add3_u32 v3, v3, v14, v15
	s_waitcnt lgkmcnt(1)
	v_add3_u32 v3, v3, v16, v17
	;; [unrolled: 2-line block ×3, first 2 shown]
	s_nop 1
	v_mov_b32_dpp v11, v3 row_shr:1 row_mask:0xf bank_mask:0xf
	v_cndmask_b32_e64 v11, v11, 0, s[8:9]
	v_add_u32_e32 v3, v11, v3
	s_nop 1
	v_mov_b32_dpp v11, v3 row_shr:2 row_mask:0xf bank_mask:0xf
	v_cndmask_b32_e64 v11, 0, v11, s[10:11]
	v_add_u32_e32 v3, v3, v11
	;; [unrolled: 4-line block ×4, first 2 shown]
	s_nop 1
	v_mov_b32_dpp v11, v3 row_bcast:15 row_mask:0xf bank_mask:0xf
	v_cndmask_b32_e64 v11, v11, 0, s[16:17]
	v_add_u32_e32 v3, v3, v11
	s_nop 1
	v_mov_b32_dpp v11, v3 row_bcast:31 row_mask:0xf bank_mask:0xf
	v_cndmask_b32_e64 v11, 0, v11, s[2:3]
	v_add_u32_e32 v3, v3, v11
	s_and_saveexec_b64 s[20:21], s[4:5]
	s_cbranch_execz .LBB45_22
; %bb.21:                               ;   in Loop: Header=BB45_2 Depth=1
	ds_write_b32 v7, v3 offset:4096
.LBB45_22:                              ;   in Loop: Header=BB45_2 Depth=1
	s_or_b64 exec, exec, s[20:21]
	s_waitcnt lgkmcnt(0)
	s_barrier
	s_and_saveexec_b64 s[20:21], vcc
	s_cbranch_execz .LBB45_24
; %bb.23:                               ;   in Loop: Header=BB45_2 Depth=1
	ds_read_b32 v11, v6 offset:4096
	s_waitcnt lgkmcnt(0)
	s_nop 0
	v_mov_b32_dpp v12, v11 row_shr:1 row_mask:0xf bank_mask:0xf
	v_cndmask_b32_e64 v12, v12, 0, s[18:19]
	v_add_u32_e32 v11, v12, v11
	ds_write_b32 v6, v11 offset:4096
.LBB45_24:                              ;   in Loop: Header=BB45_2 Depth=1
	s_or_b64 exec, exec, s[20:21]
	v_mov_b32_e32 v11, 0
	s_waitcnt lgkmcnt(0)
	s_barrier
	s_and_saveexec_b64 s[20:21], s[0:1]
	s_cbranch_execz .LBB45_1
; %bb.25:                               ;   in Loop: Header=BB45_2 Depth=1
	ds_read_b32 v11, v7 offset:4092
	s_branch .LBB45_1
.LBB45_26:
	ds_read_u16 v1, v9
	s_lshl_b64 s[0:1], s[24:25], 2
	s_add_u32 s0, s22, s0
	s_addc_u32 s1, s23, s1
	v_lshlrev_b32_e32 v0, 2, v0
	s_waitcnt lgkmcnt(0)
	v_add_u32_sdwa v1, v1, v2 dst_sel:DWORD dst_unused:UNUSED_PAD src0_sel:DWORD src1_sel:WORD_0
	global_store_dword v0, v1, s[0:1]
	s_endpgm
	.section	.rodata,"a",@progbits
	.p2align	6, 0x0
	.amdhsa_kernel _Z11rank_kernelIhLj4ELb0EL18RadixRankAlgorithm0ELj128ELj1ELj10EEvPKT_Pi
		.amdhsa_group_segment_fixed_size 4104
		.amdhsa_private_segment_fixed_size 0
		.amdhsa_kernarg_size 16
		.amdhsa_user_sgpr_count 6
		.amdhsa_user_sgpr_private_segment_buffer 1
		.amdhsa_user_sgpr_dispatch_ptr 0
		.amdhsa_user_sgpr_queue_ptr 0
		.amdhsa_user_sgpr_kernarg_segment_ptr 1
		.amdhsa_user_sgpr_dispatch_id 0
		.amdhsa_user_sgpr_flat_scratch_init 0
		.amdhsa_user_sgpr_kernarg_preload_length 0
		.amdhsa_user_sgpr_kernarg_preload_offset 0
		.amdhsa_user_sgpr_private_segment_size 0
		.amdhsa_uses_dynamic_stack 0
		.amdhsa_system_sgpr_private_segment_wavefront_offset 0
		.amdhsa_system_sgpr_workgroup_id_x 1
		.amdhsa_system_sgpr_workgroup_id_y 0
		.amdhsa_system_sgpr_workgroup_id_z 0
		.amdhsa_system_sgpr_workgroup_info 0
		.amdhsa_system_vgpr_workitem_id 0
		.amdhsa_next_free_vgpr 20
		.amdhsa_next_free_sgpr 36
		.amdhsa_accum_offset 20
		.amdhsa_reserve_vcc 1
		.amdhsa_reserve_flat_scratch 0
		.amdhsa_float_round_mode_32 0
		.amdhsa_float_round_mode_16_64 0
		.amdhsa_float_denorm_mode_32 3
		.amdhsa_float_denorm_mode_16_64 3
		.amdhsa_dx10_clamp 1
		.amdhsa_ieee_mode 1
		.amdhsa_fp16_overflow 0
		.amdhsa_tg_split 0
		.amdhsa_exception_fp_ieee_invalid_op 0
		.amdhsa_exception_fp_denorm_src 0
		.amdhsa_exception_fp_ieee_div_zero 0
		.amdhsa_exception_fp_ieee_overflow 0
		.amdhsa_exception_fp_ieee_underflow 0
		.amdhsa_exception_fp_ieee_inexact 0
		.amdhsa_exception_int_div_zero 0
	.end_amdhsa_kernel
	.section	.text._Z11rank_kernelIhLj4ELb0EL18RadixRankAlgorithm0ELj128ELj1ELj10EEvPKT_Pi,"axG",@progbits,_Z11rank_kernelIhLj4ELb0EL18RadixRankAlgorithm0ELj128ELj1ELj10EEvPKT_Pi,comdat
.Lfunc_end45:
	.size	_Z11rank_kernelIhLj4ELb0EL18RadixRankAlgorithm0ELj128ELj1ELj10EEvPKT_Pi, .Lfunc_end45-_Z11rank_kernelIhLj4ELb0EL18RadixRankAlgorithm0ELj128ELj1ELj10EEvPKT_Pi
                                        ; -- End function
	.section	.AMDGPU.csdata,"",@progbits
; Kernel info:
; codeLenInByte = 1680
; NumSgprs: 40
; NumVgprs: 20
; NumAgprs: 0
; TotalNumVgprs: 20
; ScratchSize: 0
; MemoryBound: 0
; FloatMode: 240
; IeeeMode: 1
; LDSByteSize: 4104 bytes/workgroup (compile time only)
; SGPRBlocks: 4
; VGPRBlocks: 2
; NumSGPRsForWavesPerEU: 40
; NumVGPRsForWavesPerEU: 20
; AccumOffset: 20
; Occupancy: 8
; WaveLimiterHint : 0
; COMPUTE_PGM_RSRC2:SCRATCH_EN: 0
; COMPUTE_PGM_RSRC2:USER_SGPR: 6
; COMPUTE_PGM_RSRC2:TRAP_HANDLER: 0
; COMPUTE_PGM_RSRC2:TGID_X_EN: 1
; COMPUTE_PGM_RSRC2:TGID_Y_EN: 0
; COMPUTE_PGM_RSRC2:TGID_Z_EN: 0
; COMPUTE_PGM_RSRC2:TIDIG_COMP_CNT: 0
; COMPUTE_PGM_RSRC3_GFX90A:ACCUM_OFFSET: 4
; COMPUTE_PGM_RSRC3_GFX90A:TG_SPLIT: 0
	.section	.text._Z11rank_kernelIhLj4ELb0EL18RadixRankAlgorithm1ELj128ELj1ELj10EEvPKT_Pi,"axG",@progbits,_Z11rank_kernelIhLj4ELb0EL18RadixRankAlgorithm1ELj128ELj1ELj10EEvPKT_Pi,comdat
	.protected	_Z11rank_kernelIhLj4ELb0EL18RadixRankAlgorithm1ELj128ELj1ELj10EEvPKT_Pi ; -- Begin function _Z11rank_kernelIhLj4ELb0EL18RadixRankAlgorithm1ELj128ELj1ELj10EEvPKT_Pi
	.globl	_Z11rank_kernelIhLj4ELb0EL18RadixRankAlgorithm1ELj128ELj1ELj10EEvPKT_Pi
	.p2align	8
	.type	_Z11rank_kernelIhLj4ELb0EL18RadixRankAlgorithm1ELj128ELj1ELj10EEvPKT_Pi,@function
_Z11rank_kernelIhLj4ELb0EL18RadixRankAlgorithm1ELj128ELj1ELj10EEvPKT_Pi: ; @_Z11rank_kernelIhLj4ELb0EL18RadixRankAlgorithm1ELj128ELj1ELj10EEvPKT_Pi
; %bb.0:
	s_load_dwordx4 s[20:23], s[4:5], 0x0
	s_lshl_b32 s24, s6, 7
	v_mbcnt_lo_u32_b32 v1, -1, 0
	v_mbcnt_hi_u32_b32 v3, -1, v1
	v_or_b32_e32 v4, 63, v0
	s_waitcnt lgkmcnt(0)
	s_add_u32 s0, s20, s24
	s_addc_u32 s1, s21, 0
	global_load_ubyte v2, v0, s[0:1]
	v_cmp_eq_u32_e64 s[4:5], v4, v0
	v_add_u32_e32 v4, -1, v3
	v_and_b32_e32 v8, 64, v3
	v_lshrrev_b32_e32 v5, 4, v0
	v_cmp_lt_i32_e64 s[18:19], v4, v8
	v_and_b32_e32 v6, 15, v3
	v_and_b32_e32 v7, 16, v3
	v_cmp_lt_u32_e64 s[2:3], 31, v3
	v_cmp_eq_u32_e64 s[6:7], 0, v3
	v_and_b32_e32 v13, 4, v5
	v_and_b32_e32 v5, 1, v3
	v_cndmask_b32_e64 v3, v4, v3, s[18:19]
	s_movk_i32 s20, 0x380
	v_cmp_eq_u32_e64 s[18:19], 0, v5
	v_lshlrev_b32_e32 v14, 2, v3
	s_mov_b32 s25, 0
	v_mov_b32_e32 v10, 0
	v_lshlrev_b32_e32 v11, 5, v0
	v_cmp_gt_u32_e32 vcc, 2, v0
	v_cmp_lt_u32_e64 s[0:1], 63, v0
	v_lshlrev_b32_e32 v12, 2, v0
	v_or_b32_e32 v1, 0x80, v0
	v_cmp_eq_u32_e64 s[8:9], 0, v6
	v_cmp_lt_u32_e64 s[10:11], 1, v6
	v_cmp_lt_u32_e64 s[12:13], 3, v6
	;; [unrolled: 1-line block ×3, first 2 shown]
	v_cmp_eq_u32_e64 s[16:17], 0, v7
	s_mov_b32 s30, s25
	s_waitcnt vmcnt(0)
	v_lshlrev_b32_e32 v3, 3, v2
	v_lshrrev_b32_e32 v4, 6, v2
	v_lshlrev_b32_e32 v5, 7, v2
	v_lshrrev_b32_e32 v2, 2, v2
	v_and_or_b32 v3, v3, s20, v0
	v_and_b32_e32 v4, 2, v4
	v_and_or_b32 v5, v5, s20, v0
	v_and_b32_e32 v2, 2, v2
	v_lshl_or_b32 v15, v3, 2, v4
	v_lshl_or_b32 v16, v5, 2, v2
	s_branch .LBB46_2
.LBB46_1:                               ;   in Loop: Header=BB46_2 Depth=1
	s_or_b64 exec, exec, s[20:21]
	s_waitcnt lgkmcnt(0)
	v_add_u32_e32 v3, v18, v3
	ds_bpermute_b32 v3, v14, v3
	ds_read_b32 v19, v10 offset:4100
	s_add_i32 s30, s30, 1
	s_cmp_eq_u32 s30, 10
	s_waitcnt lgkmcnt(1)
	v_cndmask_b32_e64 v3, v3, v18, s[6:7]
	s_waitcnt lgkmcnt(0)
	v_lshl_add_u32 v3, v19, 16, v3
	v_add_u32_e32 v8, v3, v8
	v_add_u32_e32 v9, v8, v9
	ds_write2_b32 v11, v3, v8 offset1:1
	v_add_u32_e32 v3, v9, v6
	v_add_u32_e32 v6, v3, v7
	ds_write2_b32 v11, v9, v3 offset0:2 offset1:3
	v_add_u32_e32 v3, v6, v4
	v_add_u32_e32 v4, v3, v5
	;; [unrolled: 1-line block ×3, first 2 shown]
	ds_write2_b32 v11, v6, v3 offset0:4 offset1:5
	ds_write2_b32 v11, v4, v2 offset0:6 offset1:7
	s_waitcnt lgkmcnt(0)
	s_barrier
	s_cbranch_scc1 .LBB46_26
.LBB46_2:                               ; =>This Loop Header: Depth=1
                                        ;     Child Loop BB46_4 Depth 2
                                        ;     Child Loop BB46_16 Depth 2
	s_mov_b64 s[20:21], 0
	s_mov_b32 s31, 0
	v_pk_mov_b32 v[2:3], v[0:1], v[0:1] op_sel:[0,1]
	s_branch .LBB46_4
.LBB46_3:                               ;   in Loop: Header=BB46_4 Depth=2
	s_or_b64 exec, exec, s[28:29]
	s_add_i32 s31, s31, 2
	v_cmp_eq_u32_e64 s[26:27], 8, s31
	v_add_u32_e32 v3, 0x100, v3
	s_or_b64 s[20:21], s[26:27], s[20:21]
	v_add_u32_e32 v2, 0x100, v2
	s_andn2_b64 exec, exec, s[20:21]
	s_cbranch_execz .LBB46_8
.LBB46_4:                               ;   Parent Loop BB46_2 Depth=1
                                        ; =>  This Inner Loop Header: Depth=2
	s_or_b32 s26, s31, 1
	v_cmp_le_u32_e64 s[26:27], s26, 7
	v_cmp_le_u32_e64 s[34:35], s31, 7
	s_and_saveexec_b64 s[28:29], s[34:35]
	s_cbranch_execz .LBB46_6
; %bb.5:                                ;   in Loop: Header=BB46_4 Depth=2
	v_lshlrev_b32_e32 v4, 2, v2
	ds_write_b32 v4, v10
.LBB46_6:                               ;   in Loop: Header=BB46_4 Depth=2
	s_or_b64 exec, exec, s[28:29]
	s_and_saveexec_b64 s[28:29], s[26:27]
	s_cbranch_execz .LBB46_3
; %bb.7:                                ;   in Loop: Header=BB46_4 Depth=2
	v_lshlrev_b32_e32 v4, 2, v3
	ds_write_b32 v4, v10
	s_branch .LBB46_3
.LBB46_8:                               ;   in Loop: Header=BB46_2 Depth=1
	s_or_b64 exec, exec, s[20:21]
	ds_read_u16 v2, v16
	s_waitcnt lgkmcnt(0)
	v_add_u16_e32 v2, 1, v2
	ds_write_b16 v16, v2
	s_waitcnt lgkmcnt(0)
	s_barrier
	ds_read2_b32 v[8:9], v11 offset1:1
	ds_read2_b32 v[6:7], v11 offset0:2 offset1:3
	ds_read2_b32 v[4:5], v11 offset0:4 offset1:5
	;; [unrolled: 1-line block ×3, first 2 shown]
	s_waitcnt lgkmcnt(3)
	v_add_u32_e32 v17, v9, v8
	s_waitcnt lgkmcnt(2)
	v_add3_u32 v17, v17, v6, v7
	s_waitcnt lgkmcnt(1)
	v_add3_u32 v17, v17, v4, v5
	;; [unrolled: 2-line block ×3, first 2 shown]
	s_nop 1
	v_mov_b32_dpp v17, v3 row_shr:1 row_mask:0xf bank_mask:0xf
	v_cndmask_b32_e64 v17, v17, 0, s[8:9]
	v_add_u32_e32 v3, v17, v3
	s_nop 1
	v_mov_b32_dpp v17, v3 row_shr:2 row_mask:0xf bank_mask:0xf
	v_cndmask_b32_e64 v17, 0, v17, s[10:11]
	v_add_u32_e32 v3, v3, v17
	;; [unrolled: 4-line block ×4, first 2 shown]
	s_nop 1
	v_mov_b32_dpp v17, v3 row_bcast:15 row_mask:0xf bank_mask:0xf
	v_cndmask_b32_e64 v17, v17, 0, s[16:17]
	v_add_u32_e32 v3, v3, v17
	s_nop 1
	v_mov_b32_dpp v17, v3 row_bcast:31 row_mask:0xf bank_mask:0xf
	v_cndmask_b32_e64 v17, 0, v17, s[2:3]
	v_add_u32_e32 v3, v3, v17
	s_and_saveexec_b64 s[20:21], s[4:5]
	s_cbranch_execz .LBB46_10
; %bb.9:                                ;   in Loop: Header=BB46_2 Depth=1
	ds_write_b32 v13, v3 offset:4096
.LBB46_10:                              ;   in Loop: Header=BB46_2 Depth=1
	s_or_b64 exec, exec, s[20:21]
	s_waitcnt lgkmcnt(0)
	s_barrier
	s_and_saveexec_b64 s[20:21], vcc
	s_cbranch_execz .LBB46_12
; %bb.11:                               ;   in Loop: Header=BB46_2 Depth=1
	ds_read_b32 v17, v12 offset:4096
	s_waitcnt lgkmcnt(0)
	s_nop 0
	v_mov_b32_dpp v18, v17 row_shr:1 row_mask:0xf bank_mask:0xf
	v_cndmask_b32_e64 v18, v18, 0, s[18:19]
	v_add_u32_e32 v17, v18, v17
	ds_write_b32 v12, v17 offset:4096
.LBB46_12:                              ;   in Loop: Header=BB46_2 Depth=1
	s_or_b64 exec, exec, s[20:21]
	v_mov_b32_e32 v17, 0
	s_waitcnt lgkmcnt(0)
	s_barrier
	s_and_saveexec_b64 s[20:21], s[0:1]
	s_cbranch_execz .LBB46_14
; %bb.13:                               ;   in Loop: Header=BB46_2 Depth=1
	ds_read_b32 v17, v13 offset:4092
.LBB46_14:                              ;   in Loop: Header=BB46_2 Depth=1
	s_or_b64 exec, exec, s[20:21]
	s_waitcnt lgkmcnt(0)
	v_add_u32_e32 v3, v17, v3
	ds_bpermute_b32 v3, v14, v3
	ds_read_b32 v18, v10 offset:4100
	s_mov_b32 s31, 0
	s_mov_b64 s[20:21], 0
	s_waitcnt lgkmcnt(1)
	v_cndmask_b32_e64 v3, v3, v17, s[6:7]
	s_waitcnt lgkmcnt(0)
	v_lshl_add_u32 v3, v18, 16, v3
	v_add_u32_e32 v8, v3, v8
	v_add_u32_e32 v9, v8, v9
	ds_write2_b32 v11, v3, v8 offset1:1
	v_add_u32_e32 v3, v9, v6
	v_add_u32_e32 v6, v3, v7
	ds_write2_b32 v11, v9, v3 offset0:2 offset1:3
	v_add_u32_e32 v3, v6, v4
	v_add_u32_e32 v4, v3, v5
	;; [unrolled: 1-line block ×3, first 2 shown]
	ds_write2_b32 v11, v6, v3 offset0:4 offset1:5
	ds_write2_b32 v11, v4, v2 offset0:6 offset1:7
	v_pk_mov_b32 v[2:3], v[0:1], v[0:1] op_sel:[0,1]
	s_waitcnt lgkmcnt(0)
	s_barrier
	s_branch .LBB46_16
.LBB46_15:                              ;   in Loop: Header=BB46_16 Depth=2
	s_or_b64 exec, exec, s[28:29]
	s_add_i32 s31, s31, 2
	v_cmp_eq_u32_e64 s[26:27], 8, s31
	v_add_u32_e32 v3, 0x100, v3
	s_or_b64 s[20:21], s[26:27], s[20:21]
	v_add_u32_e32 v2, 0x100, v2
	s_andn2_b64 exec, exec, s[20:21]
	s_cbranch_execz .LBB46_20
.LBB46_16:                              ;   Parent Loop BB46_2 Depth=1
                                        ; =>  This Inner Loop Header: Depth=2
	s_or_b32 s26, s31, 1
	v_cmp_le_u32_e64 s[26:27], s26, 7
	v_cmp_le_u32_e64 s[34:35], s31, 7
	s_and_saveexec_b64 s[28:29], s[34:35]
	s_cbranch_execz .LBB46_18
; %bb.17:                               ;   in Loop: Header=BB46_16 Depth=2
	v_lshlrev_b32_e32 v4, 2, v2
	ds_write_b32 v4, v10
.LBB46_18:                              ;   in Loop: Header=BB46_16 Depth=2
	s_or_b64 exec, exec, s[28:29]
	s_and_saveexec_b64 s[28:29], s[26:27]
	s_cbranch_execz .LBB46_15
; %bb.19:                               ;   in Loop: Header=BB46_16 Depth=2
	v_lshlrev_b32_e32 v4, 2, v3
	ds_write_b32 v4, v10
	s_branch .LBB46_15
.LBB46_20:                              ;   in Loop: Header=BB46_2 Depth=1
	s_or_b64 exec, exec, s[20:21]
	ds_read_u16 v17, v15
	s_waitcnt lgkmcnt(0)
	v_add_u16_e32 v2, 1, v17
	ds_write_b16 v15, v2
	s_waitcnt lgkmcnt(0)
	s_barrier
	ds_read2_b32 v[8:9], v11 offset1:1
	ds_read2_b32 v[6:7], v11 offset0:2 offset1:3
	ds_read2_b32 v[4:5], v11 offset0:4 offset1:5
	;; [unrolled: 1-line block ×3, first 2 shown]
	s_waitcnt lgkmcnt(3)
	v_add_u32_e32 v18, v9, v8
	s_waitcnt lgkmcnt(2)
	v_add3_u32 v18, v18, v6, v7
	s_waitcnt lgkmcnt(1)
	v_add3_u32 v18, v18, v4, v5
	;; [unrolled: 2-line block ×3, first 2 shown]
	s_nop 1
	v_mov_b32_dpp v18, v3 row_shr:1 row_mask:0xf bank_mask:0xf
	v_cndmask_b32_e64 v18, v18, 0, s[8:9]
	v_add_u32_e32 v3, v18, v3
	s_nop 1
	v_mov_b32_dpp v18, v3 row_shr:2 row_mask:0xf bank_mask:0xf
	v_cndmask_b32_e64 v18, 0, v18, s[10:11]
	v_add_u32_e32 v3, v3, v18
	;; [unrolled: 4-line block ×4, first 2 shown]
	s_nop 1
	v_mov_b32_dpp v18, v3 row_bcast:15 row_mask:0xf bank_mask:0xf
	v_cndmask_b32_e64 v18, v18, 0, s[16:17]
	v_add_u32_e32 v3, v3, v18
	s_nop 1
	v_mov_b32_dpp v18, v3 row_bcast:31 row_mask:0xf bank_mask:0xf
	v_cndmask_b32_e64 v18, 0, v18, s[2:3]
	v_add_u32_e32 v3, v3, v18
	s_and_saveexec_b64 s[20:21], s[4:5]
	s_cbranch_execz .LBB46_22
; %bb.21:                               ;   in Loop: Header=BB46_2 Depth=1
	ds_write_b32 v13, v3 offset:4096
.LBB46_22:                              ;   in Loop: Header=BB46_2 Depth=1
	s_or_b64 exec, exec, s[20:21]
	s_waitcnt lgkmcnt(0)
	s_barrier
	s_and_saveexec_b64 s[20:21], vcc
	s_cbranch_execz .LBB46_24
; %bb.23:                               ;   in Loop: Header=BB46_2 Depth=1
	ds_read_b32 v18, v12 offset:4096
	s_waitcnt lgkmcnt(0)
	s_nop 0
	v_mov_b32_dpp v19, v18 row_shr:1 row_mask:0xf bank_mask:0xf
	v_cndmask_b32_e64 v19, v19, 0, s[18:19]
	v_add_u32_e32 v18, v19, v18
	ds_write_b32 v12, v18 offset:4096
.LBB46_24:                              ;   in Loop: Header=BB46_2 Depth=1
	s_or_b64 exec, exec, s[20:21]
	v_mov_b32_e32 v18, 0
	s_waitcnt lgkmcnt(0)
	s_barrier
	s_and_saveexec_b64 s[20:21], s[0:1]
	s_cbranch_execz .LBB46_1
; %bb.25:                               ;   in Loop: Header=BB46_2 Depth=1
	ds_read_b32 v18, v13 offset:4092
	s_branch .LBB46_1
.LBB46_26:
	ds_read_u16 v1, v15
	s_lshl_b64 s[0:1], s[24:25], 2
	s_add_u32 s0, s22, s0
	s_addc_u32 s1, s23, s1
	v_lshlrev_b32_e32 v0, 2, v0
	s_waitcnt lgkmcnt(0)
	v_add_u32_sdwa v1, v1, v17 dst_sel:DWORD dst_unused:UNUSED_PAD src0_sel:DWORD src1_sel:WORD_0
	global_store_dword v0, v1, s[0:1]
	s_endpgm
	.section	.rodata,"a",@progbits
	.p2align	6, 0x0
	.amdhsa_kernel _Z11rank_kernelIhLj4ELb0EL18RadixRankAlgorithm1ELj128ELj1ELj10EEvPKT_Pi
		.amdhsa_group_segment_fixed_size 4104
		.amdhsa_private_segment_fixed_size 0
		.amdhsa_kernarg_size 16
		.amdhsa_user_sgpr_count 6
		.amdhsa_user_sgpr_private_segment_buffer 1
		.amdhsa_user_sgpr_dispatch_ptr 0
		.amdhsa_user_sgpr_queue_ptr 0
		.amdhsa_user_sgpr_kernarg_segment_ptr 1
		.amdhsa_user_sgpr_dispatch_id 0
		.amdhsa_user_sgpr_flat_scratch_init 0
		.amdhsa_user_sgpr_kernarg_preload_length 0
		.amdhsa_user_sgpr_kernarg_preload_offset 0
		.amdhsa_user_sgpr_private_segment_size 0
		.amdhsa_uses_dynamic_stack 0
		.amdhsa_system_sgpr_private_segment_wavefront_offset 0
		.amdhsa_system_sgpr_workgroup_id_x 1
		.amdhsa_system_sgpr_workgroup_id_y 0
		.amdhsa_system_sgpr_workgroup_id_z 0
		.amdhsa_system_sgpr_workgroup_info 0
		.amdhsa_system_vgpr_workitem_id 0
		.amdhsa_next_free_vgpr 20
		.amdhsa_next_free_sgpr 36
		.amdhsa_accum_offset 20
		.amdhsa_reserve_vcc 1
		.amdhsa_reserve_flat_scratch 0
		.amdhsa_float_round_mode_32 0
		.amdhsa_float_round_mode_16_64 0
		.amdhsa_float_denorm_mode_32 3
		.amdhsa_float_denorm_mode_16_64 3
		.amdhsa_dx10_clamp 1
		.amdhsa_ieee_mode 1
		.amdhsa_fp16_overflow 0
		.amdhsa_tg_split 0
		.amdhsa_exception_fp_ieee_invalid_op 0
		.amdhsa_exception_fp_denorm_src 0
		.amdhsa_exception_fp_ieee_div_zero 0
		.amdhsa_exception_fp_ieee_overflow 0
		.amdhsa_exception_fp_ieee_underflow 0
		.amdhsa_exception_fp_ieee_inexact 0
		.amdhsa_exception_int_div_zero 0
	.end_amdhsa_kernel
	.section	.text._Z11rank_kernelIhLj4ELb0EL18RadixRankAlgorithm1ELj128ELj1ELj10EEvPKT_Pi,"axG",@progbits,_Z11rank_kernelIhLj4ELb0EL18RadixRankAlgorithm1ELj128ELj1ELj10EEvPKT_Pi,comdat
.Lfunc_end46:
	.size	_Z11rank_kernelIhLj4ELb0EL18RadixRankAlgorithm1ELj128ELj1ELj10EEvPKT_Pi, .Lfunc_end46-_Z11rank_kernelIhLj4ELb0EL18RadixRankAlgorithm1ELj128ELj1ELj10EEvPKT_Pi
                                        ; -- End function
	.section	.AMDGPU.csdata,"",@progbits
; Kernel info:
; codeLenInByte = 1584
; NumSgprs: 40
; NumVgprs: 20
; NumAgprs: 0
; TotalNumVgprs: 20
; ScratchSize: 0
; MemoryBound: 0
; FloatMode: 240
; IeeeMode: 1
; LDSByteSize: 4104 bytes/workgroup (compile time only)
; SGPRBlocks: 4
; VGPRBlocks: 2
; NumSGPRsForWavesPerEU: 40
; NumVGPRsForWavesPerEU: 20
; AccumOffset: 20
; Occupancy: 8
; WaveLimiterHint : 0
; COMPUTE_PGM_RSRC2:SCRATCH_EN: 0
; COMPUTE_PGM_RSRC2:USER_SGPR: 6
; COMPUTE_PGM_RSRC2:TRAP_HANDLER: 0
; COMPUTE_PGM_RSRC2:TGID_X_EN: 1
; COMPUTE_PGM_RSRC2:TGID_Y_EN: 0
; COMPUTE_PGM_RSRC2:TGID_Z_EN: 0
; COMPUTE_PGM_RSRC2:TIDIG_COMP_CNT: 0
; COMPUTE_PGM_RSRC3_GFX90A:ACCUM_OFFSET: 4
; COMPUTE_PGM_RSRC3_GFX90A:TG_SPLIT: 0
	.section	.text._Z11rank_kernelIhLj4ELb0EL18RadixRankAlgorithm2ELj128ELj1ELj10EEvPKT_Pi,"axG",@progbits,_Z11rank_kernelIhLj4ELb0EL18RadixRankAlgorithm2ELj128ELj1ELj10EEvPKT_Pi,comdat
	.protected	_Z11rank_kernelIhLj4ELb0EL18RadixRankAlgorithm2ELj128ELj1ELj10EEvPKT_Pi ; -- Begin function _Z11rank_kernelIhLj4ELb0EL18RadixRankAlgorithm2ELj128ELj1ELj10EEvPKT_Pi
	.globl	_Z11rank_kernelIhLj4ELb0EL18RadixRankAlgorithm2ELj128ELj1ELj10EEvPKT_Pi
	.p2align	8
	.type	_Z11rank_kernelIhLj4ELb0EL18RadixRankAlgorithm2ELj128ELj1ELj10EEvPKT_Pi,@function
_Z11rank_kernelIhLj4ELb0EL18RadixRankAlgorithm2ELj128ELj1ELj10EEvPKT_Pi: ; @_Z11rank_kernelIhLj4ELb0EL18RadixRankAlgorithm2ELj128ELj1ELj10EEvPKT_Pi
; %bb.0:
	s_load_dwordx4 s[28:31], s[4:5], 0x0
	s_load_dword s20, s[4:5], 0x1c
	s_lshl_b32 s34, s6, 7
	v_and_b32_e32 v2, 0x3ff, v0
	v_mbcnt_lo_u32_b32 v1, -1, 0
	s_waitcnt lgkmcnt(0)
	s_add_u32 s0, s28, s34
	s_addc_u32 s1, s29, 0
	global_load_ubyte v3, v2, s[0:1]
	v_mbcnt_hi_u32_b32 v1, -1, v1
	v_add_u32_e32 v9, -1, v1
	v_and_b32_e32 v10, 64, v1
	v_bfe_u32 v5, v0, 10, 10
	v_bfe_u32 v0, v0, 20, 10
	v_cmp_lt_i32_e64 s[18:19], v9, v10
	s_lshr_b32 s21, s20, 16
	v_and_b32_e32 v6, 15, v1
	v_and_b32_e32 v7, 16, v1
	v_cmp_lt_u32_e32 vcc, 31, v1
	v_cmp_eq_u32_e64 s[4:5], 0, v1
	v_and_b32_e32 v12, 1, v1
	v_cndmask_b32_e64 v1, v9, v1, s[18:19]
	s_and_b32 s20, s20, 0xffff
	v_mad_u32_u24 v0, v0, s21, v5
	v_cmp_eq_u32_e64 s[6:7], 0, v6
	v_cmp_lt_u32_e64 s[8:9], 1, v6
	v_cmp_lt_u32_e64 s[10:11], 3, v6
	;; [unrolled: 1-line block ×3, first 2 shown]
	v_cmp_eq_u32_e64 s[14:15], 0, v7
	v_lshlrev_b32_e32 v18, 2, v1
	v_mov_b32_e32 v4, 0
	v_lshrrev_b32_e32 v11, 4, v2
	v_and_b32_e32 v15, 4, v11
	v_or_b32_e32 v8, 63, v2
	v_cmp_eq_u32_e64 s[16:17], v8, v2
	v_cmp_eq_u32_e64 s[18:19], 0, v12
	s_mov_b32 s35, 0
	s_mov_b32 s33, 10
	v_lshlrev_b32_e32 v13, 2, v2
	v_cmp_gt_u32_e64 s[0:1], 2, v2
	v_cmp_lt_u32_e64 s[2:3], 63, v2
	v_add_u32_e32 v19, -4, v15
	s_waitcnt vmcnt(0)
	v_mad_u64_u32 v[0:1], s[20:21], v0, s20, v[2:3]
	v_and_b32_e32 v6, 1, v3
	v_bfe_u32 v7, v3, 4, 1
	v_add_co_u32_e64 v20, s[20:21], -1, v6
	v_add_co_u32_e64 v22, s[22:23], -1, v7
	v_lshlrev_b32_e32 v5, 30, v3
	v_addc_co_u32_e64 v21, s[20:21], 0, -1, s[20:21]
	v_addc_co_u32_e64 v23, s[22:23], 0, -1, s[22:23]
	v_cmp_gt_i64_e64 s[20:21], 0, v[4:5]
	v_not_b32_e32 v10, v5
	v_lshlrev_b32_e32 v5, 29, v3
	v_cmp_eq_u32_e64 s[22:23], 1, v6
	v_lshrrev_b32_e32 v9, 4, v3
	v_cndmask_b32_e64 v24, 0, 1, s[22:23]
	v_not_b32_e32 v6, v5
	v_cmp_gt_i64_e64 s[22:23], 0, v[4:5]
	v_lshlrev_b32_e32 v5, 28, v3
	v_lshrrev_b32_e32 v1, 6, v0
	v_and_b32_e32 v0, 15, v3
	v_cmp_gt_i64_e64 s[24:25], 0, v[4:5]
	v_not_b32_e32 v7, v5
	v_lshlrev_b32_e32 v5, 30, v9
	v_mul_u32_u24_e32 v11, 3, v0
	v_ashrrev_i32_e32 v0, 31, v10
	v_cmp_gt_i64_e64 s[26:27], 0, v[4:5]
	v_not_b32_e32 v10, v5
	v_lshlrev_b32_e32 v5, 29, v9
	v_add_lshl_u32 v27, v1, v11, 2
	v_cmp_gt_i64_e64 s[28:29], 0, v[4:5]
	v_not_b32_e32 v11, v5
	v_lshlrev_b32_e32 v5, 28, v9
	v_and_b32_e32 v16, 16, v3
	v_mul_u32_u24_e32 v8, 3, v9
	v_ashrrev_i32_e32 v12, 31, v11
	v_not_b32_e32 v11, v5
	v_add_lshl_u32 v25, v1, v8, 2
	v_ashrrev_i32_e32 v6, 31, v6
	v_ashrrev_i32_e32 v8, 31, v7
	;; [unrolled: 1-line block ×4, first 2 shown]
	v_cndmask_b32_e64 v28, 0, 1, s[22:23]
	v_cmp_ne_u32_e64 s[22:23], 0, v16
	v_cndmask_b32_e64 v26, 0, 1, s[20:21]
	v_mov_b32_e32 v1, v0
	v_mov_b32_e32 v3, v6
	;; [unrolled: 1-line block ×4, first 2 shown]
	v_cmp_gt_i64_e64 s[20:21], 0, v[4:5]
	v_mov_b32_e32 v5, v12
	v_mov_b32_e32 v11, v14
	v_cndmask_b32_e64 v29, 0, 1, s[24:25]
	v_cndmask_b32_e64 v30, 0, 1, s[22:23]
	;; [unrolled: 1-line block ×4, first 2 shown]
	s_branch .LBB47_2
.LBB47_1:                               ;   in Loop: Header=BB47_2 Depth=1
	s_or_b64 exec, exec, s[22:23]
	s_waitcnt lgkmcnt(0)
	v_add_u32_e32 v16, v17, v16
	ds_bpermute_b32 v16, v18, v16
	s_add_i32 s33, s33, -1
	s_cmp_eq_u32 s33, 0
	s_waitcnt lgkmcnt(0)
	v_cndmask_b32_e64 v16, v16, v17, s[4:5]
	ds_write_b32 v13, v16 offset:8
	s_waitcnt lgkmcnt(0)
	s_barrier
	s_cbranch_scc1 .LBB47_18
.LBB47_2:                               ; =>This Inner Loop Header: Depth=1
	v_cmp_ne_u32_e64 s[22:23], 0, v24
	v_xor_b32_e32 v16, s23, v21
	v_xor_b32_e32 v17, s22, v20
	v_cmp_ne_u32_e64 s[22:23], 0, v26
	v_and_b32_e32 v16, exec_hi, v16
	v_and_b32_e32 v17, exec_lo, v17
	v_xor_b32_e32 v33, s23, v1
	v_xor_b32_e32 v34, s22, v0
	v_cmp_ne_u32_e64 s[22:23], 0, v28
	v_and_b32_e32 v16, v16, v33
	v_and_b32_e32 v17, v17, v34
	v_xor_b32_e32 v33, s23, v3
	v_xor_b32_e32 v34, s22, v6
	v_cmp_ne_u32_e64 s[22:23], 0, v29
	v_and_b32_e32 v16, v16, v33
	v_and_b32_e32 v33, v17, v34
	v_xor_b32_e32 v17, s23, v7
	v_xor_b32_e32 v34, s22, v8
	v_and_b32_e32 v17, v16, v17
	v_and_b32_e32 v16, v33, v34
	v_mbcnt_lo_u32_b32 v33, v16, 0
	v_mbcnt_hi_u32_b32 v33, v17, v33
	v_cmp_eq_u32_e64 s[22:23], 0, v33
	v_cmp_ne_u64_e64 s[24:25], 0, v[16:17]
	s_and_b64 s[24:25], s[24:25], s[22:23]
	ds_write_b32 v13, v4 offset:8
	s_waitcnt lgkmcnt(0)
	s_barrier
	s_waitcnt lgkmcnt(0)
	; wave barrier
	s_and_saveexec_b64 s[22:23], s[24:25]
	s_cbranch_execz .LBB47_4
; %bb.3:                                ;   in Loop: Header=BB47_2 Depth=1
	v_bcnt_u32_b32 v16, v16, 0
	v_bcnt_u32_b32 v16, v17, v16
	ds_write_b32 v27, v16 offset:8
.LBB47_4:                               ;   in Loop: Header=BB47_2 Depth=1
	s_or_b64 exec, exec, s[22:23]
	; wave barrier
	s_waitcnt lgkmcnt(0)
	s_barrier
	ds_read_b32 v16, v13 offset:8
	s_waitcnt lgkmcnt(0)
	s_nop 0
	v_mov_b32_dpp v17, v16 row_shr:1 row_mask:0xf bank_mask:0xf
	v_cndmask_b32_e64 v17, v17, 0, s[6:7]
	v_add_u32_e32 v16, v17, v16
	s_nop 1
	v_mov_b32_dpp v17, v16 row_shr:2 row_mask:0xf bank_mask:0xf
	v_cndmask_b32_e64 v17, 0, v17, s[8:9]
	v_add_u32_e32 v16, v16, v17
	;; [unrolled: 4-line block ×4, first 2 shown]
	s_nop 1
	v_mov_b32_dpp v17, v16 row_bcast:15 row_mask:0xf bank_mask:0xf
	v_cndmask_b32_e64 v17, v17, 0, s[14:15]
	v_add_u32_e32 v16, v16, v17
	s_nop 1
	v_mov_b32_dpp v17, v16 row_bcast:31 row_mask:0xf bank_mask:0xf
	v_cndmask_b32_e32 v17, 0, v17, vcc
	v_add_u32_e32 v16, v16, v17
	s_and_saveexec_b64 s[22:23], s[16:17]
	s_cbranch_execz .LBB47_6
; %bb.5:                                ;   in Loop: Header=BB47_2 Depth=1
	ds_write_b32 v15, v16
.LBB47_6:                               ;   in Loop: Header=BB47_2 Depth=1
	s_or_b64 exec, exec, s[22:23]
	s_waitcnt lgkmcnt(0)
	s_barrier
	s_and_saveexec_b64 s[22:23], s[0:1]
	s_cbranch_execz .LBB47_8
; %bb.7:                                ;   in Loop: Header=BB47_2 Depth=1
	ds_read_b32 v17, v13
	s_waitcnt lgkmcnt(0)
	s_nop 0
	v_mov_b32_dpp v33, v17 row_shr:1 row_mask:0xf bank_mask:0xf
	v_cndmask_b32_e64 v33, v33, 0, s[18:19]
	v_add_u32_e32 v17, v33, v17
	ds_write_b32 v13, v17
.LBB47_8:                               ;   in Loop: Header=BB47_2 Depth=1
	s_or_b64 exec, exec, s[22:23]
	v_mov_b32_e32 v17, 0
	s_waitcnt lgkmcnt(0)
	s_barrier
	s_and_saveexec_b64 s[22:23], s[2:3]
	s_cbranch_execz .LBB47_10
; %bb.9:                                ;   in Loop: Header=BB47_2 Depth=1
	ds_read_b32 v17, v19
.LBB47_10:                              ;   in Loop: Header=BB47_2 Depth=1
	s_or_b64 exec, exec, s[22:23]
	s_waitcnt lgkmcnt(0)
	v_add_u32_e32 v16, v17, v16
	ds_bpermute_b32 v16, v18, v16
	v_cmp_ne_u32_e64 s[22:23], 0, v30
	s_waitcnt lgkmcnt(0)
	v_cndmask_b32_e64 v16, v16, v17, s[4:5]
	ds_write_b32 v13, v16 offset:8
	v_xor_b32_e32 v16, s23, v23
	v_xor_b32_e32 v17, s22, v22
	v_cmp_ne_u32_e64 s[22:23], 0, v31
	v_and_b32_e32 v16, exec_hi, v16
	v_and_b32_e32 v17, exec_lo, v17
	v_xor_b32_e32 v33, s23, v9
	v_xor_b32_e32 v34, s22, v10
	v_cmp_ne_u32_e64 s[22:23], 0, v32
	v_and_b32_e32 v16, v16, v33
	v_and_b32_e32 v17, v17, v34
	v_xor_b32_e32 v33, s23, v5
	v_xor_b32_e32 v34, s22, v12
	v_and_b32_e32 v16, v16, v33
	v_and_b32_e32 v33, v17, v34
	v_cndmask_b32_e64 v17, 0, 1, s[20:21]
	v_cmp_ne_u32_e64 s[22:23], 0, v17
	v_xor_b32_e32 v17, s23, v11
	v_xor_b32_e32 v34, s22, v14
	v_and_b32_e32 v17, v16, v17
	v_and_b32_e32 v16, v33, v34
	v_mbcnt_lo_u32_b32 v33, v16, 0
	v_mbcnt_hi_u32_b32 v33, v17, v33
	v_cmp_eq_u32_e64 s[22:23], 0, v33
	v_cmp_ne_u64_e64 s[24:25], 0, v[16:17]
	s_and_b64 s[24:25], s[24:25], s[22:23]
	s_waitcnt lgkmcnt(0)
	s_barrier
	ds_write_b32 v13, v4 offset:8
	s_waitcnt lgkmcnt(0)
	s_barrier
	s_waitcnt lgkmcnt(0)
	; wave barrier
	s_and_saveexec_b64 s[22:23], s[24:25]
	s_cbranch_execz .LBB47_12
; %bb.11:                               ;   in Loop: Header=BB47_2 Depth=1
	v_bcnt_u32_b32 v16, v16, 0
	v_bcnt_u32_b32 v16, v17, v16
	ds_write_b32 v25, v16 offset:8
.LBB47_12:                              ;   in Loop: Header=BB47_2 Depth=1
	s_or_b64 exec, exec, s[22:23]
	; wave barrier
	s_waitcnt lgkmcnt(0)
	s_barrier
	ds_read_b32 v16, v13 offset:8
	s_waitcnt lgkmcnt(0)
	s_nop 0
	v_mov_b32_dpp v17, v16 row_shr:1 row_mask:0xf bank_mask:0xf
	v_cndmask_b32_e64 v17, v17, 0, s[6:7]
	v_add_u32_e32 v16, v17, v16
	s_nop 1
	v_mov_b32_dpp v17, v16 row_shr:2 row_mask:0xf bank_mask:0xf
	v_cndmask_b32_e64 v17, 0, v17, s[8:9]
	v_add_u32_e32 v16, v16, v17
	;; [unrolled: 4-line block ×4, first 2 shown]
	s_nop 1
	v_mov_b32_dpp v17, v16 row_bcast:15 row_mask:0xf bank_mask:0xf
	v_cndmask_b32_e64 v17, v17, 0, s[14:15]
	v_add_u32_e32 v16, v16, v17
	s_nop 1
	v_mov_b32_dpp v17, v16 row_bcast:31 row_mask:0xf bank_mask:0xf
	v_cndmask_b32_e32 v17, 0, v17, vcc
	v_add_u32_e32 v16, v16, v17
	s_and_saveexec_b64 s[22:23], s[16:17]
	s_cbranch_execz .LBB47_14
; %bb.13:                               ;   in Loop: Header=BB47_2 Depth=1
	ds_write_b32 v15, v16
.LBB47_14:                              ;   in Loop: Header=BB47_2 Depth=1
	s_or_b64 exec, exec, s[22:23]
	s_waitcnt lgkmcnt(0)
	s_barrier
	s_and_saveexec_b64 s[22:23], s[0:1]
	s_cbranch_execz .LBB47_16
; %bb.15:                               ;   in Loop: Header=BB47_2 Depth=1
	ds_read_b32 v17, v13
	s_waitcnt lgkmcnt(0)
	s_nop 0
	v_mov_b32_dpp v34, v17 row_shr:1 row_mask:0xf bank_mask:0xf
	v_cndmask_b32_e64 v34, v34, 0, s[18:19]
	v_add_u32_e32 v17, v34, v17
	ds_write_b32 v13, v17
.LBB47_16:                              ;   in Loop: Header=BB47_2 Depth=1
	s_or_b64 exec, exec, s[22:23]
	v_mov_b32_e32 v17, 0
	s_waitcnt lgkmcnt(0)
	s_barrier
	s_and_saveexec_b64 s[22:23], s[2:3]
	s_cbranch_execz .LBB47_1
; %bb.17:                               ;   in Loop: Header=BB47_2 Depth=1
	ds_read_b32 v17, v19
	s_branch .LBB47_1
.LBB47_18:
	ds_read_b32 v0, v25 offset:8
	s_lshl_b64 s[0:1], s[34:35], 2
	s_add_u32 s0, s30, s0
	s_addc_u32 s1, s31, s1
	v_lshlrev_b32_e32 v1, 2, v2
	s_waitcnt lgkmcnt(0)
	v_add_u32_e32 v0, v0, v33
	global_store_dword v1, v0, s[0:1]
	s_endpgm
	.section	.rodata,"a",@progbits
	.p2align	6, 0x0
	.amdhsa_kernel _Z11rank_kernelIhLj4ELb0EL18RadixRankAlgorithm2ELj128ELj1ELj10EEvPKT_Pi
		.amdhsa_group_segment_fixed_size 520
		.amdhsa_private_segment_fixed_size 0
		.amdhsa_kernarg_size 272
		.amdhsa_user_sgpr_count 6
		.amdhsa_user_sgpr_private_segment_buffer 1
		.amdhsa_user_sgpr_dispatch_ptr 0
		.amdhsa_user_sgpr_queue_ptr 0
		.amdhsa_user_sgpr_kernarg_segment_ptr 1
		.amdhsa_user_sgpr_dispatch_id 0
		.amdhsa_user_sgpr_flat_scratch_init 0
		.amdhsa_user_sgpr_kernarg_preload_length 0
		.amdhsa_user_sgpr_kernarg_preload_offset 0
		.amdhsa_user_sgpr_private_segment_size 0
		.amdhsa_uses_dynamic_stack 0
		.amdhsa_system_sgpr_private_segment_wavefront_offset 0
		.amdhsa_system_sgpr_workgroup_id_x 1
		.amdhsa_system_sgpr_workgroup_id_y 0
		.amdhsa_system_sgpr_workgroup_id_z 0
		.amdhsa_system_sgpr_workgroup_info 0
		.amdhsa_system_vgpr_workitem_id 2
		.amdhsa_next_free_vgpr 35
		.amdhsa_next_free_sgpr 36
		.amdhsa_accum_offset 36
		.amdhsa_reserve_vcc 1
		.amdhsa_reserve_flat_scratch 0
		.amdhsa_float_round_mode_32 0
		.amdhsa_float_round_mode_16_64 0
		.amdhsa_float_denorm_mode_32 3
		.amdhsa_float_denorm_mode_16_64 3
		.amdhsa_dx10_clamp 1
		.amdhsa_ieee_mode 1
		.amdhsa_fp16_overflow 0
		.amdhsa_tg_split 0
		.amdhsa_exception_fp_ieee_invalid_op 0
		.amdhsa_exception_fp_denorm_src 0
		.amdhsa_exception_fp_ieee_div_zero 0
		.amdhsa_exception_fp_ieee_overflow 0
		.amdhsa_exception_fp_ieee_underflow 0
		.amdhsa_exception_fp_ieee_inexact 0
		.amdhsa_exception_int_div_zero 0
	.end_amdhsa_kernel
	.section	.text._Z11rank_kernelIhLj4ELb0EL18RadixRankAlgorithm2ELj128ELj1ELj10EEvPKT_Pi,"axG",@progbits,_Z11rank_kernelIhLj4ELb0EL18RadixRankAlgorithm2ELj128ELj1ELj10EEvPKT_Pi,comdat
.Lfunc_end47:
	.size	_Z11rank_kernelIhLj4ELb0EL18RadixRankAlgorithm2ELj128ELj1ELj10EEvPKT_Pi, .Lfunc_end47-_Z11rank_kernelIhLj4ELb0EL18RadixRankAlgorithm2ELj128ELj1ELj10EEvPKT_Pi
                                        ; -- End function
	.section	.AMDGPU.csdata,"",@progbits
; Kernel info:
; codeLenInByte = 1656
; NumSgprs: 40
; NumVgprs: 35
; NumAgprs: 0
; TotalNumVgprs: 35
; ScratchSize: 0
; MemoryBound: 0
; FloatMode: 240
; IeeeMode: 1
; LDSByteSize: 520 bytes/workgroup (compile time only)
; SGPRBlocks: 4
; VGPRBlocks: 4
; NumSGPRsForWavesPerEU: 40
; NumVGPRsForWavesPerEU: 35
; AccumOffset: 36
; Occupancy: 8
; WaveLimiterHint : 0
; COMPUTE_PGM_RSRC2:SCRATCH_EN: 0
; COMPUTE_PGM_RSRC2:USER_SGPR: 6
; COMPUTE_PGM_RSRC2:TRAP_HANDLER: 0
; COMPUTE_PGM_RSRC2:TGID_X_EN: 1
; COMPUTE_PGM_RSRC2:TGID_Y_EN: 0
; COMPUTE_PGM_RSRC2:TGID_Z_EN: 0
; COMPUTE_PGM_RSRC2:TIDIG_COMP_CNT: 2
; COMPUTE_PGM_RSRC3_GFX90A:ACCUM_OFFSET: 8
; COMPUTE_PGM_RSRC3_GFX90A:TG_SPLIT: 0
	.section	.text._Z11rank_kernelIhLj4ELb0EL18RadixRankAlgorithm0ELj128ELj4ELj10EEvPKT_Pi,"axG",@progbits,_Z11rank_kernelIhLj4ELb0EL18RadixRankAlgorithm0ELj128ELj4ELj10EEvPKT_Pi,comdat
	.protected	_Z11rank_kernelIhLj4ELb0EL18RadixRankAlgorithm0ELj128ELj4ELj10EEvPKT_Pi ; -- Begin function _Z11rank_kernelIhLj4ELb0EL18RadixRankAlgorithm0ELj128ELj4ELj10EEvPKT_Pi
	.globl	_Z11rank_kernelIhLj4ELb0EL18RadixRankAlgorithm0ELj128ELj4ELj10EEvPKT_Pi
	.p2align	8
	.type	_Z11rank_kernelIhLj4ELb0EL18RadixRankAlgorithm0ELj128ELj4ELj10EEvPKT_Pi,@function
_Z11rank_kernelIhLj4ELb0EL18RadixRankAlgorithm0ELj128ELj4ELj10EEvPKT_Pi: ; @_Z11rank_kernelIhLj4ELb0EL18RadixRankAlgorithm0ELj128ELj4ELj10EEvPKT_Pi
; %bb.0:
	s_load_dwordx4 s[20:23], s[4:5], 0x0
	s_lshl_b32 s24, s6, 9
	v_lshlrev_b32_e32 v2, 2, v0
	v_mbcnt_lo_u32_b32 v1, -1, 0
	v_mbcnt_hi_u32_b32 v5, -1, v1
	s_waitcnt lgkmcnt(0)
	s_add_u32 s0, s20, s24
	s_addc_u32 s1, s21, 0
	global_load_dword v4, v2, s[0:1]
	v_add_u32_e32 v11, -1, v5
	v_and_b32_e32 v12, 64, v5
	v_or_b32_e32 v7, 63, v0
	v_lshrrev_b32_e32 v8, 4, v0
	v_cmp_lt_i32_e64 s[18:19], v11, v12
	s_movk_i32 s20, 0x380
	v_and_b32_e32 v9, 15, v5
	v_and_b32_e32 v10, 16, v5
	v_cmp_lt_u32_e64 s[2:3], 31, v5
	v_cmp_eq_u32_e64 s[4:5], v7, v0
	v_cmp_eq_u32_e64 s[6:7], 0, v5
	v_and_b32_e32 v7, 4, v8
	v_and_b32_e32 v8, 1, v5
	v_cndmask_b32_e64 v5, v11, v5, s[18:19]
	v_cmp_eq_u32_e64 s[8:9], 0, v9
	v_cmp_lt_u32_e64 s[10:11], 1, v9
	v_cmp_lt_u32_e64 s[12:13], 3, v9
	v_cmp_lt_u32_e64 s[14:15], 7, v9
	v_cmp_eq_u32_e64 s[16:17], 0, v10
	v_cmp_eq_u32_e64 s[18:19], 0, v8
	v_lshlrev_b32_e32 v8, 2, v5
	s_mov_b32 s25, 0
	v_mov_b32_e32 v3, 0
	v_lshlrev_b32_e32 v6, 5, v0
	v_cmp_gt_u32_e32 vcc, 2, v0
	v_cmp_lt_u32_e64 s[0:1], 63, v0
	v_or_b32_e32 v1, 0x80, v0
	s_mov_b32 s30, s25
	s_waitcnt vmcnt(0)
	v_lshrrev_b32_e32 v22, 21, v4
	v_lshlrev_b32_e32 v5, 3, v4
	v_lshrrev_b32_e32 v9, 6, v4
	v_lshlrev_b32_e32 v10, 7, v4
	v_lshrrev_b32_e32 v11, 2, v4
	v_lshrrev_b32_e32 v12, 1, v4
	;; [unrolled: 1-line block ×11, first 2 shown]
	v_and_or_b32 v22, v22, s20, v0
	v_and_or_b32 v5, v5, s20, v0
	v_and_b32_e32 v9, 2, v9
	v_and_or_b32 v10, v10, s20, v0
	v_and_b32_e32 v11, 2, v11
	;; [unrolled: 2-line block ×7, first 2 shown]
	v_alignbit_b32 v4, v22, v4, 30
	v_lshl_or_b32 v9, v5, 2, v9
	v_lshl_or_b32 v13, v10, 2, v11
	;; [unrolled: 1-line block ×7, first 2 shown]
	v_and_b32_e32 v12, 0xffe, v4
	s_branch .LBB48_2
.LBB48_1:                               ;   in Loop: Header=BB48_2 Depth=1
	s_or_b64 exec, exec, s[20:21]
	s_waitcnt lgkmcnt(0)
	v_add_u32_e32 v19, v20, v19
	ds_bpermute_b32 v19, v8, v19
	ds_read_b32 v22, v3 offset:4100
	s_add_i32 s30, s30, 1
	s_cmp_eq_u32 s30, 10
	s_waitcnt lgkmcnt(1)
	v_cndmask_b32_e64 v19, v19, v20, s[6:7]
	ds_read2_b32 v[20:21], v6 offset1:1
	s_waitcnt lgkmcnt(1)
	v_lshl_add_u32 v19, v22, 16, v19
	ds_read2_b32 v[22:23], v6 offset0:2 offset1:3
	ds_read2_b32 v[24:25], v6 offset0:4 offset1:5
	ds_read_b32 v26, v6 offset:24
	s_waitcnt lgkmcnt(3)
	v_add_u32_e32 v20, v19, v20
	ds_write2_b32 v6, v19, v20 offset1:1
	v_add_u32_e32 v19, v21, v20
	s_waitcnt lgkmcnt(3)
	v_add_u32_e32 v20, v22, v19
	ds_write2_b32 v6, v19, v20 offset0:2 offset1:3
	v_add_u32_e32 v19, v23, v20
	s_waitcnt lgkmcnt(3)
	v_add_u32_e32 v20, v24, v19
	ds_write2_b32 v6, v19, v20 offset0:4 offset1:5
	;; [unrolled: 4-line block ×3, first 2 shown]
	s_waitcnt lgkmcnt(0)
	s_barrier
	s_cbranch_scc1 .LBB48_26
.LBB48_2:                               ; =>This Loop Header: Depth=1
                                        ;     Child Loop BB48_4 Depth 2
                                        ;     Child Loop BB48_16 Depth 2
	s_mov_b64 s[20:21], 0
	s_mov_b32 s31, 0
	v_pk_mov_b32 v[4:5], v[0:1], v[0:1] op_sel:[0,1]
	s_branch .LBB48_4
.LBB48_3:                               ;   in Loop: Header=BB48_4 Depth=2
	s_or_b64 exec, exec, s[28:29]
	s_add_i32 s31, s31, 2
	v_cmp_eq_u32_e64 s[26:27], 8, s31
	v_add_u32_e32 v5, 0x100, v5
	s_or_b64 s[20:21], s[26:27], s[20:21]
	v_add_u32_e32 v4, 0x100, v4
	s_andn2_b64 exec, exec, s[20:21]
	s_cbranch_execz .LBB48_8
.LBB48_4:                               ;   Parent Loop BB48_2 Depth=1
                                        ; =>  This Inner Loop Header: Depth=2
	s_or_b32 s26, s31, 1
	v_cmp_le_u32_e64 s[26:27], s26, 7
	v_cmp_le_u32_e64 s[34:35], s31, 7
	s_and_saveexec_b64 s[28:29], s[34:35]
	s_cbranch_execz .LBB48_6
; %bb.5:                                ;   in Loop: Header=BB48_4 Depth=2
	v_lshlrev_b32_e32 v17, 2, v4
	ds_write_b32 v17, v3
.LBB48_6:                               ;   in Loop: Header=BB48_4 Depth=2
	s_or_b64 exec, exec, s[28:29]
	s_and_saveexec_b64 s[28:29], s[26:27]
	s_cbranch_execz .LBB48_3
; %bb.7:                                ;   in Loop: Header=BB48_4 Depth=2
	v_lshlrev_b32_e32 v17, 2, v5
	ds_write_b32 v17, v3
	s_branch .LBB48_3
.LBB48_8:                               ;   in Loop: Header=BB48_2 Depth=1
	s_or_b64 exec, exec, s[20:21]
	ds_read_u16 v4, v13
	s_waitcnt lgkmcnt(0)
	v_add_u16_e32 v4, 1, v4
	ds_write_b16 v13, v4
	ds_read_u16 v4, v14
	s_waitcnt lgkmcnt(0)
	v_add_u16_e32 v4, 1, v4
	ds_write_b16 v14, v4
	;; [unrolled: 4-line block ×4, first 2 shown]
	s_waitcnt lgkmcnt(0)
	s_barrier
	ds_read2_b32 v[4:5], v6 offset1:1
	ds_read2_b32 v[18:19], v6 offset0:2 offset1:3
	ds_read2_b32 v[20:21], v6 offset0:4 offset1:5
	;; [unrolled: 1-line block ×3, first 2 shown]
	s_waitcnt lgkmcnt(3)
	v_add_u32_e32 v4, v5, v4
	s_waitcnt lgkmcnt(2)
	v_add3_u32 v4, v4, v18, v19
	s_waitcnt lgkmcnt(1)
	v_add3_u32 v4, v4, v20, v21
	;; [unrolled: 2-line block ×3, first 2 shown]
	s_nop 1
	v_mov_b32_dpp v5, v4 row_shr:1 row_mask:0xf bank_mask:0xf
	v_cndmask_b32_e64 v5, v5, 0, s[8:9]
	v_add_u32_e32 v4, v5, v4
	s_nop 1
	v_mov_b32_dpp v5, v4 row_shr:2 row_mask:0xf bank_mask:0xf
	v_cndmask_b32_e64 v5, 0, v5, s[10:11]
	v_add_u32_e32 v4, v4, v5
	;; [unrolled: 4-line block ×4, first 2 shown]
	s_nop 1
	v_mov_b32_dpp v5, v4 row_bcast:15 row_mask:0xf bank_mask:0xf
	v_cndmask_b32_e64 v5, v5, 0, s[16:17]
	v_add_u32_e32 v4, v4, v5
	s_nop 1
	v_mov_b32_dpp v5, v4 row_bcast:31 row_mask:0xf bank_mask:0xf
	v_cndmask_b32_e64 v5, 0, v5, s[2:3]
	v_add_u32_e32 v4, v4, v5
	s_and_saveexec_b64 s[20:21], s[4:5]
	s_cbranch_execz .LBB48_10
; %bb.9:                                ;   in Loop: Header=BB48_2 Depth=1
	ds_write_b32 v7, v4 offset:4096
.LBB48_10:                              ;   in Loop: Header=BB48_2 Depth=1
	s_or_b64 exec, exec, s[20:21]
	s_waitcnt lgkmcnt(0)
	s_barrier
	s_and_saveexec_b64 s[20:21], vcc
	s_cbranch_execz .LBB48_12
; %bb.11:                               ;   in Loop: Header=BB48_2 Depth=1
	ds_read_b32 v5, v2 offset:4096
	s_waitcnt lgkmcnt(0)
	s_nop 0
	v_mov_b32_dpp v17, v5 row_shr:1 row_mask:0xf bank_mask:0xf
	v_cndmask_b32_e64 v17, v17, 0, s[18:19]
	v_add_u32_e32 v5, v17, v5
	ds_write_b32 v2, v5 offset:4096
.LBB48_12:                              ;   in Loop: Header=BB48_2 Depth=1
	s_or_b64 exec, exec, s[20:21]
	v_mov_b32_e32 v5, 0
	s_waitcnt lgkmcnt(0)
	s_barrier
	s_and_saveexec_b64 s[20:21], s[0:1]
	s_cbranch_execz .LBB48_14
; %bb.13:                               ;   in Loop: Header=BB48_2 Depth=1
	ds_read_b32 v5, v7 offset:4092
.LBB48_14:                              ;   in Loop: Header=BB48_2 Depth=1
	s_or_b64 exec, exec, s[20:21]
	s_waitcnt lgkmcnt(0)
	v_add_u32_e32 v4, v5, v4
	ds_bpermute_b32 v4, v8, v4
	ds_read_b32 v17, v3 offset:4100
	s_mov_b32 s31, 0
	s_mov_b64 s[20:21], 0
	s_waitcnt lgkmcnt(1)
	v_cndmask_b32_e64 v18, v4, v5, s[6:7]
	ds_read2_b32 v[4:5], v6 offset1:1
	s_waitcnt lgkmcnt(1)
	v_lshl_add_u32 v17, v17, 16, v18
	ds_read2_b32 v[18:19], v6 offset0:2 offset1:3
	ds_read2_b32 v[20:21], v6 offset0:4 offset1:5
	ds_read_b32 v22, v6 offset:24
	s_waitcnt lgkmcnt(3)
	v_add_u32_e32 v4, v17, v4
	ds_write2_b32 v6, v17, v4 offset1:1
	v_add_u32_e32 v4, v5, v4
	s_waitcnt lgkmcnt(3)
	v_add_u32_e32 v5, v18, v4
	ds_write2_b32 v6, v4, v5 offset0:2 offset1:3
	v_add_u32_e32 v4, v19, v5
	s_waitcnt lgkmcnt(3)
	v_add_u32_e32 v5, v20, v4
	ds_write2_b32 v6, v4, v5 offset0:4 offset1:5
	;; [unrolled: 4-line block ×3, first 2 shown]
	v_pk_mov_b32 v[4:5], v[0:1], v[0:1] op_sel:[0,1]
	s_waitcnt lgkmcnt(0)
	s_barrier
	s_branch .LBB48_16
.LBB48_15:                              ;   in Loop: Header=BB48_16 Depth=2
	s_or_b64 exec, exec, s[28:29]
	s_add_i32 s31, s31, 2
	v_cmp_eq_u32_e64 s[26:27], 8, s31
	v_add_u32_e32 v5, 0x100, v5
	s_or_b64 s[20:21], s[26:27], s[20:21]
	v_add_u32_e32 v4, 0x100, v4
	s_andn2_b64 exec, exec, s[20:21]
	s_cbranch_execz .LBB48_20
.LBB48_16:                              ;   Parent Loop BB48_2 Depth=1
                                        ; =>  This Inner Loop Header: Depth=2
	s_or_b32 s26, s31, 1
	v_cmp_le_u32_e64 s[26:27], s26, 7
	v_cmp_le_u32_e64 s[34:35], s31, 7
	s_and_saveexec_b64 s[28:29], s[34:35]
	s_cbranch_execz .LBB48_18
; %bb.17:                               ;   in Loop: Header=BB48_16 Depth=2
	v_lshlrev_b32_e32 v17, 2, v4
	ds_write_b32 v17, v3
.LBB48_18:                              ;   in Loop: Header=BB48_16 Depth=2
	s_or_b64 exec, exec, s[28:29]
	s_and_saveexec_b64 s[28:29], s[26:27]
	s_cbranch_execz .LBB48_15
; %bb.19:                               ;   in Loop: Header=BB48_16 Depth=2
	v_lshlrev_b32_e32 v17, 2, v5
	ds_write_b32 v17, v3
	s_branch .LBB48_15
.LBB48_20:                              ;   in Loop: Header=BB48_2 Depth=1
	s_or_b64 exec, exec, s[20:21]
	ds_read_u16 v4, v9
	s_waitcnt lgkmcnt(0)
	v_add_u16_e32 v5, 1, v4
	ds_write_b16 v9, v5
	ds_read_u16 v5, v10
	s_waitcnt lgkmcnt(0)
	v_add_u16_e32 v17, 1, v5
	ds_write_b16 v10, v17
	;; [unrolled: 4-line block ×4, first 2 shown]
	s_waitcnt lgkmcnt(0)
	s_barrier
	ds_read2_b32 v[20:21], v6 offset1:1
	ds_read2_b32 v[22:23], v6 offset0:2 offset1:3
	ds_read2_b32 v[24:25], v6 offset0:4 offset1:5
	;; [unrolled: 1-line block ×3, first 2 shown]
	s_waitcnt lgkmcnt(3)
	v_add_u32_e32 v19, v21, v20
	s_waitcnt lgkmcnt(2)
	v_add3_u32 v19, v19, v22, v23
	s_waitcnt lgkmcnt(1)
	v_add3_u32 v19, v19, v24, v25
	s_waitcnt lgkmcnt(0)
	v_add3_u32 v19, v19, v26, v27
	s_nop 1
	v_mov_b32_dpp v20, v19 row_shr:1 row_mask:0xf bank_mask:0xf
	v_cndmask_b32_e64 v20, v20, 0, s[8:9]
	v_add_u32_e32 v19, v20, v19
	s_nop 1
	v_mov_b32_dpp v20, v19 row_shr:2 row_mask:0xf bank_mask:0xf
	v_cndmask_b32_e64 v20, 0, v20, s[10:11]
	v_add_u32_e32 v19, v19, v20
	;; [unrolled: 4-line block ×4, first 2 shown]
	s_nop 1
	v_mov_b32_dpp v20, v19 row_bcast:15 row_mask:0xf bank_mask:0xf
	v_cndmask_b32_e64 v20, v20, 0, s[16:17]
	v_add_u32_e32 v19, v19, v20
	s_nop 1
	v_mov_b32_dpp v20, v19 row_bcast:31 row_mask:0xf bank_mask:0xf
	v_cndmask_b32_e64 v20, 0, v20, s[2:3]
	v_add_u32_e32 v19, v19, v20
	s_and_saveexec_b64 s[20:21], s[4:5]
	s_cbranch_execz .LBB48_22
; %bb.21:                               ;   in Loop: Header=BB48_2 Depth=1
	ds_write_b32 v7, v19 offset:4096
.LBB48_22:                              ;   in Loop: Header=BB48_2 Depth=1
	s_or_b64 exec, exec, s[20:21]
	s_waitcnt lgkmcnt(0)
	s_barrier
	s_and_saveexec_b64 s[20:21], vcc
	s_cbranch_execz .LBB48_24
; %bb.23:                               ;   in Loop: Header=BB48_2 Depth=1
	ds_read_b32 v20, v2 offset:4096
	s_waitcnt lgkmcnt(0)
	s_nop 0
	v_mov_b32_dpp v21, v20 row_shr:1 row_mask:0xf bank_mask:0xf
	v_cndmask_b32_e64 v21, v21, 0, s[18:19]
	v_add_u32_e32 v20, v21, v20
	ds_write_b32 v2, v20 offset:4096
.LBB48_24:                              ;   in Loop: Header=BB48_2 Depth=1
	s_or_b64 exec, exec, s[20:21]
	v_mov_b32_e32 v20, 0
	s_waitcnt lgkmcnt(0)
	s_barrier
	s_and_saveexec_b64 s[20:21], s[0:1]
	s_cbranch_execz .LBB48_1
; %bb.25:                               ;   in Loop: Header=BB48_2 Depth=1
	ds_read_b32 v20, v7 offset:4092
	s_branch .LBB48_1
.LBB48_26:
	ds_read_u16 v0, v9
	ds_read_u16 v1, v10
	;; [unrolled: 1-line block ×4, first 2 shown]
	s_lshl_b64 s[0:1], s[24:25], 2
	s_add_u32 s0, s22, s0
	s_waitcnt lgkmcnt(3)
	v_add_u32_sdwa v4, v0, v4 dst_sel:DWORD dst_unused:UNUSED_PAD src0_sel:DWORD src1_sel:WORD_0
	s_waitcnt lgkmcnt(2)
	v_add_u32_sdwa v5, v1, v5 dst_sel:DWORD dst_unused:UNUSED_PAD src0_sel:DWORD src1_sel:WORD_0
	;; [unrolled: 2-line block ×4, first 2 shown]
	s_addc_u32 s1, s23, s1
	v_lshlrev_b32_e32 v0, 2, v2
	global_store_dwordx4 v0, v[4:7], s[0:1]
	s_endpgm
	.section	.rodata,"a",@progbits
	.p2align	6, 0x0
	.amdhsa_kernel _Z11rank_kernelIhLj4ELb0EL18RadixRankAlgorithm0ELj128ELj4ELj10EEvPKT_Pi
		.amdhsa_group_segment_fixed_size 4104
		.amdhsa_private_segment_fixed_size 0
		.amdhsa_kernarg_size 16
		.amdhsa_user_sgpr_count 6
		.amdhsa_user_sgpr_private_segment_buffer 1
		.amdhsa_user_sgpr_dispatch_ptr 0
		.amdhsa_user_sgpr_queue_ptr 0
		.amdhsa_user_sgpr_kernarg_segment_ptr 1
		.amdhsa_user_sgpr_dispatch_id 0
		.amdhsa_user_sgpr_flat_scratch_init 0
		.amdhsa_user_sgpr_kernarg_preload_length 0
		.amdhsa_user_sgpr_kernarg_preload_offset 0
		.amdhsa_user_sgpr_private_segment_size 0
		.amdhsa_uses_dynamic_stack 0
		.amdhsa_system_sgpr_private_segment_wavefront_offset 0
		.amdhsa_system_sgpr_workgroup_id_x 1
		.amdhsa_system_sgpr_workgroup_id_y 0
		.amdhsa_system_sgpr_workgroup_id_z 0
		.amdhsa_system_sgpr_workgroup_info 0
		.amdhsa_system_vgpr_workitem_id 0
		.amdhsa_next_free_vgpr 28
		.amdhsa_next_free_sgpr 36
		.amdhsa_accum_offset 28
		.amdhsa_reserve_vcc 1
		.amdhsa_reserve_flat_scratch 0
		.amdhsa_float_round_mode_32 0
		.amdhsa_float_round_mode_16_64 0
		.amdhsa_float_denorm_mode_32 3
		.amdhsa_float_denorm_mode_16_64 3
		.amdhsa_dx10_clamp 1
		.amdhsa_ieee_mode 1
		.amdhsa_fp16_overflow 0
		.amdhsa_tg_split 0
		.amdhsa_exception_fp_ieee_invalid_op 0
		.amdhsa_exception_fp_denorm_src 0
		.amdhsa_exception_fp_ieee_div_zero 0
		.amdhsa_exception_fp_ieee_overflow 0
		.amdhsa_exception_fp_ieee_underflow 0
		.amdhsa_exception_fp_ieee_inexact 0
		.amdhsa_exception_int_div_zero 0
	.end_amdhsa_kernel
	.section	.text._Z11rank_kernelIhLj4ELb0EL18RadixRankAlgorithm0ELj128ELj4ELj10EEvPKT_Pi,"axG",@progbits,_Z11rank_kernelIhLj4ELb0EL18RadixRankAlgorithm0ELj128ELj4ELj10EEvPKT_Pi,comdat
.Lfunc_end48:
	.size	_Z11rank_kernelIhLj4ELb0EL18RadixRankAlgorithm0ELj128ELj4ELj10EEvPKT_Pi, .Lfunc_end48-_Z11rank_kernelIhLj4ELb0EL18RadixRankAlgorithm0ELj128ELj4ELj10EEvPKT_Pi
                                        ; -- End function
	.section	.AMDGPU.csdata,"",@progbits
; Kernel info:
; codeLenInByte = 2052
; NumSgprs: 40
; NumVgprs: 28
; NumAgprs: 0
; TotalNumVgprs: 28
; ScratchSize: 0
; MemoryBound: 0
; FloatMode: 240
; IeeeMode: 1
; LDSByteSize: 4104 bytes/workgroup (compile time only)
; SGPRBlocks: 4
; VGPRBlocks: 3
; NumSGPRsForWavesPerEU: 40
; NumVGPRsForWavesPerEU: 28
; AccumOffset: 28
; Occupancy: 8
; WaveLimiterHint : 0
; COMPUTE_PGM_RSRC2:SCRATCH_EN: 0
; COMPUTE_PGM_RSRC2:USER_SGPR: 6
; COMPUTE_PGM_RSRC2:TRAP_HANDLER: 0
; COMPUTE_PGM_RSRC2:TGID_X_EN: 1
; COMPUTE_PGM_RSRC2:TGID_Y_EN: 0
; COMPUTE_PGM_RSRC2:TGID_Z_EN: 0
; COMPUTE_PGM_RSRC2:TIDIG_COMP_CNT: 0
; COMPUTE_PGM_RSRC3_GFX90A:ACCUM_OFFSET: 6
; COMPUTE_PGM_RSRC3_GFX90A:TG_SPLIT: 0
	.section	.text._Z11rank_kernelIhLj4ELb0EL18RadixRankAlgorithm1ELj128ELj4ELj10EEvPKT_Pi,"axG",@progbits,_Z11rank_kernelIhLj4ELb0EL18RadixRankAlgorithm1ELj128ELj4ELj10EEvPKT_Pi,comdat
	.protected	_Z11rank_kernelIhLj4ELb0EL18RadixRankAlgorithm1ELj128ELj4ELj10EEvPKT_Pi ; -- Begin function _Z11rank_kernelIhLj4ELb0EL18RadixRankAlgorithm1ELj128ELj4ELj10EEvPKT_Pi
	.globl	_Z11rank_kernelIhLj4ELb0EL18RadixRankAlgorithm1ELj128ELj4ELj10EEvPKT_Pi
	.p2align	8
	.type	_Z11rank_kernelIhLj4ELb0EL18RadixRankAlgorithm1ELj128ELj4ELj10EEvPKT_Pi,@function
_Z11rank_kernelIhLj4ELb0EL18RadixRankAlgorithm1ELj128ELj4ELj10EEvPKT_Pi: ; @_Z11rank_kernelIhLj4ELb0EL18RadixRankAlgorithm1ELj128ELj4ELj10EEvPKT_Pi
; %bb.0:
	s_load_dwordx4 s[20:23], s[4:5], 0x0
	s_lshl_b32 s24, s6, 9
	v_lshlrev_b32_e32 v2, 2, v0
	v_mbcnt_lo_u32_b32 v1, -1, 0
	v_mbcnt_hi_u32_b32 v5, -1, v1
	s_waitcnt lgkmcnt(0)
	s_add_u32 s0, s20, s24
	s_addc_u32 s1, s21, 0
	global_load_dword v4, v2, s[0:1]
	v_or_b32_e32 v6, 63, v0
	v_cmp_eq_u32_e64 s[4:5], v6, v0
	v_add_u32_e32 v6, -1, v5
	v_and_b32_e32 v10, 64, v5
	v_lshrrev_b32_e32 v7, 4, v0
	v_cmp_lt_i32_e64 s[18:19], v6, v10
	s_movk_i32 s20, 0x380
	v_and_b32_e32 v8, 15, v5
	v_and_b32_e32 v9, 16, v5
	v_cmp_lt_u32_e64 s[2:3], 31, v5
	v_cmp_eq_u32_e64 s[6:7], 0, v5
	v_and_b32_e32 v13, 4, v7
	v_and_b32_e32 v7, 1, v5
	v_cndmask_b32_e64 v5, v6, v5, s[18:19]
	v_cmp_eq_u32_e64 s[8:9], 0, v8
	v_cmp_lt_u32_e64 s[10:11], 1, v8
	v_cmp_lt_u32_e64 s[12:13], 3, v8
	;; [unrolled: 1-line block ×3, first 2 shown]
	v_cmp_eq_u32_e64 s[16:17], 0, v9
	v_cmp_eq_u32_e64 s[18:19], 0, v7
	v_lshlrev_b32_e32 v14, 2, v5
	s_mov_b32 s25, 0
	v_mov_b32_e32 v3, 0
	v_lshlrev_b32_e32 v12, 5, v0
	v_cmp_gt_u32_e32 vcc, 2, v0
	v_cmp_lt_u32_e64 s[0:1], 63, v0
	v_or_b32_e32 v1, 0x80, v0
	s_mov_b32 s30, s25
	s_waitcnt vmcnt(0)
	v_lshrrev_b32_e32 v22, 21, v4
	v_lshlrev_b32_e32 v5, 3, v4
	v_lshrrev_b32_e32 v6, 6, v4
	v_lshlrev_b32_e32 v7, 7, v4
	v_lshrrev_b32_e32 v8, 2, v4
	v_lshrrev_b32_e32 v9, 1, v4
	;; [unrolled: 1-line block ×11, first 2 shown]
	v_and_or_b32 v27, v22, s20, v0
	v_and_or_b32 v5, v5, s20, v0
	v_and_b32_e32 v6, 2, v6
	v_and_or_b32 v7, v7, s20, v0
	v_and_b32_e32 v8, 2, v8
	;; [unrolled: 2-line block ×7, first 2 shown]
	v_alignbit_b32 v4, v27, v4, 30
	v_lshl_or_b32 v15, v5, 2, v6
	v_lshl_or_b32 v19, v7, 2, v8
	;; [unrolled: 1-line block ×7, first 2 shown]
	v_and_b32_e32 v18, 0xffe, v4
	s_branch .LBB49_2
.LBB49_1:                               ;   in Loop: Header=BB49_2 Depth=1
	s_or_b64 exec, exec, s[20:21]
	s_waitcnt lgkmcnt(0)
	v_add_u32_e32 v5, v27, v5
	ds_bpermute_b32 v5, v14, v5
	ds_read_b32 v28, v3 offset:4100
	s_add_i32 s30, s30, 1
	s_cmp_eq_u32 s30, 10
	s_waitcnt lgkmcnt(1)
	v_cndmask_b32_e64 v5, v5, v27, s[6:7]
	s_waitcnt lgkmcnt(0)
	v_lshl_add_u32 v5, v28, 16, v5
	v_add_u32_e32 v10, v5, v10
	v_add_u32_e32 v11, v10, v11
	ds_write2_b32 v12, v5, v10 offset1:1
	v_add_u32_e32 v5, v11, v8
	v_add_u32_e32 v8, v5, v9
	ds_write2_b32 v12, v11, v5 offset0:2 offset1:3
	v_add_u32_e32 v5, v8, v6
	v_add_u32_e32 v6, v5, v7
	;; [unrolled: 1-line block ×3, first 2 shown]
	ds_write2_b32 v12, v8, v5 offset0:4 offset1:5
	ds_write2_b32 v12, v6, v4 offset0:6 offset1:7
	s_waitcnt lgkmcnt(0)
	s_barrier
	s_cbranch_scc1 .LBB49_26
.LBB49_2:                               ; =>This Loop Header: Depth=1
                                        ;     Child Loop BB49_4 Depth 2
                                        ;     Child Loop BB49_16 Depth 2
	s_mov_b64 s[20:21], 0
	s_mov_b32 s31, 0
	v_pk_mov_b32 v[4:5], v[0:1], v[0:1] op_sel:[0,1]
	s_branch .LBB49_4
.LBB49_3:                               ;   in Loop: Header=BB49_4 Depth=2
	s_or_b64 exec, exec, s[28:29]
	s_add_i32 s31, s31, 2
	v_cmp_eq_u32_e64 s[26:27], 8, s31
	v_add_u32_e32 v5, 0x100, v5
	s_or_b64 s[20:21], s[26:27], s[20:21]
	v_add_u32_e32 v4, 0x100, v4
	s_andn2_b64 exec, exec, s[20:21]
	s_cbranch_execz .LBB49_8
.LBB49_4:                               ;   Parent Loop BB49_2 Depth=1
                                        ; =>  This Inner Loop Header: Depth=2
	s_or_b32 s26, s31, 1
	v_cmp_le_u32_e64 s[26:27], s26, 7
	v_cmp_le_u32_e64 s[34:35], s31, 7
	s_and_saveexec_b64 s[28:29], s[34:35]
	s_cbranch_execz .LBB49_6
; %bb.5:                                ;   in Loop: Header=BB49_4 Depth=2
	v_lshlrev_b32_e32 v6, 2, v4
	ds_write_b32 v6, v3
.LBB49_6:                               ;   in Loop: Header=BB49_4 Depth=2
	s_or_b64 exec, exec, s[28:29]
	s_and_saveexec_b64 s[28:29], s[26:27]
	s_cbranch_execz .LBB49_3
; %bb.7:                                ;   in Loop: Header=BB49_4 Depth=2
	v_lshlrev_b32_e32 v6, 2, v5
	ds_write_b32 v6, v3
	s_branch .LBB49_3
.LBB49_8:                               ;   in Loop: Header=BB49_2 Depth=1
	s_or_b64 exec, exec, s[20:21]
	ds_read_u16 v4, v19
	s_waitcnt lgkmcnt(0)
	v_add_u16_e32 v4, 1, v4
	ds_write_b16 v19, v4
	ds_read_u16 v4, v20
	s_waitcnt lgkmcnt(0)
	v_add_u16_e32 v4, 1, v4
	ds_write_b16 v20, v4
	;; [unrolled: 4-line block ×4, first 2 shown]
	s_waitcnt lgkmcnt(0)
	s_barrier
	ds_read2_b32 v[10:11], v12 offset1:1
	ds_read2_b32 v[8:9], v12 offset0:2 offset1:3
	ds_read2_b32 v[6:7], v12 offset0:4 offset1:5
	;; [unrolled: 1-line block ×3, first 2 shown]
	s_waitcnt lgkmcnt(3)
	v_add_u32_e32 v23, v11, v10
	s_waitcnt lgkmcnt(2)
	v_add3_u32 v23, v23, v8, v9
	s_waitcnt lgkmcnt(1)
	v_add3_u32 v23, v23, v6, v7
	s_waitcnt lgkmcnt(0)
	v_add3_u32 v5, v23, v4, v5
	s_nop 1
	v_mov_b32_dpp v23, v5 row_shr:1 row_mask:0xf bank_mask:0xf
	v_cndmask_b32_e64 v23, v23, 0, s[8:9]
	v_add_u32_e32 v5, v23, v5
	s_nop 1
	v_mov_b32_dpp v23, v5 row_shr:2 row_mask:0xf bank_mask:0xf
	v_cndmask_b32_e64 v23, 0, v23, s[10:11]
	v_add_u32_e32 v5, v5, v23
	;; [unrolled: 4-line block ×4, first 2 shown]
	s_nop 1
	v_mov_b32_dpp v23, v5 row_bcast:15 row_mask:0xf bank_mask:0xf
	v_cndmask_b32_e64 v23, v23, 0, s[16:17]
	v_add_u32_e32 v5, v5, v23
	s_nop 1
	v_mov_b32_dpp v23, v5 row_bcast:31 row_mask:0xf bank_mask:0xf
	v_cndmask_b32_e64 v23, 0, v23, s[2:3]
	v_add_u32_e32 v5, v5, v23
	s_and_saveexec_b64 s[20:21], s[4:5]
	s_cbranch_execz .LBB49_10
; %bb.9:                                ;   in Loop: Header=BB49_2 Depth=1
	ds_write_b32 v13, v5 offset:4096
.LBB49_10:                              ;   in Loop: Header=BB49_2 Depth=1
	s_or_b64 exec, exec, s[20:21]
	s_waitcnt lgkmcnt(0)
	s_barrier
	s_and_saveexec_b64 s[20:21], vcc
	s_cbranch_execz .LBB49_12
; %bb.11:                               ;   in Loop: Header=BB49_2 Depth=1
	ds_read_b32 v23, v2 offset:4096
	s_waitcnt lgkmcnt(0)
	s_nop 0
	v_mov_b32_dpp v24, v23 row_shr:1 row_mask:0xf bank_mask:0xf
	v_cndmask_b32_e64 v24, v24, 0, s[18:19]
	v_add_u32_e32 v23, v24, v23
	ds_write_b32 v2, v23 offset:4096
.LBB49_12:                              ;   in Loop: Header=BB49_2 Depth=1
	s_or_b64 exec, exec, s[20:21]
	v_mov_b32_e32 v23, 0
	s_waitcnt lgkmcnt(0)
	s_barrier
	s_and_saveexec_b64 s[20:21], s[0:1]
	s_cbranch_execz .LBB49_14
; %bb.13:                               ;   in Loop: Header=BB49_2 Depth=1
	ds_read_b32 v23, v13 offset:4092
.LBB49_14:                              ;   in Loop: Header=BB49_2 Depth=1
	s_or_b64 exec, exec, s[20:21]
	s_waitcnt lgkmcnt(0)
	v_add_u32_e32 v5, v23, v5
	ds_bpermute_b32 v5, v14, v5
	ds_read_b32 v24, v3 offset:4100
	s_mov_b32 s31, 0
	s_mov_b64 s[20:21], 0
	s_waitcnt lgkmcnt(1)
	v_cndmask_b32_e64 v5, v5, v23, s[6:7]
	s_waitcnt lgkmcnt(0)
	v_lshl_add_u32 v5, v24, 16, v5
	v_add_u32_e32 v10, v5, v10
	v_add_u32_e32 v11, v10, v11
	ds_write2_b32 v12, v5, v10 offset1:1
	v_add_u32_e32 v5, v11, v8
	v_add_u32_e32 v8, v5, v9
	ds_write2_b32 v12, v11, v5 offset0:2 offset1:3
	v_add_u32_e32 v5, v8, v6
	v_add_u32_e32 v6, v5, v7
	;; [unrolled: 1-line block ×3, first 2 shown]
	ds_write2_b32 v12, v8, v5 offset0:4 offset1:5
	ds_write2_b32 v12, v6, v4 offset0:6 offset1:7
	v_pk_mov_b32 v[4:5], v[0:1], v[0:1] op_sel:[0,1]
	s_waitcnt lgkmcnt(0)
	s_barrier
	s_branch .LBB49_16
.LBB49_15:                              ;   in Loop: Header=BB49_16 Depth=2
	s_or_b64 exec, exec, s[28:29]
	s_add_i32 s31, s31, 2
	v_cmp_eq_u32_e64 s[26:27], 8, s31
	v_add_u32_e32 v5, 0x100, v5
	s_or_b64 s[20:21], s[26:27], s[20:21]
	v_add_u32_e32 v4, 0x100, v4
	s_andn2_b64 exec, exec, s[20:21]
	s_cbranch_execz .LBB49_20
.LBB49_16:                              ;   Parent Loop BB49_2 Depth=1
                                        ; =>  This Inner Loop Header: Depth=2
	s_or_b32 s26, s31, 1
	v_cmp_le_u32_e64 s[26:27], s26, 7
	v_cmp_le_u32_e64 s[34:35], s31, 7
	s_and_saveexec_b64 s[28:29], s[34:35]
	s_cbranch_execz .LBB49_18
; %bb.17:                               ;   in Loop: Header=BB49_16 Depth=2
	v_lshlrev_b32_e32 v6, 2, v4
	ds_write_b32 v6, v3
.LBB49_18:                              ;   in Loop: Header=BB49_16 Depth=2
	s_or_b64 exec, exec, s[28:29]
	s_and_saveexec_b64 s[28:29], s[26:27]
	s_cbranch_execz .LBB49_15
; %bb.19:                               ;   in Loop: Header=BB49_16 Depth=2
	v_lshlrev_b32_e32 v6, 2, v5
	ds_write_b32 v6, v3
	s_branch .LBB49_15
.LBB49_20:                              ;   in Loop: Header=BB49_2 Depth=1
	s_or_b64 exec, exec, s[20:21]
	ds_read_u16 v23, v15
	s_waitcnt lgkmcnt(0)
	v_add_u16_e32 v4, 1, v23
	ds_write_b16 v15, v4
	ds_read_u16 v24, v16
	s_waitcnt lgkmcnt(0)
	v_add_u16_e32 v4, 1, v24
	ds_write_b16 v16, v4
	ds_read_u16 v25, v17
	s_waitcnt lgkmcnt(0)
	v_add_u16_e32 v4, 1, v25
	ds_write_b16 v17, v4
	ds_read_u16 v26, v18
	s_waitcnt lgkmcnt(0)
	v_add_u16_e32 v4, 1, v26
	ds_write_b16 v18, v4
	s_waitcnt lgkmcnt(0)
	s_barrier
	ds_read2_b32 v[10:11], v12 offset1:1
	ds_read2_b32 v[8:9], v12 offset0:2 offset1:3
	ds_read2_b32 v[6:7], v12 offset0:4 offset1:5
	;; [unrolled: 1-line block ×3, first 2 shown]
	s_waitcnt lgkmcnt(3)
	v_add_u32_e32 v27, v11, v10
	s_waitcnt lgkmcnt(2)
	v_add3_u32 v27, v27, v8, v9
	s_waitcnt lgkmcnt(1)
	v_add3_u32 v27, v27, v6, v7
	;; [unrolled: 2-line block ×3, first 2 shown]
	s_nop 1
	v_mov_b32_dpp v27, v5 row_shr:1 row_mask:0xf bank_mask:0xf
	v_cndmask_b32_e64 v27, v27, 0, s[8:9]
	v_add_u32_e32 v5, v27, v5
	s_nop 1
	v_mov_b32_dpp v27, v5 row_shr:2 row_mask:0xf bank_mask:0xf
	v_cndmask_b32_e64 v27, 0, v27, s[10:11]
	v_add_u32_e32 v5, v5, v27
	;; [unrolled: 4-line block ×4, first 2 shown]
	s_nop 1
	v_mov_b32_dpp v27, v5 row_bcast:15 row_mask:0xf bank_mask:0xf
	v_cndmask_b32_e64 v27, v27, 0, s[16:17]
	v_add_u32_e32 v5, v5, v27
	s_nop 1
	v_mov_b32_dpp v27, v5 row_bcast:31 row_mask:0xf bank_mask:0xf
	v_cndmask_b32_e64 v27, 0, v27, s[2:3]
	v_add_u32_e32 v5, v5, v27
	s_and_saveexec_b64 s[20:21], s[4:5]
	s_cbranch_execz .LBB49_22
; %bb.21:                               ;   in Loop: Header=BB49_2 Depth=1
	ds_write_b32 v13, v5 offset:4096
.LBB49_22:                              ;   in Loop: Header=BB49_2 Depth=1
	s_or_b64 exec, exec, s[20:21]
	s_waitcnt lgkmcnt(0)
	s_barrier
	s_and_saveexec_b64 s[20:21], vcc
	s_cbranch_execz .LBB49_24
; %bb.23:                               ;   in Loop: Header=BB49_2 Depth=1
	ds_read_b32 v27, v2 offset:4096
	s_waitcnt lgkmcnt(0)
	s_nop 0
	v_mov_b32_dpp v28, v27 row_shr:1 row_mask:0xf bank_mask:0xf
	v_cndmask_b32_e64 v28, v28, 0, s[18:19]
	v_add_u32_e32 v27, v28, v27
	ds_write_b32 v2, v27 offset:4096
.LBB49_24:                              ;   in Loop: Header=BB49_2 Depth=1
	s_or_b64 exec, exec, s[20:21]
	v_mov_b32_e32 v27, 0
	s_waitcnt lgkmcnt(0)
	s_barrier
	s_and_saveexec_b64 s[20:21], s[0:1]
	s_cbranch_execz .LBB49_1
; %bb.25:                               ;   in Loop: Header=BB49_2 Depth=1
	ds_read_b32 v27, v13 offset:4092
	s_branch .LBB49_1
.LBB49_26:
	ds_read_u16 v0, v15
	ds_read_u16 v1, v16
	;; [unrolled: 1-line block ×4, first 2 shown]
	s_lshl_b64 s[0:1], s[24:25], 2
	s_add_u32 s0, s22, s0
	s_waitcnt lgkmcnt(3)
	v_add_u32_sdwa v4, v0, v23 dst_sel:DWORD dst_unused:UNUSED_PAD src0_sel:DWORD src1_sel:WORD_0
	s_waitcnt lgkmcnt(2)
	v_add_u32_sdwa v5, v1, v24 dst_sel:DWORD dst_unused:UNUSED_PAD src0_sel:DWORD src1_sel:WORD_0
	;; [unrolled: 2-line block ×4, first 2 shown]
	s_addc_u32 s1, s23, s1
	v_lshlrev_b32_e32 v0, 2, v2
	global_store_dwordx4 v0, v[4:7], s[0:1]
	s_endpgm
	.section	.rodata,"a",@progbits
	.p2align	6, 0x0
	.amdhsa_kernel _Z11rank_kernelIhLj4ELb0EL18RadixRankAlgorithm1ELj128ELj4ELj10EEvPKT_Pi
		.amdhsa_group_segment_fixed_size 4104
		.amdhsa_private_segment_fixed_size 0
		.amdhsa_kernarg_size 16
		.amdhsa_user_sgpr_count 6
		.amdhsa_user_sgpr_private_segment_buffer 1
		.amdhsa_user_sgpr_dispatch_ptr 0
		.amdhsa_user_sgpr_queue_ptr 0
		.amdhsa_user_sgpr_kernarg_segment_ptr 1
		.amdhsa_user_sgpr_dispatch_id 0
		.amdhsa_user_sgpr_flat_scratch_init 0
		.amdhsa_user_sgpr_kernarg_preload_length 0
		.amdhsa_user_sgpr_kernarg_preload_offset 0
		.amdhsa_user_sgpr_private_segment_size 0
		.amdhsa_uses_dynamic_stack 0
		.amdhsa_system_sgpr_private_segment_wavefront_offset 0
		.amdhsa_system_sgpr_workgroup_id_x 1
		.amdhsa_system_sgpr_workgroup_id_y 0
		.amdhsa_system_sgpr_workgroup_id_z 0
		.amdhsa_system_sgpr_workgroup_info 0
		.amdhsa_system_vgpr_workitem_id 0
		.amdhsa_next_free_vgpr 29
		.amdhsa_next_free_sgpr 36
		.amdhsa_accum_offset 32
		.amdhsa_reserve_vcc 1
		.amdhsa_reserve_flat_scratch 0
		.amdhsa_float_round_mode_32 0
		.amdhsa_float_round_mode_16_64 0
		.amdhsa_float_denorm_mode_32 3
		.amdhsa_float_denorm_mode_16_64 3
		.amdhsa_dx10_clamp 1
		.amdhsa_ieee_mode 1
		.amdhsa_fp16_overflow 0
		.amdhsa_tg_split 0
		.amdhsa_exception_fp_ieee_invalid_op 0
		.amdhsa_exception_fp_denorm_src 0
		.amdhsa_exception_fp_ieee_div_zero 0
		.amdhsa_exception_fp_ieee_overflow 0
		.amdhsa_exception_fp_ieee_underflow 0
		.amdhsa_exception_fp_ieee_inexact 0
		.amdhsa_exception_int_div_zero 0
	.end_amdhsa_kernel
	.section	.text._Z11rank_kernelIhLj4ELb0EL18RadixRankAlgorithm1ELj128ELj4ELj10EEvPKT_Pi,"axG",@progbits,_Z11rank_kernelIhLj4ELb0EL18RadixRankAlgorithm1ELj128ELj4ELj10EEvPKT_Pi,comdat
.Lfunc_end49:
	.size	_Z11rank_kernelIhLj4ELb0EL18RadixRankAlgorithm1ELj128ELj4ELj10EEvPKT_Pi, .Lfunc_end49-_Z11rank_kernelIhLj4ELb0EL18RadixRankAlgorithm1ELj128ELj4ELj10EEvPKT_Pi
                                        ; -- End function
	.section	.AMDGPU.csdata,"",@progbits
; Kernel info:
; codeLenInByte = 1956
; NumSgprs: 40
; NumVgprs: 29
; NumAgprs: 0
; TotalNumVgprs: 29
; ScratchSize: 0
; MemoryBound: 0
; FloatMode: 240
; IeeeMode: 1
; LDSByteSize: 4104 bytes/workgroup (compile time only)
; SGPRBlocks: 4
; VGPRBlocks: 3
; NumSGPRsForWavesPerEU: 40
; NumVGPRsForWavesPerEU: 29
; AccumOffset: 32
; Occupancy: 8
; WaveLimiterHint : 0
; COMPUTE_PGM_RSRC2:SCRATCH_EN: 0
; COMPUTE_PGM_RSRC2:USER_SGPR: 6
; COMPUTE_PGM_RSRC2:TRAP_HANDLER: 0
; COMPUTE_PGM_RSRC2:TGID_X_EN: 1
; COMPUTE_PGM_RSRC2:TGID_Y_EN: 0
; COMPUTE_PGM_RSRC2:TGID_Z_EN: 0
; COMPUTE_PGM_RSRC2:TIDIG_COMP_CNT: 0
; COMPUTE_PGM_RSRC3_GFX90A:ACCUM_OFFSET: 7
; COMPUTE_PGM_RSRC3_GFX90A:TG_SPLIT: 0
	.section	.text._Z11rank_kernelIhLj4ELb0EL18RadixRankAlgorithm2ELj128ELj4ELj10EEvPKT_Pi,"axG",@progbits,_Z11rank_kernelIhLj4ELb0EL18RadixRankAlgorithm2ELj128ELj4ELj10EEvPKT_Pi,comdat
	.protected	_Z11rank_kernelIhLj4ELb0EL18RadixRankAlgorithm2ELj128ELj4ELj10EEvPKT_Pi ; -- Begin function _Z11rank_kernelIhLj4ELb0EL18RadixRankAlgorithm2ELj128ELj4ELj10EEvPKT_Pi
	.globl	_Z11rank_kernelIhLj4ELb0EL18RadixRankAlgorithm2ELj128ELj4ELj10EEvPKT_Pi
	.p2align	8
	.type	_Z11rank_kernelIhLj4ELb0EL18RadixRankAlgorithm2ELj128ELj4ELj10EEvPKT_Pi,@function
_Z11rank_kernelIhLj4ELb0EL18RadixRankAlgorithm2ELj128ELj4ELj10EEvPKT_Pi: ; @_Z11rank_kernelIhLj4ELb0EL18RadixRankAlgorithm2ELj128ELj4ELj10EEvPKT_Pi
; %bb.0:
	s_load_dwordx4 s[88:91], s[4:5], 0x0
	s_load_dword s20, s[4:5], 0x1c
	s_lshl_b32 s92, s6, 9
	v_and_b32_e32 v4, 0x3ff, v0
	v_lshlrev_b32_e32 v2, 2, v4
	s_waitcnt lgkmcnt(0)
	s_add_u32 s0, s88, s92
	s_addc_u32 s1, s89, 0
	global_load_dword v3, v2, s[0:1]
	v_mbcnt_lo_u32_b32 v5, -1, 0
	v_mbcnt_hi_u32_b32 v5, -1, v5
	v_bfe_u32 v7, v0, 10, 10
	v_bfe_u32 v0, v0, 20, 10
	v_add_u32_e32 v15, -1, v5
	v_and_b32_e32 v17, 64, v5
	s_lshr_b32 s21, s20, 16
	v_or_b32_e32 v13, 63, v4
	v_cmp_lt_i32_e64 s[18:19], v15, v17
	s_and_b32 s20, s20, 0xffff
	v_mad_u32_u24 v0, v0, s21, v7
	v_and_b32_e32 v9, 15, v5
	v_and_b32_e32 v11, 16, v5
	v_cmp_lt_u32_e32 vcc, 31, v5
	v_cmp_gt_u32_e64 s[0:1], 2, v4
	v_cmp_lt_u32_e64 s[2:3], 63, v4
	v_cmp_eq_u32_e64 s[4:5], 0, v5
	v_lshrrev_b32_e32 v18, 4, v4
	v_and_b32_e32 v19, 1, v5
	v_cmp_eq_u32_e64 s[16:17], v13, v4
	v_cndmask_b32_e64 v35, v15, v5, s[18:19]
	v_mad_u64_u32 v[4:5], s[20:21], v0, s20, v[4:5]
	v_mov_b32_e32 v1, 0
	v_mov_b32_e32 v6, v1
	v_cmp_eq_u32_e64 s[6:7], 0, v9
	v_cmp_lt_u32_e64 s[8:9], 1, v9
	v_cmp_lt_u32_e64 s[10:11], 3, v9
	;; [unrolled: 1-line block ×3, first 2 shown]
	v_lshrrev_b32_e32 v5, 6, v4
	v_mov_b32_e32 v8, v1
	v_mov_b32_e32 v10, v1
	v_cmp_eq_u32_e64 s[14:15], 0, v11
	v_mov_b32_e32 v12, v1
	v_mov_b32_e32 v16, v1
	;; [unrolled: 1-line block ×3, first 2 shown]
	v_cmp_eq_u32_e64 s[18:19], 0, v19
	v_and_b32_e32 v51, 4, v18
	v_mov_b32_e32 v18, v1
	v_mov_b32_e32 v20, v1
	;; [unrolled: 1-line block ×8, first 2 shown]
	v_add_u32_e32 v54, -4, v51
	s_mov_b32 s93, 0
	v_lshlrev_b32_e32 v79, 2, v35
	s_mov_b32 s33, 10
	s_waitcnt vmcnt(0)
	v_and_b32_e32 v0, 1, v3
	v_add_co_u32_e64 v55, s[20:21], -1, v0
	v_addc_co_u32_e64 v56, s[20:21], 0, -1, s[20:21]
	v_cmp_ne_u64_e64 s[20:21], 0, v[0:1]
	v_bfe_u32 v0, v3, 8, 1
	v_lshrrev_b32_e32 v4, 8, v3
	v_lshlrev_b32_e32 v7, 30, v3
	v_lshlrev_b32_e32 v9, 29, v3
	v_add_co_u32_e64 v57, s[28:29], -1, v0
	v_cmp_gt_i64_e64 s[22:23], 0, v[6:7]
	v_not_b32_e32 v6, v7
	v_not_b32_e32 v7, v9
	v_lshlrev_b32_e32 v13, 30, v4
	v_addc_co_u32_e64 v58, s[28:29], 0, -1, s[28:29]
	v_lshlrev_b32_e32 v11, 28, v3
	v_lshlrev_b32_e32 v15, 29, v4
	;; [unrolled: 1-line block ×3, first 2 shown]
	v_ashrrev_i32_e32 v4, 31, v6
	v_ashrrev_i32_e32 v6, 31, v7
	v_cmp_ne_u64_e64 s[28:29], 0, v[0:1]
	v_not_b32_e32 v7, v13
	v_bfe_u32 v0, v3, 16, 1
	v_cmp_gt_i64_e64 s[24:25], 0, v[8:9]
	v_cmp_gt_i64_e64 s[26:27], 0, v[10:11]
	v_not_b32_e32 v9, v15
	v_ashrrev_i32_e32 v10, 31, v7
	v_add_co_u32_e64 v59, s[38:39], -1, v0
	v_mov_b32_e32 v7, 30
	v_not_b32_e32 v8, v11
	v_cmp_gt_i64_e64 s[30:31], 0, v[12:13]
	v_cmp_gt_i64_e64 s[36:37], 0, v[16:17]
	v_not_b32_e32 v11, v17
	v_ashrrev_i32_e32 v12, 31, v9
	v_addc_co_u32_e64 v60, s[38:39], 0, -1, s[38:39]
	v_lshlrev_b32_sdwa v17, v7, v3 dst_sel:DWORD dst_unused:UNUSED_PAD src0_sel:DWORD src1_sel:WORD_1
	v_mov_b32_e32 v9, 29
	v_cmp_gt_i64_e64 s[34:35], 0, v[14:15]
	v_ashrrev_i32_e32 v14, 31, v11
	v_cmp_ne_u64_e64 s[38:39], 0, v[0:1]
	v_not_b32_e32 v0, v17
	v_lshlrev_b32_sdwa v19, v9, v3 dst_sel:DWORD dst_unused:UNUSED_PAD src0_sel:DWORD src1_sel:WORD_1
	v_mov_b32_e32 v11, 28
	v_cmp_gt_i64_e64 s[40:41], 0, v[16:17]
	v_ashrrev_i32_e32 v16, 31, v0
	v_not_b32_e32 v0, v19
	v_lshlrev_b32_sdwa v21, v11, v3 dst_sel:DWORD dst_unused:UNUSED_PAD src0_sel:DWORD src1_sel:WORD_1
	v_cmp_gt_i64_e64 s[42:43], 0, v[18:19]
	v_ashrrev_i32_e32 v18, 31, v0
	v_not_b32_e32 v0, v21
	v_cmp_gt_i64_e64 s[44:45], 0, v[20:21]
	v_ashrrev_i32_e32 v20, 31, v0
	v_bfe_u32 v0, v3, 24, 1
	v_add_co_u32_e64 v61, s[46:47], -1, v0
	v_addc_co_u32_e64 v62, s[46:47], 0, -1, s[46:47]
	v_lshlrev_b32_sdwa v23, v7, v3 dst_sel:DWORD dst_unused:UNUSED_PAD src0_sel:DWORD src1_sel:BYTE_3
	v_cmp_ne_u64_e64 s[46:47], 0, v[0:1]
	v_not_b32_e32 v0, v23
	v_lshlrev_b32_sdwa v25, v9, v3 dst_sel:DWORD dst_unused:UNUSED_PAD src0_sel:DWORD src1_sel:BYTE_3
	v_cmp_gt_i64_e64 s[48:49], 0, v[22:23]
	v_ashrrev_i32_e32 v22, 31, v0
	v_not_b32_e32 v0, v25
	v_cmp_gt_i64_e64 s[50:51], 0, v[24:25]
	v_ashrrev_i32_e32 v24, 31, v0
	v_bfe_u32 v0, v3, 4, 1
	v_add_co_u32_e64 v63, s[54:55], -1, v0
	v_addc_co_u32_e64 v64, s[54:55], 0, -1, s[54:55]
	v_cmp_ne_u64_e64 s[54:55], 0, v[0:1]
	v_bfe_u32 v0, v3, 12, 1
	v_add_co_u32_e64 v65, s[62:63], -1, v0
	v_addc_co_u32_e64 v66, s[62:63], 0, -1, s[62:63]
	v_lshlrev_b32_sdwa v27, v11, v3 dst_sel:DWORD dst_unused:UNUSED_PAD src0_sel:DWORD src1_sel:BYTE_3
	v_lshrrev_b32_e32 v9, 4, v3
	v_cmp_ne_u64_e64 s[62:63], 0, v[0:1]
	v_bfe_u32 v0, v3, 20, 1
	v_cmp_gt_i64_e64 s[52:53], 0, v[26:27]
	v_not_b32_e32 v7, v27
	v_lshlrev_b32_e32 v27, 30, v9
	v_add_co_u32_e64 v67, s[66:67], -1, v0
	v_cmp_gt_i64_e64 s[56:57], 0, v[26:27]
	v_not_b32_e32 v11, v27
	v_lshlrev_b32_e32 v27, 29, v9
	v_addc_co_u32_e64 v68, s[66:67], 0, -1, s[66:67]
	v_cmp_gt_i64_e64 s[58:59], 0, v[26:27]
	v_not_b32_e32 v15, v27
	v_lshlrev_b32_e32 v27, 28, v9
	v_lshrrev_b32_e32 v17, 12, v3
	v_cmp_ne_u64_e64 s[66:67], 0, v[0:1]
	v_bfe_u32 v0, v3, 28, 1
	v_cmp_gt_i64_e64 s[60:61], 0, v[26:27]
	v_not_b32_e32 v9, v27
	v_lshlrev_b32_e32 v27, 30, v17
	v_add_co_u32_e64 v69, s[68:69], -1, v0
	v_cmp_gt_i64_e64 s[64:65], 0, v[26:27]
	v_not_b32_e32 v19, v27
	v_lshlrev_b32_e32 v27, 29, v17
	v_addc_co_u32_e64 v70, s[68:69], 0, -1, s[68:69]
	v_bfe_u32 v13, v3, 24, 4
	v_cmp_gt_i64_e64 s[68:69], 0, v[26:27]
	v_not_b32_e32 v21, v27
	v_lshlrev_b32_e32 v27, 28, v17
	v_lshrrev_b32_e32 v17, 20, v3
	v_lshlrev_b32_e32 v29, 30, v17
	v_bfe_u32 v23, v3, 4, 4
	v_mul_u32_u24_e32 v13, 3, v13
	v_and_b32_e32 v32, 15, v3
	v_cmp_gt_i64_e64 s[70:71], 0, v[26:27]
	v_ashrrev_i32_e32 v26, 31, v7
	v_not_b32_e32 v7, v27
	v_lshlrev_b32_e32 v31, 29, v17
	v_cmp_gt_i64_e64 s[72:73], 0, v[28:29]
	v_not_b32_e32 v25, v29
	v_bfe_u32 v27, v3, 12, 4
	v_lshlrev_b32_e32 v29, 28, v17
	v_add_lshl_u32 v75, v5, v13, 2
	v_mul_u32_u24_e32 v13, 3, v23
	v_bfe_u32 v34, v3, 8, 4
	v_cmp_gt_i64_e64 s[74:75], 0, v[30:31]
	v_cmp_gt_i64_e64 s[76:77], 0, v[28:29]
	v_bfe_u32 v28, v3, 20, 4
	v_mul_u32_u24_e32 v30, 3, v32
	v_add_lshl_u32 v73, v5, v13, 2
	v_mul_u32_u24_e32 v13, 3, v27
	v_bfe_u32 v36, v3, 16, 4
	v_lshrrev_b32_e32 v17, 28, v3
	v_add_lshl_u32 v71, v5, v30, 2
	v_mul_u32_u24_e32 v30, 3, v34
	v_add_lshl_u32 v76, v5, v13, 2
	v_mul_u32_u24_e32 v13, 3, v28
	v_lshlrev_b32_e32 v33, 30, v17
	v_add_lshl_u32 v72, v5, v30, 2
	v_mul_u32_u24_e32 v30, 3, v36
	v_add_lshl_u32 v77, v5, v13, 2
	v_mul_u32_u24_e32 v13, 3, v17
	v_lshlrev_b32_e32 v37, 29, v17
	v_and_b32_e32 v41, 0xf0000000, v3
	v_not_b32_e32 v31, v31
	v_not_b32_e32 v29, v29
	v_add_lshl_u32 v74, v5, v30, 2
	v_add_lshl_u32 v78, v5, v13, 2
	v_mov_b32_e32 v32, v1
	v_not_b32_e32 v5, v33
	v_mov_b32_e32 v36, v1
	v_not_b32_e32 v3, v37
	v_ashrrev_i32_e32 v38, 31, v7
	v_not_b32_e32 v7, v41
	v_ashrrev_i32_e32 v8, 31, v8
	v_ashrrev_i32_e32 v28, 31, v11
	;; [unrolled: 1-line block ×3, first 2 shown]
	v_cmp_gt_i64_e64 s[78:79], 0, v[32:33]
	v_ashrrev_i32_e32 v32, 31, v9
	v_ashrrev_i32_e32 v34, 31, v19
	v_cmp_gt_i64_e64 s[80:81], 0, v[36:37]
	v_ashrrev_i32_e32 v36, 31, v21
	v_cmp_gt_i64_e64 s[82:83], 0, v[40:41]
	v_ashrrev_i32_e32 v40, 31, v25
	v_ashrrev_i32_e32 v42, 31, v31
	;; [unrolled: 1-line block ×6, first 2 shown]
	v_mov_b32_e32 v3, v4
	v_mov_b32_e32 v5, v6
	;; [unrolled: 1-line block ×24, first 2 shown]
	v_cmp_ne_u64_e64 s[84:85], 0, v[0:1]
	s_branch .LBB50_2
.LBB50_1:                               ;   in Loop: Header=BB50_2 Depth=1
	s_or_b64 exec, exec, s[86:87]
	s_waitcnt lgkmcnt(0)
	v_add_u32_e32 v52, v53, v52
	ds_bpermute_b32 v52, v79, v52
	s_add_i32 s33, s33, -1
	s_cmp_eq_u32 s33, 0
	s_waitcnt lgkmcnt(0)
	v_cndmask_b32_e64 v52, v52, v53, s[4:5]
	ds_write_b32 v2, v52 offset:8
	s_waitcnt lgkmcnt(0)
	s_barrier
	s_cbranch_scc1 .LBB50_30
.LBB50_2:                               ; =>This Inner Loop Header: Depth=1
	v_cndmask_b32_e64 v0, 0, 1, s[20:21]
	v_cmp_ne_u32_e64 s[86:87], 0, v0
	v_cndmask_b32_e64 v53, 0, 1, s[22:23]
	v_xor_b32_e32 v0, s87, v56
	v_xor_b32_e32 v52, s86, v55
	v_cmp_ne_u32_e64 s[86:87], 0, v53
	v_and_b32_e32 v0, exec_hi, v0
	v_xor_b32_e32 v53, s87, v3
	v_and_b32_e32 v0, v0, v53
	v_cndmask_b32_e64 v53, 0, 1, s[24:25]
	v_xor_b32_e32 v80, s86, v4
	v_cmp_ne_u32_e64 s[86:87], 0, v53
	v_xor_b32_e32 v53, s87, v5
	v_and_b32_e32 v52, exec_lo, v52
	v_and_b32_e32 v0, v0, v53
	v_cndmask_b32_e64 v53, 0, 1, s[26:27]
	v_and_b32_e32 v52, v52, v80
	v_xor_b32_e32 v80, s86, v6
	v_cmp_ne_u32_e64 s[86:87], 0, v53
	v_and_b32_e32 v52, v52, v80
	v_xor_b32_e32 v80, s86, v8
	v_xor_b32_e32 v53, s87, v7
	v_and_b32_e32 v52, v52, v80
	v_and_b32_e32 v53, v0, v53
	v_mbcnt_lo_u32_b32 v0, v52, 0
	v_mbcnt_hi_u32_b32 v0, v53, v0
	v_cmp_eq_u32_e64 s[86:87], 0, v0
	v_cmp_ne_u64_e64 s[88:89], 0, v[52:53]
	s_and_b64 s[88:89], s[88:89], s[86:87]
	ds_write_b32 v2, v1 offset:8
	s_waitcnt lgkmcnt(0)
	s_barrier
	s_waitcnt lgkmcnt(0)
	; wave barrier
	s_and_saveexec_b64 s[86:87], s[88:89]
	s_cbranch_execz .LBB50_4
; %bb.3:                                ;   in Loop: Header=BB50_2 Depth=1
	v_bcnt_u32_b32 v0, v52, 0
	v_bcnt_u32_b32 v0, v53, v0
	ds_write_b32 v71, v0 offset:8
.LBB50_4:                               ;   in Loop: Header=BB50_2 Depth=1
	s_or_b64 exec, exec, s[86:87]
	v_cndmask_b32_e64 v52, 0, 1, s[28:29]
	v_cmp_ne_u32_e64 s[86:87], 0, v52
	v_cndmask_b32_e64 v80, 0, 1, s[30:31]
	v_xor_b32_e32 v52, s87, v58
	v_xor_b32_e32 v53, s86, v57
	v_cmp_ne_u32_e64 s[86:87], 0, v80
	v_and_b32_e32 v52, exec_hi, v52
	v_xor_b32_e32 v80, s87, v9
	v_and_b32_e32 v52, v52, v80
	v_cndmask_b32_e64 v80, 0, 1, s[34:35]
	v_and_b32_e32 v53, exec_lo, v53
	v_xor_b32_e32 v81, s86, v10
	v_cmp_ne_u32_e64 s[86:87], 0, v80
	v_and_b32_e32 v53, v53, v81
	v_xor_b32_e32 v80, s87, v11
	v_xor_b32_e32 v81, s86, v12
	v_and_b32_e32 v52, v52, v80
	v_and_b32_e32 v80, v53, v81
	v_cndmask_b32_e64 v53, 0, 1, s[36:37]
	v_cmp_ne_u32_e64 s[86:87], 0, v53
	v_xor_b32_e32 v53, s87, v13
	v_xor_b32_e32 v81, s86, v14
	; wave barrier
	ds_read_b32 v0, v72 offset:8
	v_and_b32_e32 v53, v52, v53
	v_and_b32_e32 v52, v80, v81
	v_mbcnt_lo_u32_b32 v80, v52, 0
	v_mbcnt_hi_u32_b32 v80, v53, v80
	v_cmp_eq_u32_e64 s[86:87], 0, v80
	v_cmp_ne_u64_e64 s[88:89], 0, v[52:53]
	s_and_b64 s[88:89], s[88:89], s[86:87]
	; wave barrier
	s_and_saveexec_b64 s[86:87], s[88:89]
	s_cbranch_execz .LBB50_6
; %bb.5:                                ;   in Loop: Header=BB50_2 Depth=1
	v_bcnt_u32_b32 v52, v52, 0
	v_bcnt_u32_b32 v52, v53, v52
	s_waitcnt lgkmcnt(0)
	v_add_u32_e32 v0, v0, v52
	ds_write_b32 v72, v0 offset:8
.LBB50_6:                               ;   in Loop: Header=BB50_2 Depth=1
	s_or_b64 exec, exec, s[86:87]
	v_cndmask_b32_e64 v52, 0, 1, s[38:39]
	v_cmp_ne_u32_e64 s[86:87], 0, v52
	v_cndmask_b32_e64 v80, 0, 1, s[40:41]
	v_xor_b32_e32 v52, s87, v60
	v_xor_b32_e32 v53, s86, v59
	v_cmp_ne_u32_e64 s[86:87], 0, v80
	v_and_b32_e32 v52, exec_hi, v52
	v_xor_b32_e32 v80, s87, v15
	v_and_b32_e32 v52, v52, v80
	v_cndmask_b32_e64 v80, 0, 1, s[42:43]
	v_and_b32_e32 v53, exec_lo, v53
	v_xor_b32_e32 v81, s86, v16
	v_cmp_ne_u32_e64 s[86:87], 0, v80
	v_and_b32_e32 v53, v53, v81
	v_xor_b32_e32 v80, s87, v17
	v_xor_b32_e32 v81, s86, v18
	v_and_b32_e32 v52, v52, v80
	v_and_b32_e32 v80, v53, v81
	v_cndmask_b32_e64 v53, 0, 1, s[44:45]
	v_cmp_ne_u32_e64 s[86:87], 0, v53
	v_xor_b32_e32 v53, s87, v19
	v_xor_b32_e32 v81, s86, v20
	; wave barrier
	s_waitcnt lgkmcnt(0)
	ds_read_b32 v0, v74 offset:8
	v_and_b32_e32 v53, v52, v53
	v_and_b32_e32 v52, v80, v81
	v_mbcnt_lo_u32_b32 v80, v52, 0
	v_mbcnt_hi_u32_b32 v80, v53, v80
	v_cmp_eq_u32_e64 s[86:87], 0, v80
	v_cmp_ne_u64_e64 s[88:89], 0, v[52:53]
	s_and_b64 s[88:89], s[88:89], s[86:87]
	; wave barrier
	s_and_saveexec_b64 s[86:87], s[88:89]
	s_cbranch_execz .LBB50_8
; %bb.7:                                ;   in Loop: Header=BB50_2 Depth=1
	v_bcnt_u32_b32 v52, v52, 0
	v_bcnt_u32_b32 v52, v53, v52
	s_waitcnt lgkmcnt(0)
	v_add_u32_e32 v0, v0, v52
	ds_write_b32 v74, v0 offset:8
.LBB50_8:                               ;   in Loop: Header=BB50_2 Depth=1
	s_or_b64 exec, exec, s[86:87]
	v_cndmask_b32_e64 v52, 0, 1, s[46:47]
	v_cmp_ne_u32_e64 s[86:87], 0, v52
	v_cndmask_b32_e64 v80, 0, 1, s[48:49]
	v_xor_b32_e32 v52, s87, v62
	v_xor_b32_e32 v53, s86, v61
	v_cmp_ne_u32_e64 s[86:87], 0, v80
	v_and_b32_e32 v52, exec_hi, v52
	v_xor_b32_e32 v80, s87, v21
	v_and_b32_e32 v52, v52, v80
	v_cndmask_b32_e64 v80, 0, 1, s[50:51]
	v_and_b32_e32 v53, exec_lo, v53
	v_xor_b32_e32 v81, s86, v22
	v_cmp_ne_u32_e64 s[86:87], 0, v80
	v_and_b32_e32 v53, v53, v81
	v_xor_b32_e32 v80, s87, v23
	v_xor_b32_e32 v81, s86, v24
	v_and_b32_e32 v52, v52, v80
	v_and_b32_e32 v80, v53, v81
	v_cndmask_b32_e64 v53, 0, 1, s[52:53]
	v_cmp_ne_u32_e64 s[86:87], 0, v53
	v_xor_b32_e32 v53, s87, v25
	v_xor_b32_e32 v81, s86, v26
	; wave barrier
	s_waitcnt lgkmcnt(0)
	ds_read_b32 v0, v75 offset:8
	v_and_b32_e32 v53, v52, v53
	v_and_b32_e32 v52, v80, v81
	v_mbcnt_lo_u32_b32 v80, v52, 0
	v_mbcnt_hi_u32_b32 v80, v53, v80
	v_cmp_eq_u32_e64 s[86:87], 0, v80
	v_cmp_ne_u64_e64 s[88:89], 0, v[52:53]
	s_and_b64 s[88:89], s[88:89], s[86:87]
	; wave barrier
	s_and_saveexec_b64 s[86:87], s[88:89]
	s_cbranch_execz .LBB50_10
; %bb.9:                                ;   in Loop: Header=BB50_2 Depth=1
	v_bcnt_u32_b32 v52, v52, 0
	v_bcnt_u32_b32 v52, v53, v52
	s_waitcnt lgkmcnt(0)
	v_add_u32_e32 v0, v0, v52
	ds_write_b32 v75, v0 offset:8
.LBB50_10:                              ;   in Loop: Header=BB50_2 Depth=1
	s_or_b64 exec, exec, s[86:87]
	; wave barrier
	s_waitcnt lgkmcnt(0)
	s_barrier
	ds_read_b32 v0, v2 offset:8
	s_waitcnt lgkmcnt(0)
	s_nop 0
	v_mov_b32_dpp v52, v0 row_shr:1 row_mask:0xf bank_mask:0xf
	v_cndmask_b32_e64 v52, v52, 0, s[6:7]
	v_add_u32_e32 v0, v52, v0
	s_nop 1
	v_mov_b32_dpp v52, v0 row_shr:2 row_mask:0xf bank_mask:0xf
	v_cndmask_b32_e64 v52, 0, v52, s[8:9]
	v_add_u32_e32 v0, v0, v52
	;; [unrolled: 4-line block ×4, first 2 shown]
	s_nop 1
	v_mov_b32_dpp v52, v0 row_bcast:15 row_mask:0xf bank_mask:0xf
	v_cndmask_b32_e64 v52, v52, 0, s[14:15]
	v_add_u32_e32 v0, v0, v52
	s_nop 1
	v_mov_b32_dpp v52, v0 row_bcast:31 row_mask:0xf bank_mask:0xf
	v_cndmask_b32_e32 v52, 0, v52, vcc
	v_add_u32_e32 v0, v0, v52
	s_and_saveexec_b64 s[86:87], s[16:17]
	s_xor_b64 s[86:87], exec, s[86:87]
	s_cbranch_execz .LBB50_12
; %bb.11:                               ;   in Loop: Header=BB50_2 Depth=1
	ds_write_b32 v51, v0
.LBB50_12:                              ;   in Loop: Header=BB50_2 Depth=1
	s_or_b64 exec, exec, s[86:87]
	s_waitcnt lgkmcnt(0)
	s_barrier
	s_and_saveexec_b64 s[86:87], s[0:1]
	s_cbranch_execz .LBB50_14
; %bb.13:                               ;   in Loop: Header=BB50_2 Depth=1
	ds_read_b32 v52, v2
	s_waitcnt lgkmcnt(0)
	s_nop 0
	v_mov_b32_dpp v53, v52 row_shr:1 row_mask:0xf bank_mask:0xf
	v_cndmask_b32_e64 v53, v53, 0, s[18:19]
	v_add_u32_e32 v52, v53, v52
	ds_write_b32 v2, v52
.LBB50_14:                              ;   in Loop: Header=BB50_2 Depth=1
	s_or_b64 exec, exec, s[86:87]
	v_mov_b32_e32 v52, 0
	s_waitcnt lgkmcnt(0)
	s_barrier
	s_and_saveexec_b64 s[86:87], s[2:3]
	s_cbranch_execz .LBB50_16
; %bb.15:                               ;   in Loop: Header=BB50_2 Depth=1
	ds_read_b32 v52, v54
.LBB50_16:                              ;   in Loop: Header=BB50_2 Depth=1
	s_or_b64 exec, exec, s[86:87]
	s_waitcnt lgkmcnt(0)
	v_add_u32_e32 v0, v52, v0
	ds_bpermute_b32 v0, v79, v0
	v_cndmask_b32_e64 v53, 0, 1, s[56:57]
	s_waitcnt lgkmcnt(0)
	v_cndmask_b32_e64 v0, v0, v52, s[4:5]
	ds_write_b32 v2, v0 offset:8
	v_cndmask_b32_e64 v0, 0, 1, s[54:55]
	v_cmp_ne_u32_e64 s[86:87], 0, v0
	v_xor_b32_e32 v0, s87, v64
	v_xor_b32_e32 v52, s86, v63
	v_cmp_ne_u32_e64 s[86:87], 0, v53
	v_and_b32_e32 v0, exec_hi, v0
	v_xor_b32_e32 v53, s87, v27
	v_and_b32_e32 v0, v0, v53
	v_cndmask_b32_e64 v53, 0, 1, s[58:59]
	v_xor_b32_e32 v80, s86, v28
	v_cmp_ne_u32_e64 s[86:87], 0, v53
	v_xor_b32_e32 v53, s87, v29
	v_and_b32_e32 v52, exec_lo, v52
	v_and_b32_e32 v0, v0, v53
	v_cndmask_b32_e64 v53, 0, 1, s[60:61]
	v_and_b32_e32 v52, v52, v80
	v_xor_b32_e32 v80, s86, v30
	v_cmp_ne_u32_e64 s[86:87], 0, v53
	v_and_b32_e32 v52, v52, v80
	v_xor_b32_e32 v80, s86, v32
	v_xor_b32_e32 v53, s87, v31
	v_and_b32_e32 v52, v52, v80
	v_and_b32_e32 v53, v0, v53
	v_mbcnt_lo_u32_b32 v0, v52, 0
	v_mbcnt_hi_u32_b32 v0, v53, v0
	v_cmp_eq_u32_e64 s[86:87], 0, v0
	v_cmp_ne_u64_e64 s[88:89], 0, v[52:53]
	s_and_b64 s[88:89], s[88:89], s[86:87]
	s_waitcnt lgkmcnt(0)
	s_barrier
	ds_write_b32 v2, v1 offset:8
	s_waitcnt lgkmcnt(0)
	s_barrier
	s_waitcnt lgkmcnt(0)
	; wave barrier
	s_and_saveexec_b64 s[86:87], s[88:89]
	s_cbranch_execz .LBB50_18
; %bb.17:                               ;   in Loop: Header=BB50_2 Depth=1
	v_bcnt_u32_b32 v52, v52, 0
	v_bcnt_u32_b32 v52, v53, v52
	ds_write_b32 v73, v52 offset:8
.LBB50_18:                              ;   in Loop: Header=BB50_2 Depth=1
	s_or_b64 exec, exec, s[86:87]
	v_cndmask_b32_e64 v52, 0, 1, s[62:63]
	v_cmp_ne_u32_e64 s[86:87], 0, v52
	v_cndmask_b32_e64 v81, 0, 1, s[64:65]
	v_xor_b32_e32 v52, s87, v66
	v_xor_b32_e32 v53, s86, v65
	v_cmp_ne_u32_e64 s[86:87], 0, v81
	v_and_b32_e32 v52, exec_hi, v52
	v_xor_b32_e32 v81, s87, v33
	v_and_b32_e32 v52, v52, v81
	v_cndmask_b32_e64 v81, 0, 1, s[68:69]
	v_and_b32_e32 v53, exec_lo, v53
	v_xor_b32_e32 v82, s86, v34
	v_cmp_ne_u32_e64 s[86:87], 0, v81
	v_and_b32_e32 v53, v53, v82
	v_xor_b32_e32 v81, s87, v35
	v_xor_b32_e32 v82, s86, v36
	v_and_b32_e32 v52, v52, v81
	v_and_b32_e32 v81, v53, v82
	v_cndmask_b32_e64 v53, 0, 1, s[70:71]
	v_cmp_ne_u32_e64 s[86:87], 0, v53
	v_xor_b32_e32 v53, s87, v37
	v_xor_b32_e32 v82, s86, v38
	; wave barrier
	ds_read_b32 v80, v76 offset:8
	v_and_b32_e32 v53, v52, v53
	v_and_b32_e32 v52, v81, v82
	v_mbcnt_lo_u32_b32 v81, v52, 0
	v_mbcnt_hi_u32_b32 v81, v53, v81
	v_cmp_eq_u32_e64 s[86:87], 0, v81
	v_cmp_ne_u64_e64 s[88:89], 0, v[52:53]
	s_and_b64 s[88:89], s[88:89], s[86:87]
	; wave barrier
	s_and_saveexec_b64 s[86:87], s[88:89]
	s_cbranch_execz .LBB50_20
; %bb.19:                               ;   in Loop: Header=BB50_2 Depth=1
	v_bcnt_u32_b32 v52, v52, 0
	v_bcnt_u32_b32 v52, v53, v52
	s_waitcnt lgkmcnt(0)
	v_add_u32_e32 v52, v80, v52
	ds_write_b32 v76, v52 offset:8
.LBB50_20:                              ;   in Loop: Header=BB50_2 Depth=1
	s_or_b64 exec, exec, s[86:87]
	v_cndmask_b32_e64 v52, 0, 1, s[66:67]
	v_cmp_ne_u32_e64 s[86:87], 0, v52
	v_cndmask_b32_e64 v83, 0, 1, s[72:73]
	v_xor_b32_e32 v52, s87, v68
	v_xor_b32_e32 v53, s86, v67
	v_cmp_ne_u32_e64 s[86:87], 0, v83
	v_and_b32_e32 v52, exec_hi, v52
	v_xor_b32_e32 v83, s87, v39
	v_and_b32_e32 v52, v52, v83
	v_cndmask_b32_e64 v83, 0, 1, s[74:75]
	v_and_b32_e32 v53, exec_lo, v53
	v_xor_b32_e32 v84, s86, v40
	v_cmp_ne_u32_e64 s[86:87], 0, v83
	v_and_b32_e32 v53, v53, v84
	v_xor_b32_e32 v83, s87, v41
	v_xor_b32_e32 v84, s86, v42
	v_and_b32_e32 v52, v52, v83
	v_and_b32_e32 v83, v53, v84
	v_cndmask_b32_e64 v53, 0, 1, s[76:77]
	v_cmp_ne_u32_e64 s[86:87], 0, v53
	v_xor_b32_e32 v53, s87, v43
	v_xor_b32_e32 v84, s86, v44
	; wave barrier
	ds_read_b32 v82, v77 offset:8
	v_and_b32_e32 v53, v52, v53
	v_and_b32_e32 v52, v83, v84
	v_mbcnt_lo_u32_b32 v83, v52, 0
	v_mbcnt_hi_u32_b32 v83, v53, v83
	v_cmp_eq_u32_e64 s[86:87], 0, v83
	v_cmp_ne_u64_e64 s[88:89], 0, v[52:53]
	s_and_b64 s[88:89], s[88:89], s[86:87]
	; wave barrier
	s_and_saveexec_b64 s[86:87], s[88:89]
	s_cbranch_execz .LBB50_22
; %bb.21:                               ;   in Loop: Header=BB50_2 Depth=1
	v_bcnt_u32_b32 v52, v52, 0
	v_bcnt_u32_b32 v52, v53, v52
	s_waitcnt lgkmcnt(0)
	v_add_u32_e32 v52, v82, v52
	ds_write_b32 v77, v52 offset:8
.LBB50_22:                              ;   in Loop: Header=BB50_2 Depth=1
	;; [unrolled: 42-line block ×3, first 2 shown]
	s_or_b64 exec, exec, s[86:87]
	; wave barrier
	s_waitcnt lgkmcnt(0)
	s_barrier
	ds_read_b32 v52, v2 offset:8
	s_waitcnt lgkmcnt(0)
	s_nop 0
	v_mov_b32_dpp v53, v52 row_shr:1 row_mask:0xf bank_mask:0xf
	v_cndmask_b32_e64 v53, v53, 0, s[6:7]
	v_add_u32_e32 v52, v53, v52
	s_nop 1
	v_mov_b32_dpp v53, v52 row_shr:2 row_mask:0xf bank_mask:0xf
	v_cndmask_b32_e64 v53, 0, v53, s[8:9]
	v_add_u32_e32 v52, v52, v53
	s_nop 1
	v_mov_b32_dpp v53, v52 row_shr:4 row_mask:0xf bank_mask:0xf
	v_cndmask_b32_e64 v53, 0, v53, s[10:11]
	v_add_u32_e32 v52, v52, v53
	s_nop 1
	v_mov_b32_dpp v53, v52 row_shr:8 row_mask:0xf bank_mask:0xf
	v_cndmask_b32_e64 v53, 0, v53, s[12:13]
	v_add_u32_e32 v52, v52, v53
	s_nop 1
	v_mov_b32_dpp v53, v52 row_bcast:15 row_mask:0xf bank_mask:0xf
	v_cndmask_b32_e64 v53, v53, 0, s[14:15]
	v_add_u32_e32 v52, v52, v53
	s_nop 1
	v_mov_b32_dpp v53, v52 row_bcast:31 row_mask:0xf bank_mask:0xf
	v_cndmask_b32_e32 v53, 0, v53, vcc
	v_add_u32_e32 v52, v52, v53
	s_and_saveexec_b64 s[86:87], s[16:17]
	s_cbranch_execz .LBB50_26
; %bb.25:                               ;   in Loop: Header=BB50_2 Depth=1
	ds_write_b32 v51, v52
.LBB50_26:                              ;   in Loop: Header=BB50_2 Depth=1
	s_or_b64 exec, exec, s[86:87]
	s_waitcnt lgkmcnt(0)
	s_barrier
	s_and_saveexec_b64 s[86:87], s[0:1]
	s_cbranch_execz .LBB50_28
; %bb.27:                               ;   in Loop: Header=BB50_2 Depth=1
	ds_read_b32 v53, v2
	s_waitcnt lgkmcnt(0)
	s_nop 0
	v_mov_b32_dpp v86, v53 row_shr:1 row_mask:0xf bank_mask:0xf
	v_cndmask_b32_e64 v86, v86, 0, s[18:19]
	v_add_u32_e32 v53, v86, v53
	ds_write_b32 v2, v53
.LBB50_28:                              ;   in Loop: Header=BB50_2 Depth=1
	s_or_b64 exec, exec, s[86:87]
	v_mov_b32_e32 v53, 0
	s_waitcnt lgkmcnt(0)
	s_barrier
	s_and_saveexec_b64 s[86:87], s[2:3]
	s_cbranch_execz .LBB50_1
; %bb.29:                               ;   in Loop: Header=BB50_2 Depth=1
	ds_read_b32 v53, v54
	s_branch .LBB50_1
.LBB50_30:
	ds_read_b32 v3, v78 offset:8
	ds_read_b32 v4, v77 offset:8
	;; [unrolled: 1-line block ×4, first 2 shown]
	s_lshl_b64 s[0:1], s[92:93], 2
	s_add_u32 s0, s90, s0
	s_addc_u32 s1, s91, s1
	v_lshlrev_b32_e32 v6, 2, v2
	s_waitcnt lgkmcnt(1)
	v_add3_u32 v1, v81, v80, v1
	s_waitcnt lgkmcnt(0)
	v_add_u32_e32 v0, v5, v0
	v_add3_u32 v3, v85, v84, v3
	v_add3_u32 v2, v83, v82, v4
	global_store_dwordx4 v6, v[0:3], s[0:1]
	s_endpgm
	.section	.rodata,"a",@progbits
	.p2align	6, 0x0
	.amdhsa_kernel _Z11rank_kernelIhLj4ELb0EL18RadixRankAlgorithm2ELj128ELj4ELj10EEvPKT_Pi
		.amdhsa_group_segment_fixed_size 520
		.amdhsa_private_segment_fixed_size 0
		.amdhsa_kernarg_size 272
		.amdhsa_user_sgpr_count 6
		.amdhsa_user_sgpr_private_segment_buffer 1
		.amdhsa_user_sgpr_dispatch_ptr 0
		.amdhsa_user_sgpr_queue_ptr 0
		.amdhsa_user_sgpr_kernarg_segment_ptr 1
		.amdhsa_user_sgpr_dispatch_id 0
		.amdhsa_user_sgpr_flat_scratch_init 0
		.amdhsa_user_sgpr_kernarg_preload_length 0
		.amdhsa_user_sgpr_kernarg_preload_offset 0
		.amdhsa_user_sgpr_private_segment_size 0
		.amdhsa_uses_dynamic_stack 0
		.amdhsa_system_sgpr_private_segment_wavefront_offset 0
		.amdhsa_system_sgpr_workgroup_id_x 1
		.amdhsa_system_sgpr_workgroup_id_y 0
		.amdhsa_system_sgpr_workgroup_id_z 0
		.amdhsa_system_sgpr_workgroup_info 0
		.amdhsa_system_vgpr_workitem_id 2
		.amdhsa_next_free_vgpr 87
		.amdhsa_next_free_sgpr 94
		.amdhsa_accum_offset 88
		.amdhsa_reserve_vcc 1
		.amdhsa_reserve_flat_scratch 0
		.amdhsa_float_round_mode_32 0
		.amdhsa_float_round_mode_16_64 0
		.amdhsa_float_denorm_mode_32 3
		.amdhsa_float_denorm_mode_16_64 3
		.amdhsa_dx10_clamp 1
		.amdhsa_ieee_mode 1
		.amdhsa_fp16_overflow 0
		.amdhsa_tg_split 0
		.amdhsa_exception_fp_ieee_invalid_op 0
		.amdhsa_exception_fp_denorm_src 0
		.amdhsa_exception_fp_ieee_div_zero 0
		.amdhsa_exception_fp_ieee_overflow 0
		.amdhsa_exception_fp_ieee_underflow 0
		.amdhsa_exception_fp_ieee_inexact 0
		.amdhsa_exception_int_div_zero 0
	.end_amdhsa_kernel
	.section	.text._Z11rank_kernelIhLj4ELb0EL18RadixRankAlgorithm2ELj128ELj4ELj10EEvPKT_Pi,"axG",@progbits,_Z11rank_kernelIhLj4ELb0EL18RadixRankAlgorithm2ELj128ELj4ELj10EEvPKT_Pi,comdat
.Lfunc_end50:
	.size	_Z11rank_kernelIhLj4ELb0EL18RadixRankAlgorithm2ELj128ELj4ELj10EEvPKT_Pi, .Lfunc_end50-_Z11rank_kernelIhLj4ELb0EL18RadixRankAlgorithm2ELj128ELj4ELj10EEvPKT_Pi
                                        ; -- End function
	.section	.AMDGPU.csdata,"",@progbits
; Kernel info:
; codeLenInByte = 3876
; NumSgprs: 98
; NumVgprs: 87
; NumAgprs: 0
; TotalNumVgprs: 87
; ScratchSize: 0
; MemoryBound: 0
; FloatMode: 240
; IeeeMode: 1
; LDSByteSize: 520 bytes/workgroup (compile time only)
; SGPRBlocks: 12
; VGPRBlocks: 10
; NumSGPRsForWavesPerEU: 98
; NumVGPRsForWavesPerEU: 87
; AccumOffset: 88
; Occupancy: 5
; WaveLimiterHint : 0
; COMPUTE_PGM_RSRC2:SCRATCH_EN: 0
; COMPUTE_PGM_RSRC2:USER_SGPR: 6
; COMPUTE_PGM_RSRC2:TRAP_HANDLER: 0
; COMPUTE_PGM_RSRC2:TGID_X_EN: 1
; COMPUTE_PGM_RSRC2:TGID_Y_EN: 0
; COMPUTE_PGM_RSRC2:TGID_Z_EN: 0
; COMPUTE_PGM_RSRC2:TIDIG_COMP_CNT: 2
; COMPUTE_PGM_RSRC3_GFX90A:ACCUM_OFFSET: 21
; COMPUTE_PGM_RSRC3_GFX90A:TG_SPLIT: 0
	.section	.text._Z11rank_kernelIhLj4ELb0EL18RadixRankAlgorithm0ELj128ELj8ELj10EEvPKT_Pi,"axG",@progbits,_Z11rank_kernelIhLj4ELb0EL18RadixRankAlgorithm0ELj128ELj8ELj10EEvPKT_Pi,comdat
	.protected	_Z11rank_kernelIhLj4ELb0EL18RadixRankAlgorithm0ELj128ELj8ELj10EEvPKT_Pi ; -- Begin function _Z11rank_kernelIhLj4ELb0EL18RadixRankAlgorithm0ELj128ELj8ELj10EEvPKT_Pi
	.globl	_Z11rank_kernelIhLj4ELb0EL18RadixRankAlgorithm0ELj128ELj8ELj10EEvPKT_Pi
	.p2align	8
	.type	_Z11rank_kernelIhLj4ELb0EL18RadixRankAlgorithm0ELj128ELj8ELj10EEvPKT_Pi,@function
_Z11rank_kernelIhLj4ELb0EL18RadixRankAlgorithm0ELj128ELj8ELj10EEvPKT_Pi: ; @_Z11rank_kernelIhLj4ELb0EL18RadixRankAlgorithm0ELj128ELj8ELj10EEvPKT_Pi
; %bb.0:
	s_load_dwordx4 s[20:23], s[4:5], 0x0
	s_lshl_b32 s24, s6, 10
	v_lshlrev_b32_e32 v2, 3, v0
	v_mbcnt_lo_u32_b32 v1, -1, 0
	v_mbcnt_hi_u32_b32 v1, -1, v1
	s_waitcnt lgkmcnt(0)
	s_add_u32 s0, s20, s24
	s_addc_u32 s1, s21, 0
	global_load_dwordx2 v[4:5], v2, s[0:1]
	v_add_u32_e32 v12, -1, v1
	v_and_b32_e32 v13, 64, v1
	v_or_b32_e32 v8, 63, v0
	v_lshrrev_b32_e32 v9, 4, v0
	v_cmp_lt_i32_e64 s[18:19], v12, v13
	v_and_b32_e32 v10, 15, v1
	v_and_b32_e32 v11, 16, v1
	v_cmp_lt_u32_e64 s[2:3], 31, v1
	v_cmp_eq_u32_e64 s[4:5], v8, v0
	v_cmp_eq_u32_e64 s[6:7], 0, v1
	v_and_b32_e32 v8, 4, v9
	v_and_b32_e32 v9, 1, v1
	v_cndmask_b32_e64 v1, v12, v1, s[18:19]
	s_movk_i32 s20, 0x380
	v_cmp_eq_u32_e64 s[8:9], 0, v10
	v_cmp_lt_u32_e64 s[10:11], 1, v10
	v_cmp_lt_u32_e64 s[12:13], 3, v10
	;; [unrolled: 1-line block ×3, first 2 shown]
	v_cmp_eq_u32_e64 s[18:19], 0, v9
	v_lshlrev_b32_e32 v9, 2, v1
	v_cmp_eq_u32_e64 s[16:17], 0, v11
	s_mov_b32 s25, 0
	v_mov_b32_e32 v3, 0
	v_lshlrev_b32_e32 v6, 5, v0
	v_cmp_gt_u32_e32 vcc, 2, v0
	v_cmp_lt_u32_e64 s[0:1], 63, v0
	v_lshlrev_b32_e32 v7, 2, v0
	s_mov_b32 s30, s25
	s_waitcnt vmcnt(0)
	v_lshlrev_b32_e32 v1, 3, v4
	v_lshrrev_b32_e32 v10, 6, v4
	v_lshrrev_b32_e32 v13, 1, v4
	v_lshrrev_b32_e32 v14, 10, v4
	v_lshrrev_b32_e32 v15, 9, v4
	v_lshrrev_b32_e32 v16, 18, v4
	v_lshrrev_b32_e32 v29, 13, v4
	v_lshrrev_b32_e32 v30, 22, v4
	v_and_or_b32 v1, v1, s20, v0
	v_and_b32_e32 v10, 2, v10
	v_and_or_b32 v13, v13, s20, v0
	v_and_b32_e32 v14, 2, v14
	;; [unrolled: 2-line block ×3, first 2 shown]
	v_and_or_b32 v29, v29, s20, v0
	v_lshl_or_b32 v10, v1, 2, v10
	v_and_b32_e32 v1, 2, v30
	v_lshl_or_b32 v13, v13, 2, v14
	v_lshl_or_b32 v14, v15, 2, v16
	;; [unrolled: 1-line block ×3, first 2 shown]
	v_lshrrev_b32_e32 v1, 21, v4
	v_lshrrev_b32_e32 v17, 17, v4
	;; [unrolled: 1-line block ×5, first 2 shown]
	v_and_or_b32 v1, v1, s20, v0
	v_and_or_b32 v17, v17, s20, v0
	v_and_b32_e32 v18, 2, v18
	v_and_or_b32 v21, v21, s20, v0
	v_and_b32_e32 v22, 2, v22
	v_alignbit_b32 v1, v1, v4, 30
	v_lshlrev_b32_e32 v11, 7, v4
	v_lshrrev_b32_e32 v12, 2, v4
	v_lshlrev_b32_e32 v19, 7, v5
	v_lshrrev_b32_e32 v20, 2, v5
	v_lshrrev_b32_e32 v27, 5, v4
	;; [unrolled: 1-line block ×3, first 2 shown]
	v_lshl_or_b32 v15, v17, 2, v18
	v_lshl_or_b32 v18, v21, 2, v22
	v_and_b32_e32 v22, 0xffe, v1
	v_lshlrev_b32_e32 v1, 3, v5
	v_lshrrev_b32_e32 v4, 6, v5
	v_and_or_b32 v19, v19, s20, v0
	v_and_b32_e32 v20, 2, v20
	v_and_or_b32 v1, v1, s20, v0
	v_and_b32_e32 v4, 2, v4
	v_lshrrev_b32_e32 v23, 9, v5
	v_lshrrev_b32_e32 v24, 18, v5
	v_lshl_or_b32 v17, v19, 2, v20
	v_lshl_or_b32 v20, v1, 2, v4
	v_lshrrev_b32_e32 v1, 5, v5
	v_lshrrev_b32_e32 v4, 14, v5
	v_and_or_b32 v23, v23, s20, v0
	v_and_b32_e32 v24, 2, v24
	v_and_or_b32 v1, v1, s20, v0
	v_and_b32_e32 v4, 2, v4
	v_lshl_or_b32 v19, v23, 2, v24
	v_lshl_or_b32 v23, v1, 2, v4
	v_lshrrev_b32_e32 v1, 13, v5
	v_lshrrev_b32_e32 v4, 22, v5
	v_and_or_b32 v1, v1, s20, v0
	v_and_b32_e32 v4, 2, v4
	v_lshl_or_b32 v24, v1, 2, v4
	v_lshrrev_b32_e32 v1, 21, v5
	v_lshrrev_b32_e32 v25, 17, v5
	;; [unrolled: 1-line block ×3, first 2 shown]
	v_and_or_b32 v1, v1, s20, v0
	v_and_or_b32 v11, v11, s20, v0
	v_and_b32_e32 v12, 2, v12
	v_and_or_b32 v25, v25, s20, v0
	v_and_b32_e32 v26, 2, v26
	v_and_or_b32 v27, v27, s20, v0
	v_and_b32_e32 v28, 2, v28
	v_alignbit_b32 v1, v1, v5, 30
	v_lshl_or_b32 v11, v11, 2, v12
	v_lshl_or_b32 v21, v25, 2, v26
	;; [unrolled: 1-line block ×3, first 2 shown]
	v_and_b32_e32 v25, 0xffe, v1
	v_or_b32_e32 v1, 0x80, v0
	s_branch .LBB51_2
.LBB51_1:                               ;   in Loop: Header=BB51_2 Depth=1
	s_or_b64 exec, exec, s[20:21]
	s_waitcnt lgkmcnt(0)
	v_add_u32_e32 v32, v33, v32
	ds_bpermute_b32 v32, v9, v32
	ds_read_b32 v34, v3 offset:4100
	s_add_i32 s30, s30, 1
	s_cmp_eq_u32 s30, 10
	s_waitcnt lgkmcnt(1)
	v_cndmask_b32_e64 v35, v32, v33, s[6:7]
	ds_read2_b32 v[32:33], v6 offset1:1
	s_waitcnt lgkmcnt(1)
	v_lshl_add_u32 v38, v34, 16, v35
	ds_read2_b32 v[34:35], v6 offset0:2 offset1:3
	ds_read2_b32 v[36:37], v6 offset0:4 offset1:5
	ds_read_b32 v39, v6 offset:24
	s_waitcnt lgkmcnt(3)
	v_add_u32_e32 v32, v38, v32
	ds_write2_b32 v6, v38, v32 offset1:1
	v_add_u32_e32 v32, v33, v32
	s_waitcnt lgkmcnt(3)
	v_add_u32_e32 v33, v34, v32
	ds_write2_b32 v6, v32, v33 offset0:2 offset1:3
	v_add_u32_e32 v32, v35, v33
	s_waitcnt lgkmcnt(3)
	v_add_u32_e32 v33, v36, v32
	ds_write2_b32 v6, v32, v33 offset0:4 offset1:5
	;; [unrolled: 4-line block ×3, first 2 shown]
	s_waitcnt lgkmcnt(0)
	s_barrier
	s_cbranch_scc1 .LBB51_26
.LBB51_2:                               ; =>This Loop Header: Depth=1
                                        ;     Child Loop BB51_4 Depth 2
                                        ;     Child Loop BB51_16 Depth 2
	s_mov_b64 s[20:21], 0
	s_mov_b32 s31, 0
	v_pk_mov_b32 v[4:5], v[0:1], v[0:1] op_sel:[0,1]
	s_branch .LBB51_4
.LBB51_3:                               ;   in Loop: Header=BB51_4 Depth=2
	s_or_b64 exec, exec, s[28:29]
	s_add_i32 s31, s31, 2
	v_cmp_eq_u32_e64 s[26:27], 8, s31
	v_add_u32_e32 v5, 0x100, v5
	s_or_b64 s[20:21], s[26:27], s[20:21]
	v_add_u32_e32 v4, 0x100, v4
	s_andn2_b64 exec, exec, s[20:21]
	s_cbranch_execz .LBB51_8
.LBB51_4:                               ;   Parent Loop BB51_2 Depth=1
                                        ; =>  This Inner Loop Header: Depth=2
	s_or_b32 s26, s31, 1
	v_cmp_le_u32_e64 s[26:27], s26, 7
	v_cmp_le_u32_e64 s[34:35], s31, 7
	s_and_saveexec_b64 s[28:29], s[34:35]
	s_cbranch_execz .LBB51_6
; %bb.5:                                ;   in Loop: Header=BB51_4 Depth=2
	v_lshlrev_b32_e32 v26, 2, v4
	ds_write_b32 v26, v3
.LBB51_6:                               ;   in Loop: Header=BB51_4 Depth=2
	s_or_b64 exec, exec, s[28:29]
	s_and_saveexec_b64 s[28:29], s[26:27]
	s_cbranch_execz .LBB51_3
; %bb.7:                                ;   in Loop: Header=BB51_4 Depth=2
	v_lshlrev_b32_e32 v26, 2, v5
	ds_write_b32 v26, v3
	s_branch .LBB51_3
.LBB51_8:                               ;   in Loop: Header=BB51_2 Depth=1
	s_or_b64 exec, exec, s[20:21]
	ds_read_u16 v4, v11
	s_waitcnt lgkmcnt(0)
	v_add_u16_e32 v4, 1, v4
	ds_write_b16 v11, v4
	ds_read_u16 v4, v13
	s_waitcnt lgkmcnt(0)
	v_add_u16_e32 v4, 1, v4
	ds_write_b16 v13, v4
	;; [unrolled: 4-line block ×8, first 2 shown]
	s_waitcnt lgkmcnt(0)
	s_barrier
	ds_read2_b32 v[4:5], v6 offset1:1
	ds_read2_b32 v[26:27], v6 offset0:2 offset1:3
	ds_read2_b32 v[28:29], v6 offset0:4 offset1:5
	;; [unrolled: 1-line block ×3, first 2 shown]
	s_waitcnt lgkmcnt(3)
	v_add_u32_e32 v4, v5, v4
	s_waitcnt lgkmcnt(2)
	v_add3_u32 v4, v4, v26, v27
	s_waitcnt lgkmcnt(1)
	v_add3_u32 v4, v4, v28, v29
	s_waitcnt lgkmcnt(0)
	v_add3_u32 v4, v4, v30, v31
	s_nop 1
	v_mov_b32_dpp v5, v4 row_shr:1 row_mask:0xf bank_mask:0xf
	v_cndmask_b32_e64 v5, v5, 0, s[8:9]
	v_add_u32_e32 v4, v5, v4
	s_nop 1
	v_mov_b32_dpp v5, v4 row_shr:2 row_mask:0xf bank_mask:0xf
	v_cndmask_b32_e64 v5, 0, v5, s[10:11]
	v_add_u32_e32 v4, v4, v5
	;; [unrolled: 4-line block ×4, first 2 shown]
	s_nop 1
	v_mov_b32_dpp v5, v4 row_bcast:15 row_mask:0xf bank_mask:0xf
	v_cndmask_b32_e64 v5, v5, 0, s[16:17]
	v_add_u32_e32 v4, v4, v5
	s_nop 1
	v_mov_b32_dpp v5, v4 row_bcast:31 row_mask:0xf bank_mask:0xf
	v_cndmask_b32_e64 v5, 0, v5, s[2:3]
	v_add_u32_e32 v4, v4, v5
	s_and_saveexec_b64 s[20:21], s[4:5]
	s_cbranch_execz .LBB51_10
; %bb.9:                                ;   in Loop: Header=BB51_2 Depth=1
	ds_write_b32 v8, v4 offset:4096
.LBB51_10:                              ;   in Loop: Header=BB51_2 Depth=1
	s_or_b64 exec, exec, s[20:21]
	s_waitcnt lgkmcnt(0)
	s_barrier
	s_and_saveexec_b64 s[20:21], vcc
	s_cbranch_execz .LBB51_12
; %bb.11:                               ;   in Loop: Header=BB51_2 Depth=1
	ds_read_b32 v5, v7 offset:4096
	s_waitcnt lgkmcnt(0)
	s_nop 0
	v_mov_b32_dpp v26, v5 row_shr:1 row_mask:0xf bank_mask:0xf
	v_cndmask_b32_e64 v26, v26, 0, s[18:19]
	v_add_u32_e32 v5, v26, v5
	ds_write_b32 v7, v5 offset:4096
.LBB51_12:                              ;   in Loop: Header=BB51_2 Depth=1
	s_or_b64 exec, exec, s[20:21]
	v_mov_b32_e32 v5, 0
	s_waitcnt lgkmcnt(0)
	s_barrier
	s_and_saveexec_b64 s[20:21], s[0:1]
	s_cbranch_execz .LBB51_14
; %bb.13:                               ;   in Loop: Header=BB51_2 Depth=1
	ds_read_b32 v5, v8 offset:4092
.LBB51_14:                              ;   in Loop: Header=BB51_2 Depth=1
	s_or_b64 exec, exec, s[20:21]
	s_waitcnt lgkmcnt(0)
	v_add_u32_e32 v4, v5, v4
	ds_bpermute_b32 v4, v9, v4
	ds_read_b32 v26, v3 offset:4100
	s_mov_b32 s31, 0
	s_mov_b64 s[20:21], 0
	s_waitcnt lgkmcnt(1)
	v_cndmask_b32_e64 v27, v4, v5, s[6:7]
	ds_read2_b32 v[4:5], v6 offset1:1
	s_waitcnt lgkmcnt(1)
	v_lshl_add_u32 v30, v26, 16, v27
	ds_read2_b32 v[26:27], v6 offset0:2 offset1:3
	ds_read2_b32 v[28:29], v6 offset0:4 offset1:5
	ds_read_b32 v31, v6 offset:24
	s_waitcnt lgkmcnt(3)
	v_add_u32_e32 v4, v30, v4
	ds_write2_b32 v6, v30, v4 offset1:1
	v_add_u32_e32 v4, v5, v4
	s_waitcnt lgkmcnt(3)
	v_add_u32_e32 v5, v26, v4
	ds_write2_b32 v6, v4, v5 offset0:2 offset1:3
	v_add_u32_e32 v4, v27, v5
	s_waitcnt lgkmcnt(3)
	v_add_u32_e32 v5, v28, v4
	ds_write2_b32 v6, v4, v5 offset0:4 offset1:5
	;; [unrolled: 4-line block ×3, first 2 shown]
	v_pk_mov_b32 v[4:5], v[0:1], v[0:1] op_sel:[0,1]
	s_waitcnt lgkmcnt(0)
	s_barrier
	s_branch .LBB51_16
.LBB51_15:                              ;   in Loop: Header=BB51_16 Depth=2
	s_or_b64 exec, exec, s[28:29]
	s_add_i32 s31, s31, 2
	v_cmp_eq_u32_e64 s[26:27], 8, s31
	v_add_u32_e32 v5, 0x100, v5
	s_or_b64 s[20:21], s[26:27], s[20:21]
	v_add_u32_e32 v4, 0x100, v4
	s_andn2_b64 exec, exec, s[20:21]
	s_cbranch_execz .LBB51_20
.LBB51_16:                              ;   Parent Loop BB51_2 Depth=1
                                        ; =>  This Inner Loop Header: Depth=2
	s_or_b32 s26, s31, 1
	v_cmp_le_u32_e64 s[26:27], s26, 7
	v_cmp_le_u32_e64 s[34:35], s31, 7
	s_and_saveexec_b64 s[28:29], s[34:35]
	s_cbranch_execz .LBB51_18
; %bb.17:                               ;   in Loop: Header=BB51_16 Depth=2
	v_lshlrev_b32_e32 v26, 2, v4
	ds_write_b32 v26, v3
.LBB51_18:                              ;   in Loop: Header=BB51_16 Depth=2
	s_or_b64 exec, exec, s[28:29]
	s_and_saveexec_b64 s[28:29], s[26:27]
	s_cbranch_execz .LBB51_15
; %bb.19:                               ;   in Loop: Header=BB51_16 Depth=2
	v_lshlrev_b32_e32 v26, 2, v5
	ds_write_b32 v26, v3
	s_branch .LBB51_15
.LBB51_20:                              ;   in Loop: Header=BB51_2 Depth=1
	s_or_b64 exec, exec, s[20:21]
	ds_read_u16 v4, v10
	s_waitcnt lgkmcnt(0)
	v_add_u16_e32 v5, 1, v4
	ds_write_b16 v10, v5
	ds_read_u16 v5, v12
	s_waitcnt lgkmcnt(0)
	v_add_u16_e32 v26, 1, v5
	ds_write_b16 v12, v26
	;; [unrolled: 4-line block ×8, first 2 shown]
	s_waitcnt lgkmcnt(0)
	s_barrier
	ds_read2_b32 v[32:33], v6 offset1:1
	ds_read2_b32 v[34:35], v6 offset0:2 offset1:3
	ds_read2_b32 v[36:37], v6 offset0:4 offset1:5
	;; [unrolled: 1-line block ×3, first 2 shown]
	s_waitcnt lgkmcnt(3)
	v_add_u32_e32 v32, v33, v32
	s_waitcnt lgkmcnt(2)
	v_add3_u32 v32, v32, v34, v35
	s_waitcnt lgkmcnt(1)
	v_add3_u32 v32, v32, v36, v37
	;; [unrolled: 2-line block ×3, first 2 shown]
	s_nop 1
	v_mov_b32_dpp v33, v32 row_shr:1 row_mask:0xf bank_mask:0xf
	v_cndmask_b32_e64 v33, v33, 0, s[8:9]
	v_add_u32_e32 v32, v33, v32
	s_nop 1
	v_mov_b32_dpp v33, v32 row_shr:2 row_mask:0xf bank_mask:0xf
	v_cndmask_b32_e64 v33, 0, v33, s[10:11]
	v_add_u32_e32 v32, v32, v33
	s_nop 1
	v_mov_b32_dpp v33, v32 row_shr:4 row_mask:0xf bank_mask:0xf
	v_cndmask_b32_e64 v33, 0, v33, s[12:13]
	v_add_u32_e32 v32, v32, v33
	s_nop 1
	v_mov_b32_dpp v33, v32 row_shr:8 row_mask:0xf bank_mask:0xf
	v_cndmask_b32_e64 v33, 0, v33, s[14:15]
	v_add_u32_e32 v32, v32, v33
	s_nop 1
	v_mov_b32_dpp v33, v32 row_bcast:15 row_mask:0xf bank_mask:0xf
	v_cndmask_b32_e64 v33, v33, 0, s[16:17]
	v_add_u32_e32 v32, v32, v33
	s_nop 1
	v_mov_b32_dpp v33, v32 row_bcast:31 row_mask:0xf bank_mask:0xf
	v_cndmask_b32_e64 v33, 0, v33, s[2:3]
	v_add_u32_e32 v32, v32, v33
	s_and_saveexec_b64 s[20:21], s[4:5]
	s_cbranch_execz .LBB51_22
; %bb.21:                               ;   in Loop: Header=BB51_2 Depth=1
	ds_write_b32 v8, v32 offset:4096
.LBB51_22:                              ;   in Loop: Header=BB51_2 Depth=1
	s_or_b64 exec, exec, s[20:21]
	s_waitcnt lgkmcnt(0)
	s_barrier
	s_and_saveexec_b64 s[20:21], vcc
	s_cbranch_execz .LBB51_24
; %bb.23:                               ;   in Loop: Header=BB51_2 Depth=1
	ds_read_b32 v33, v7 offset:4096
	s_waitcnt lgkmcnt(0)
	s_nop 0
	v_mov_b32_dpp v34, v33 row_shr:1 row_mask:0xf bank_mask:0xf
	v_cndmask_b32_e64 v34, v34, 0, s[18:19]
	v_add_u32_e32 v33, v34, v33
	ds_write_b32 v7, v33 offset:4096
.LBB51_24:                              ;   in Loop: Header=BB51_2 Depth=1
	s_or_b64 exec, exec, s[20:21]
	v_mov_b32_e32 v33, 0
	s_waitcnt lgkmcnt(0)
	s_barrier
	s_and_saveexec_b64 s[20:21], s[0:1]
	s_cbranch_execz .LBB51_1
; %bb.25:                               ;   in Loop: Header=BB51_2 Depth=1
	ds_read_b32 v33, v8 offset:4092
	s_branch .LBB51_1
.LBB51_26:
	ds_read_u16 v0, v22
	ds_read_u16 v1, v16
	;; [unrolled: 1-line block ×8, first 2 shown]
	s_lshl_b64 s[0:1], s[24:25], 2
	s_add_u32 s0, s22, s0
	s_waitcnt lgkmcnt(4)
	v_add_u32_sdwa v4, v6, v4 dst_sel:DWORD dst_unused:UNUSED_PAD src0_sel:DWORD src1_sel:WORD_0
	v_add_u32_sdwa v5, v3, v5 dst_sel:DWORD dst_unused:UNUSED_PAD src0_sel:DWORD src1_sel:WORD_0
	;; [unrolled: 1-line block ×4, first 2 shown]
	s_addc_u32 s1, s23, s1
	v_lshlrev_b32_e32 v0, 2, v2
	s_waitcnt lgkmcnt(0)
	v_add_u32_sdwa v8, v8, v28 dst_sel:DWORD dst_unused:UNUSED_PAD src0_sel:DWORD src1_sel:WORD_0
	v_add_u32_sdwa v9, v9, v29 dst_sel:DWORD dst_unused:UNUSED_PAD src0_sel:DWORD src1_sel:WORD_0
	;; [unrolled: 1-line block ×4, first 2 shown]
	global_store_dwordx4 v0, v[4:7], s[0:1]
	global_store_dwordx4 v0, v[8:11], s[0:1] offset:16
	s_endpgm
	.section	.rodata,"a",@progbits
	.p2align	6, 0x0
	.amdhsa_kernel _Z11rank_kernelIhLj4ELb0EL18RadixRankAlgorithm0ELj128ELj8ELj10EEvPKT_Pi
		.amdhsa_group_segment_fixed_size 4104
		.amdhsa_private_segment_fixed_size 0
		.amdhsa_kernarg_size 16
		.amdhsa_user_sgpr_count 6
		.amdhsa_user_sgpr_private_segment_buffer 1
		.amdhsa_user_sgpr_dispatch_ptr 0
		.amdhsa_user_sgpr_queue_ptr 0
		.amdhsa_user_sgpr_kernarg_segment_ptr 1
		.amdhsa_user_sgpr_dispatch_id 0
		.amdhsa_user_sgpr_flat_scratch_init 0
		.amdhsa_user_sgpr_kernarg_preload_length 0
		.amdhsa_user_sgpr_kernarg_preload_offset 0
		.amdhsa_user_sgpr_private_segment_size 0
		.amdhsa_uses_dynamic_stack 0
		.amdhsa_system_sgpr_private_segment_wavefront_offset 0
		.amdhsa_system_sgpr_workgroup_id_x 1
		.amdhsa_system_sgpr_workgroup_id_y 0
		.amdhsa_system_sgpr_workgroup_id_z 0
		.amdhsa_system_sgpr_workgroup_info 0
		.amdhsa_system_vgpr_workitem_id 0
		.amdhsa_next_free_vgpr 40
		.amdhsa_next_free_sgpr 36
		.amdhsa_accum_offset 40
		.amdhsa_reserve_vcc 1
		.amdhsa_reserve_flat_scratch 0
		.amdhsa_float_round_mode_32 0
		.amdhsa_float_round_mode_16_64 0
		.amdhsa_float_denorm_mode_32 3
		.amdhsa_float_denorm_mode_16_64 3
		.amdhsa_dx10_clamp 1
		.amdhsa_ieee_mode 1
		.amdhsa_fp16_overflow 0
		.amdhsa_tg_split 0
		.amdhsa_exception_fp_ieee_invalid_op 0
		.amdhsa_exception_fp_denorm_src 0
		.amdhsa_exception_fp_ieee_div_zero 0
		.amdhsa_exception_fp_ieee_overflow 0
		.amdhsa_exception_fp_ieee_underflow 0
		.amdhsa_exception_fp_ieee_inexact 0
		.amdhsa_exception_int_div_zero 0
	.end_amdhsa_kernel
	.section	.text._Z11rank_kernelIhLj4ELb0EL18RadixRankAlgorithm0ELj128ELj8ELj10EEvPKT_Pi,"axG",@progbits,_Z11rank_kernelIhLj4ELb0EL18RadixRankAlgorithm0ELj128ELj8ELj10EEvPKT_Pi,comdat
.Lfunc_end51:
	.size	_Z11rank_kernelIhLj4ELb0EL18RadixRankAlgorithm0ELj128ELj8ELj10EEvPKT_Pi, .Lfunc_end51-_Z11rank_kernelIhLj4ELb0EL18RadixRankAlgorithm0ELj128ELj8ELj10EEvPKT_Pi
                                        ; -- End function
	.section	.AMDGPU.csdata,"",@progbits
; Kernel info:
; codeLenInByte = 2536
; NumSgprs: 40
; NumVgprs: 40
; NumAgprs: 0
; TotalNumVgprs: 40
; ScratchSize: 0
; MemoryBound: 0
; FloatMode: 240
; IeeeMode: 1
; LDSByteSize: 4104 bytes/workgroup (compile time only)
; SGPRBlocks: 4
; VGPRBlocks: 4
; NumSGPRsForWavesPerEU: 40
; NumVGPRsForWavesPerEU: 40
; AccumOffset: 40
; Occupancy: 8
; WaveLimiterHint : 0
; COMPUTE_PGM_RSRC2:SCRATCH_EN: 0
; COMPUTE_PGM_RSRC2:USER_SGPR: 6
; COMPUTE_PGM_RSRC2:TRAP_HANDLER: 0
; COMPUTE_PGM_RSRC2:TGID_X_EN: 1
; COMPUTE_PGM_RSRC2:TGID_Y_EN: 0
; COMPUTE_PGM_RSRC2:TGID_Z_EN: 0
; COMPUTE_PGM_RSRC2:TIDIG_COMP_CNT: 0
; COMPUTE_PGM_RSRC3_GFX90A:ACCUM_OFFSET: 9
; COMPUTE_PGM_RSRC3_GFX90A:TG_SPLIT: 0
	.section	.text._Z11rank_kernelIhLj4ELb0EL18RadixRankAlgorithm1ELj128ELj8ELj10EEvPKT_Pi,"axG",@progbits,_Z11rank_kernelIhLj4ELb0EL18RadixRankAlgorithm1ELj128ELj8ELj10EEvPKT_Pi,comdat
	.protected	_Z11rank_kernelIhLj4ELb0EL18RadixRankAlgorithm1ELj128ELj8ELj10EEvPKT_Pi ; -- Begin function _Z11rank_kernelIhLj4ELb0EL18RadixRankAlgorithm1ELj128ELj8ELj10EEvPKT_Pi
	.globl	_Z11rank_kernelIhLj4ELb0EL18RadixRankAlgorithm1ELj128ELj8ELj10EEvPKT_Pi
	.p2align	8
	.type	_Z11rank_kernelIhLj4ELb0EL18RadixRankAlgorithm1ELj128ELj8ELj10EEvPKT_Pi,@function
_Z11rank_kernelIhLj4ELb0EL18RadixRankAlgorithm1ELj128ELj8ELj10EEvPKT_Pi: ; @_Z11rank_kernelIhLj4ELb0EL18RadixRankAlgorithm1ELj128ELj8ELj10EEvPKT_Pi
; %bb.0:
	s_load_dwordx4 s[20:23], s[4:5], 0x0
	s_lshl_b32 s24, s6, 10
	v_lshlrev_b32_e32 v2, 3, v0
	v_mbcnt_lo_u32_b32 v1, -1, 0
	v_mbcnt_hi_u32_b32 v1, -1, v1
	s_waitcnt lgkmcnt(0)
	s_add_u32 s0, s20, s24
	s_addc_u32 s1, s21, 0
	global_load_dwordx2 v[4:5], v2, s[0:1]
	v_or_b32_e32 v6, 63, v0
	v_cmp_eq_u32_e64 s[4:5], v6, v0
	v_add_u32_e32 v6, -1, v1
	v_and_b32_e32 v10, 64, v1
	v_lshrrev_b32_e32 v7, 4, v0
	v_cmp_lt_i32_e64 s[18:19], v6, v10
	v_and_b32_e32 v8, 15, v1
	v_and_b32_e32 v9, 16, v1
	v_cmp_lt_u32_e64 s[2:3], 31, v1
	v_cmp_eq_u32_e64 s[6:7], 0, v1
	v_and_b32_e32 v14, 4, v7
	v_and_b32_e32 v7, 1, v1
	v_cndmask_b32_e64 v1, v6, v1, s[18:19]
	s_movk_i32 s20, 0x380
	v_lshlrev_b32_e32 v15, 2, v1
	v_cmp_eq_u32_e64 s[8:9], 0, v8
	v_cmp_lt_u32_e64 s[10:11], 1, v8
	v_cmp_lt_u32_e64 s[12:13], 3, v8
	;; [unrolled: 1-line block ×3, first 2 shown]
	v_cmp_eq_u32_e64 s[16:17], 0, v9
	v_cmp_eq_u32_e64 s[18:19], 0, v7
	s_mov_b32 s25, 0
	v_mov_b32_e32 v3, 0
	v_lshlrev_b32_e32 v12, 5, v0
	v_cmp_gt_u32_e32 vcc, 2, v0
	v_cmp_lt_u32_e64 s[0:1], 63, v0
	v_lshlrev_b32_e32 v13, 2, v0
	s_mov_b32 s30, s25
	s_waitcnt vmcnt(0)
	v_lshlrev_b32_e32 v1, 3, v4
	v_lshrrev_b32_e32 v6, 6, v4
	v_lshrrev_b32_e32 v16, 18, v4
	;; [unrolled: 1-line block ×6, first 2 shown]
	v_and_or_b32 v1, v1, s20, v0
	v_and_b32_e32 v6, 2, v6
	v_lshrrev_b32_e32 v24, 18, v5
	v_and_b32_e32 v31, 2, v16
	v_and_or_b32 v35, v21, s20, v0
	v_and_b32_e32 v22, 2, v22
	v_and_or_b32 v29, v29, s20, v0
	v_lshl_or_b32 v16, v1, 2, v6
	v_and_b32_e32 v1, 2, v30
	v_and_b32_e32 v37, 2, v24
	v_lshl_or_b32 v24, v35, 2, v22
	v_lshl_or_b32 v22, v29, 2, v1
	v_lshrrev_b32_e32 v1, 21, v4
	v_lshrrev_b32_e32 v17, 17, v4
	;; [unrolled: 1-line block ×5, first 2 shown]
	v_and_or_b32 v1, v1, s20, v0
	v_and_or_b32 v32, v17, s20, v0
	v_and_b32_e32 v18, 2, v18
	v_and_or_b32 v39, v27, s20, v0
	v_and_b32_e32 v28, 2, v28
	v_alignbit_b32 v1, v1, v4, 30
	v_lshlrev_b32_e32 v7, 7, v4
	v_lshrrev_b32_e32 v8, 2, v4
	v_lshrrev_b32_e32 v9, 1, v4
	;; [unrolled: 1-line block ×6, first 2 shown]
	v_lshl_or_b32 v21, v32, 2, v18
	v_lshl_or_b32 v18, v39, 2, v28
	v_and_b32_e32 v28, 0xffe, v1
	v_lshlrev_b32_e32 v1, 3, v5
	v_lshrrev_b32_e32 v4, 6, v5
	v_and_or_b32 v38, v25, s20, v0
	v_and_b32_e32 v26, 2, v26
	v_and_or_b32 v1, v1, s20, v0
	v_and_b32_e32 v4, 2, v4
	v_lshl_or_b32 v27, v38, 2, v26
	v_lshl_or_b32 v26, v1, 2, v4
	v_lshrrev_b32_e32 v1, 5, v5
	v_lshrrev_b32_e32 v4, 14, v5
	v_and_or_b32 v1, v1, s20, v0
	v_and_b32_e32 v4, 2, v4
	v_lshl_or_b32 v29, v1, 2, v4
	v_lshrrev_b32_e32 v1, 13, v5
	v_lshrrev_b32_e32 v4, 22, v5
	v_and_or_b32 v1, v1, s20, v0
	v_and_b32_e32 v4, 2, v4
	v_lshl_or_b32 v30, v1, 2, v4
	v_lshrrev_b32_e32 v1, 21, v5
	v_lshlrev_b32_e32 v19, 7, v5
	v_lshrrev_b32_e32 v20, 2, v5
	v_lshrrev_b32_e32 v23, 9, v5
	v_and_or_b32 v1, v1, s20, v0
	v_and_or_b32 v7, v7, s20, v0
	v_and_b32_e32 v8, 2, v8
	v_and_or_b32 v9, v9, s20, v0
	v_and_b32_e32 v10, 2, v10
	v_and_or_b32 v11, v11, s20, v0
	v_and_or_b32 v33, v19, s20, v0
	v_and_b32_e32 v34, 2, v20
	v_and_or_b32 v36, v23, s20, v0
	v_alignbit_b32 v1, v1, v5, 30
	v_lshl_or_b32 v17, v7, 2, v8
	v_lshl_or_b32 v19, v9, 2, v10
	;; [unrolled: 1-line block ×5, first 2 shown]
	v_and_b32_e32 v31, 0xffe, v1
	v_or_b32_e32 v1, 0x80, v0
	s_branch .LBB52_2
.LBB52_1:                               ;   in Loop: Header=BB52_2 Depth=1
	s_or_b64 exec, exec, s[20:21]
	s_waitcnt lgkmcnt(0)
	v_add_u32_e32 v5, v40, v5
	ds_bpermute_b32 v5, v15, v5
	ds_read_b32 v41, v3 offset:4100
	s_add_i32 s30, s30, 1
	s_cmp_eq_u32 s30, 10
	s_waitcnt lgkmcnt(1)
	v_cndmask_b32_e64 v5, v5, v40, s[6:7]
	s_waitcnt lgkmcnt(0)
	v_lshl_add_u32 v5, v41, 16, v5
	v_add_u32_e32 v10, v5, v10
	v_add_u32_e32 v11, v10, v11
	ds_write2_b32 v12, v5, v10 offset1:1
	v_add_u32_e32 v5, v11, v8
	v_add_u32_e32 v8, v5, v9
	ds_write2_b32 v12, v11, v5 offset0:2 offset1:3
	v_add_u32_e32 v5, v8, v6
	v_add_u32_e32 v6, v5, v7
	;; [unrolled: 1-line block ×3, first 2 shown]
	ds_write2_b32 v12, v8, v5 offset0:4 offset1:5
	ds_write2_b32 v12, v6, v4 offset0:6 offset1:7
	s_waitcnt lgkmcnt(0)
	s_barrier
	s_cbranch_scc1 .LBB52_26
.LBB52_2:                               ; =>This Loop Header: Depth=1
                                        ;     Child Loop BB52_4 Depth 2
                                        ;     Child Loop BB52_16 Depth 2
	s_mov_b64 s[20:21], 0
	s_mov_b32 s31, 0
	v_pk_mov_b32 v[4:5], v[0:1], v[0:1] op_sel:[0,1]
	s_branch .LBB52_4
.LBB52_3:                               ;   in Loop: Header=BB52_4 Depth=2
	s_or_b64 exec, exec, s[28:29]
	s_add_i32 s31, s31, 2
	v_cmp_eq_u32_e64 s[26:27], 8, s31
	v_add_u32_e32 v5, 0x100, v5
	s_or_b64 s[20:21], s[26:27], s[20:21]
	v_add_u32_e32 v4, 0x100, v4
	s_andn2_b64 exec, exec, s[20:21]
	s_cbranch_execz .LBB52_8
.LBB52_4:                               ;   Parent Loop BB52_2 Depth=1
                                        ; =>  This Inner Loop Header: Depth=2
	s_or_b32 s26, s31, 1
	v_cmp_le_u32_e64 s[26:27], s26, 7
	v_cmp_le_u32_e64 s[34:35], s31, 7
	s_and_saveexec_b64 s[28:29], s[34:35]
	s_cbranch_execz .LBB52_6
; %bb.5:                                ;   in Loop: Header=BB52_4 Depth=2
	v_lshlrev_b32_e32 v6, 2, v4
	ds_write_b32 v6, v3
.LBB52_6:                               ;   in Loop: Header=BB52_4 Depth=2
	s_or_b64 exec, exec, s[28:29]
	s_and_saveexec_b64 s[28:29], s[26:27]
	s_cbranch_execz .LBB52_3
; %bb.7:                                ;   in Loop: Header=BB52_4 Depth=2
	v_lshlrev_b32_e32 v6, 2, v5
	ds_write_b32 v6, v3
	s_branch .LBB52_3
.LBB52_8:                               ;   in Loop: Header=BB52_2 Depth=1
	s_or_b64 exec, exec, s[20:21]
	ds_read_u16 v4, v17
	s_waitcnt lgkmcnt(0)
	v_add_u16_e32 v4, 1, v4
	ds_write_b16 v17, v4
	ds_read_u16 v4, v19
	s_waitcnt lgkmcnt(0)
	v_add_u16_e32 v4, 1, v4
	ds_write_b16 v19, v4
	;; [unrolled: 4-line block ×8, first 2 shown]
	s_waitcnt lgkmcnt(0)
	s_barrier
	ds_read2_b32 v[10:11], v12 offset1:1
	ds_read2_b32 v[8:9], v12 offset0:2 offset1:3
	ds_read2_b32 v[6:7], v12 offset0:4 offset1:5
	;; [unrolled: 1-line block ×3, first 2 shown]
	s_waitcnt lgkmcnt(3)
	v_add_u32_e32 v32, v11, v10
	s_waitcnt lgkmcnt(2)
	v_add3_u32 v32, v32, v8, v9
	s_waitcnt lgkmcnt(1)
	v_add3_u32 v32, v32, v6, v7
	;; [unrolled: 2-line block ×3, first 2 shown]
	s_nop 1
	v_mov_b32_dpp v32, v5 row_shr:1 row_mask:0xf bank_mask:0xf
	v_cndmask_b32_e64 v32, v32, 0, s[8:9]
	v_add_u32_e32 v5, v32, v5
	s_nop 1
	v_mov_b32_dpp v32, v5 row_shr:2 row_mask:0xf bank_mask:0xf
	v_cndmask_b32_e64 v32, 0, v32, s[10:11]
	v_add_u32_e32 v5, v5, v32
	;; [unrolled: 4-line block ×4, first 2 shown]
	s_nop 1
	v_mov_b32_dpp v32, v5 row_bcast:15 row_mask:0xf bank_mask:0xf
	v_cndmask_b32_e64 v32, v32, 0, s[16:17]
	v_add_u32_e32 v5, v5, v32
	s_nop 1
	v_mov_b32_dpp v32, v5 row_bcast:31 row_mask:0xf bank_mask:0xf
	v_cndmask_b32_e64 v32, 0, v32, s[2:3]
	v_add_u32_e32 v5, v5, v32
	s_and_saveexec_b64 s[20:21], s[4:5]
	s_cbranch_execz .LBB52_10
; %bb.9:                                ;   in Loop: Header=BB52_2 Depth=1
	ds_write_b32 v14, v5 offset:4096
.LBB52_10:                              ;   in Loop: Header=BB52_2 Depth=1
	s_or_b64 exec, exec, s[20:21]
	s_waitcnt lgkmcnt(0)
	s_barrier
	s_and_saveexec_b64 s[20:21], vcc
	s_cbranch_execz .LBB52_12
; %bb.11:                               ;   in Loop: Header=BB52_2 Depth=1
	ds_read_b32 v32, v13 offset:4096
	s_waitcnt lgkmcnt(0)
	s_nop 0
	v_mov_b32_dpp v33, v32 row_shr:1 row_mask:0xf bank_mask:0xf
	v_cndmask_b32_e64 v33, v33, 0, s[18:19]
	v_add_u32_e32 v32, v33, v32
	ds_write_b32 v13, v32 offset:4096
.LBB52_12:                              ;   in Loop: Header=BB52_2 Depth=1
	s_or_b64 exec, exec, s[20:21]
	v_mov_b32_e32 v32, 0
	s_waitcnt lgkmcnt(0)
	s_barrier
	s_and_saveexec_b64 s[20:21], s[0:1]
	s_cbranch_execz .LBB52_14
; %bb.13:                               ;   in Loop: Header=BB52_2 Depth=1
	ds_read_b32 v32, v14 offset:4092
.LBB52_14:                              ;   in Loop: Header=BB52_2 Depth=1
	s_or_b64 exec, exec, s[20:21]
	s_waitcnt lgkmcnt(0)
	v_add_u32_e32 v5, v32, v5
	ds_bpermute_b32 v5, v15, v5
	ds_read_b32 v33, v3 offset:4100
	s_mov_b32 s31, 0
	s_mov_b64 s[20:21], 0
	s_waitcnt lgkmcnt(1)
	v_cndmask_b32_e64 v5, v5, v32, s[6:7]
	s_waitcnt lgkmcnt(0)
	v_lshl_add_u32 v5, v33, 16, v5
	v_add_u32_e32 v10, v5, v10
	v_add_u32_e32 v11, v10, v11
	ds_write2_b32 v12, v5, v10 offset1:1
	v_add_u32_e32 v5, v11, v8
	v_add_u32_e32 v8, v5, v9
	ds_write2_b32 v12, v11, v5 offset0:2 offset1:3
	v_add_u32_e32 v5, v8, v6
	v_add_u32_e32 v6, v5, v7
	;; [unrolled: 1-line block ×3, first 2 shown]
	ds_write2_b32 v12, v8, v5 offset0:4 offset1:5
	ds_write2_b32 v12, v6, v4 offset0:6 offset1:7
	v_pk_mov_b32 v[4:5], v[0:1], v[0:1] op_sel:[0,1]
	s_waitcnt lgkmcnt(0)
	s_barrier
	s_branch .LBB52_16
.LBB52_15:                              ;   in Loop: Header=BB52_16 Depth=2
	s_or_b64 exec, exec, s[28:29]
	s_add_i32 s31, s31, 2
	v_cmp_eq_u32_e64 s[26:27], 8, s31
	v_add_u32_e32 v5, 0x100, v5
	s_or_b64 s[20:21], s[26:27], s[20:21]
	v_add_u32_e32 v4, 0x100, v4
	s_andn2_b64 exec, exec, s[20:21]
	s_cbranch_execz .LBB52_20
.LBB52_16:                              ;   Parent Loop BB52_2 Depth=1
                                        ; =>  This Inner Loop Header: Depth=2
	s_or_b32 s26, s31, 1
	v_cmp_le_u32_e64 s[26:27], s26, 7
	v_cmp_le_u32_e64 s[34:35], s31, 7
	s_and_saveexec_b64 s[28:29], s[34:35]
	s_cbranch_execz .LBB52_18
; %bb.17:                               ;   in Loop: Header=BB52_16 Depth=2
	v_lshlrev_b32_e32 v6, 2, v4
	ds_write_b32 v6, v3
.LBB52_18:                              ;   in Loop: Header=BB52_16 Depth=2
	s_or_b64 exec, exec, s[28:29]
	s_and_saveexec_b64 s[28:29], s[26:27]
	s_cbranch_execz .LBB52_15
; %bb.19:                               ;   in Loop: Header=BB52_16 Depth=2
	v_lshlrev_b32_e32 v6, 2, v5
	ds_write_b32 v6, v3
	s_branch .LBB52_15
.LBB52_20:                              ;   in Loop: Header=BB52_2 Depth=1
	s_or_b64 exec, exec, s[20:21]
	ds_read_u16 v32, v16
	s_waitcnt lgkmcnt(0)
	v_add_u16_e32 v4, 1, v32
	ds_write_b16 v16, v4
	ds_read_u16 v33, v18
	s_waitcnt lgkmcnt(0)
	v_add_u16_e32 v4, 1, v33
	ds_write_b16 v18, v4
	;; [unrolled: 4-line block ×8, first 2 shown]
	s_waitcnt lgkmcnt(0)
	s_barrier
	ds_read2_b32 v[10:11], v12 offset1:1
	ds_read2_b32 v[8:9], v12 offset0:2 offset1:3
	ds_read2_b32 v[6:7], v12 offset0:4 offset1:5
	;; [unrolled: 1-line block ×3, first 2 shown]
	s_waitcnt lgkmcnt(3)
	v_add_u32_e32 v40, v11, v10
	s_waitcnt lgkmcnt(2)
	v_add3_u32 v40, v40, v8, v9
	s_waitcnt lgkmcnt(1)
	v_add3_u32 v40, v40, v6, v7
	;; [unrolled: 2-line block ×3, first 2 shown]
	s_nop 1
	v_mov_b32_dpp v40, v5 row_shr:1 row_mask:0xf bank_mask:0xf
	v_cndmask_b32_e64 v40, v40, 0, s[8:9]
	v_add_u32_e32 v5, v40, v5
	s_nop 1
	v_mov_b32_dpp v40, v5 row_shr:2 row_mask:0xf bank_mask:0xf
	v_cndmask_b32_e64 v40, 0, v40, s[10:11]
	v_add_u32_e32 v5, v5, v40
	s_nop 1
	v_mov_b32_dpp v40, v5 row_shr:4 row_mask:0xf bank_mask:0xf
	v_cndmask_b32_e64 v40, 0, v40, s[12:13]
	v_add_u32_e32 v5, v5, v40
	s_nop 1
	v_mov_b32_dpp v40, v5 row_shr:8 row_mask:0xf bank_mask:0xf
	v_cndmask_b32_e64 v40, 0, v40, s[14:15]
	v_add_u32_e32 v5, v5, v40
	s_nop 1
	v_mov_b32_dpp v40, v5 row_bcast:15 row_mask:0xf bank_mask:0xf
	v_cndmask_b32_e64 v40, v40, 0, s[16:17]
	v_add_u32_e32 v5, v5, v40
	s_nop 1
	v_mov_b32_dpp v40, v5 row_bcast:31 row_mask:0xf bank_mask:0xf
	v_cndmask_b32_e64 v40, 0, v40, s[2:3]
	v_add_u32_e32 v5, v5, v40
	s_and_saveexec_b64 s[20:21], s[4:5]
	s_cbranch_execz .LBB52_22
; %bb.21:                               ;   in Loop: Header=BB52_2 Depth=1
	ds_write_b32 v14, v5 offset:4096
.LBB52_22:                              ;   in Loop: Header=BB52_2 Depth=1
	s_or_b64 exec, exec, s[20:21]
	s_waitcnt lgkmcnt(0)
	s_barrier
	s_and_saveexec_b64 s[20:21], vcc
	s_cbranch_execz .LBB52_24
; %bb.23:                               ;   in Loop: Header=BB52_2 Depth=1
	ds_read_b32 v40, v13 offset:4096
	s_waitcnt lgkmcnt(0)
	s_nop 0
	v_mov_b32_dpp v41, v40 row_shr:1 row_mask:0xf bank_mask:0xf
	v_cndmask_b32_e64 v41, v41, 0, s[18:19]
	v_add_u32_e32 v40, v41, v40
	ds_write_b32 v13, v40 offset:4096
.LBB52_24:                              ;   in Loop: Header=BB52_2 Depth=1
	s_or_b64 exec, exec, s[20:21]
	v_mov_b32_e32 v40, 0
	s_waitcnt lgkmcnt(0)
	s_barrier
	s_and_saveexec_b64 s[20:21], s[0:1]
	s_cbranch_execz .LBB52_1
; %bb.25:                               ;   in Loop: Header=BB52_2 Depth=1
	ds_read_b32 v40, v14 offset:4092
	s_branch .LBB52_1
.LBB52_26:
	ds_read_u16 v0, v28
	ds_read_u16 v1, v22
	;; [unrolled: 1-line block ×8, first 2 shown]
	s_lshl_b64 s[0:1], s[24:25], 2
	s_add_u32 s0, s22, s0
	s_waitcnt lgkmcnt(4)
	v_add_u32_sdwa v4, v4, v32 dst_sel:DWORD dst_unused:UNUSED_PAD src0_sel:DWORD src1_sel:WORD_0
	v_add_u32_sdwa v5, v3, v33 dst_sel:DWORD dst_unused:UNUSED_PAD src0_sel:DWORD src1_sel:WORD_0
	;; [unrolled: 1-line block ×4, first 2 shown]
	s_addc_u32 s1, s23, s1
	v_lshlrev_b32_e32 v0, 2, v2
	s_waitcnt lgkmcnt(0)
	v_add_u32_sdwa v8, v8, v36 dst_sel:DWORD dst_unused:UNUSED_PAD src0_sel:DWORD src1_sel:WORD_0
	v_add_u32_sdwa v9, v9, v37 dst_sel:DWORD dst_unused:UNUSED_PAD src0_sel:DWORD src1_sel:WORD_0
	;; [unrolled: 1-line block ×4, first 2 shown]
	global_store_dwordx4 v0, v[4:7], s[0:1]
	global_store_dwordx4 v0, v[8:11], s[0:1] offset:16
	s_endpgm
	.section	.rodata,"a",@progbits
	.p2align	6, 0x0
	.amdhsa_kernel _Z11rank_kernelIhLj4ELb0EL18RadixRankAlgorithm1ELj128ELj8ELj10EEvPKT_Pi
		.amdhsa_group_segment_fixed_size 4104
		.amdhsa_private_segment_fixed_size 0
		.amdhsa_kernarg_size 16
		.amdhsa_user_sgpr_count 6
		.amdhsa_user_sgpr_private_segment_buffer 1
		.amdhsa_user_sgpr_dispatch_ptr 0
		.amdhsa_user_sgpr_queue_ptr 0
		.amdhsa_user_sgpr_kernarg_segment_ptr 1
		.amdhsa_user_sgpr_dispatch_id 0
		.amdhsa_user_sgpr_flat_scratch_init 0
		.amdhsa_user_sgpr_kernarg_preload_length 0
		.amdhsa_user_sgpr_kernarg_preload_offset 0
		.amdhsa_user_sgpr_private_segment_size 0
		.amdhsa_uses_dynamic_stack 0
		.amdhsa_system_sgpr_private_segment_wavefront_offset 0
		.amdhsa_system_sgpr_workgroup_id_x 1
		.amdhsa_system_sgpr_workgroup_id_y 0
		.amdhsa_system_sgpr_workgroup_id_z 0
		.amdhsa_system_sgpr_workgroup_info 0
		.amdhsa_system_vgpr_workitem_id 0
		.amdhsa_next_free_vgpr 42
		.amdhsa_next_free_sgpr 36
		.amdhsa_accum_offset 44
		.amdhsa_reserve_vcc 1
		.amdhsa_reserve_flat_scratch 0
		.amdhsa_float_round_mode_32 0
		.amdhsa_float_round_mode_16_64 0
		.amdhsa_float_denorm_mode_32 3
		.amdhsa_float_denorm_mode_16_64 3
		.amdhsa_dx10_clamp 1
		.amdhsa_ieee_mode 1
		.amdhsa_fp16_overflow 0
		.amdhsa_tg_split 0
		.amdhsa_exception_fp_ieee_invalid_op 0
		.amdhsa_exception_fp_denorm_src 0
		.amdhsa_exception_fp_ieee_div_zero 0
		.amdhsa_exception_fp_ieee_overflow 0
		.amdhsa_exception_fp_ieee_underflow 0
		.amdhsa_exception_fp_ieee_inexact 0
		.amdhsa_exception_int_div_zero 0
	.end_amdhsa_kernel
	.section	.text._Z11rank_kernelIhLj4ELb0EL18RadixRankAlgorithm1ELj128ELj8ELj10EEvPKT_Pi,"axG",@progbits,_Z11rank_kernelIhLj4ELb0EL18RadixRankAlgorithm1ELj128ELj8ELj10EEvPKT_Pi,comdat
.Lfunc_end52:
	.size	_Z11rank_kernelIhLj4ELb0EL18RadixRankAlgorithm1ELj128ELj8ELj10EEvPKT_Pi, .Lfunc_end52-_Z11rank_kernelIhLj4ELb0EL18RadixRankAlgorithm1ELj128ELj8ELj10EEvPKT_Pi
                                        ; -- End function
	.section	.AMDGPU.csdata,"",@progbits
; Kernel info:
; codeLenInByte = 2440
; NumSgprs: 40
; NumVgprs: 42
; NumAgprs: 0
; TotalNumVgprs: 42
; ScratchSize: 0
; MemoryBound: 0
; FloatMode: 240
; IeeeMode: 1
; LDSByteSize: 4104 bytes/workgroup (compile time only)
; SGPRBlocks: 4
; VGPRBlocks: 5
; NumSGPRsForWavesPerEU: 40
; NumVGPRsForWavesPerEU: 42
; AccumOffset: 44
; Occupancy: 8
; WaveLimiterHint : 0
; COMPUTE_PGM_RSRC2:SCRATCH_EN: 0
; COMPUTE_PGM_RSRC2:USER_SGPR: 6
; COMPUTE_PGM_RSRC2:TRAP_HANDLER: 0
; COMPUTE_PGM_RSRC2:TGID_X_EN: 1
; COMPUTE_PGM_RSRC2:TGID_Y_EN: 0
; COMPUTE_PGM_RSRC2:TGID_Z_EN: 0
; COMPUTE_PGM_RSRC2:TIDIG_COMP_CNT: 0
; COMPUTE_PGM_RSRC3_GFX90A:ACCUM_OFFSET: 10
; COMPUTE_PGM_RSRC3_GFX90A:TG_SPLIT: 0
	.section	.text._Z11rank_kernelIhLj4ELb0EL18RadixRankAlgorithm2ELj128ELj8ELj10EEvPKT_Pi,"axG",@progbits,_Z11rank_kernelIhLj4ELb0EL18RadixRankAlgorithm2ELj128ELj8ELj10EEvPKT_Pi,comdat
	.protected	_Z11rank_kernelIhLj4ELb0EL18RadixRankAlgorithm2ELj128ELj8ELj10EEvPKT_Pi ; -- Begin function _Z11rank_kernelIhLj4ELb0EL18RadixRankAlgorithm2ELj128ELj8ELj10EEvPKT_Pi
	.globl	_Z11rank_kernelIhLj4ELb0EL18RadixRankAlgorithm2ELj128ELj8ELj10EEvPKT_Pi
	.p2align	8
	.type	_Z11rank_kernelIhLj4ELb0EL18RadixRankAlgorithm2ELj128ELj8ELj10EEvPKT_Pi,@function
_Z11rank_kernelIhLj4ELb0EL18RadixRankAlgorithm2ELj128ELj8ELj10EEvPKT_Pi: ; @_Z11rank_kernelIhLj4ELb0EL18RadixRankAlgorithm2ELj128ELj8ELj10EEvPKT_Pi
; %bb.0:
	s_load_dwordx4 s[8:11], s[4:5], 0x0
	s_load_dword s2, s[4:5], 0x1c
	s_lshl_b32 s6, s6, 10
	v_and_b32_e32 v100, 0x3ff, v0
                                        ; implicit-def: $vgpr172 : SGPR spill to VGPR lane
	v_lshlrev_b32_e32 v2, 3, v100
	s_waitcnt lgkmcnt(0)
	s_add_u32 s0, s8, s6
	v_writelane_b32 v172, s8, 0
	s_addc_u32 s1, s9, 0
	global_load_dwordx2 v[6:7], v2, s[0:1]
	v_bfe_u32 v3, v0, 10, 10
	v_bfe_u32 v0, v0, 20, 10
	s_lshr_b32 s0, s2, 16
	v_writelane_b32 v172, s9, 1
	s_and_b32 s1, s2, 0xffff
	v_mad_u32_u24 v0, v0, s0, v3
	v_writelane_b32 v172, s10, 2
	v_mov_b32_e32 v4, 0
	v_mad_u64_u32 v[90:91], s[0:1], v0, s1, v[100:101]
	v_writelane_b32 v172, s11, 3
	v_mbcnt_lo_u32_b32 v1, -1, 0
	v_mbcnt_hi_u32_b32 v85, -1, v1
	v_mov_b32_e32 v8, 30
	v_mov_b32_e32 v10, 29
	;; [unrolled: 1-line block ×3, first 2 shown]
	s_mov_b32 s7, 0
	v_and_b32_e32 v168, 15, v85
	v_and_b32_e32 v169, 16, v85
	v_or_b32_e32 v170, 63, v100
	v_and_b32_e32 v171, 1, v85
	v_lshlrev_b32_e32 v134, 2, v100
	v_cmp_eq_u32_e64 s[94:95], v170, v100
	v_cmp_lt_u32_e64 s[2:3], 63, v100
	v_cmp_eq_u32_e64 s[4:5], 0, v168
	v_cmp_lt_u32_e64 s[8:9], 3, v168
	v_cmp_lt_u32_e64 s[10:11], 7, v168
	v_cmp_eq_u32_e64 s[12:13], 0, v169
	v_cmp_lt_u32_e64 s[14:15], 31, v85
	v_cmp_eq_u32_e64 s[54:55], 0, v85
	v_cmp_eq_u32_e64 s[16:17], 0, v171
	s_mov_b32 s33, 10
	s_waitcnt vmcnt(0)
	v_lshlrev_b32_e32 v5, 30, v6
	v_and_b32_e32 v87, 1, v6
	v_cmp_gt_i64_e64 s[0:1], 0, v[4:5]
	v_bfe_u32 v1, v6, 8, 1
	v_writelane_b32 v172, s0, 4
	v_add_co_u32_e32 v99, vcc, -1, v87
	v_bfe_u32 v3, v6, 16, 1
	v_writelane_b32 v172, s1, 5
	v_addc_co_u32_e64 v102, s[0:1], 0, -1, vcc
	v_add_co_u32_e32 v103, vcc, -1, v1
	v_bfe_u32 v9, v6, 24, 1
	v_addc_co_u32_e64 v104, s[0:1], 0, -1, vcc
	v_add_co_u32_e32 v105, vcc, -1, v3
	v_and_b32_e32 v91, 1, v7
	v_addc_co_u32_e64 v106, s[0:1], 0, -1, vcc
	v_add_co_u32_e32 v107, vcc, -1, v9
	v_bfe_u32 v11, v7, 8, 1
	v_addc_co_u32_e64 v108, s[0:1], 0, -1, vcc
	v_add_co_u32_e32 v109, vcc, -1, v91
	v_addc_co_u32_e64 v110, s[0:1], 0, -1, vcc
	v_add_co_u32_e32 v111, vcc, -1, v11
	v_not_b32_e32 v0, v5
	v_lshlrev_b32_e32 v5, 29, v6
	v_addc_co_u32_e64 v112, s[0:1], 0, -1, vcc
	v_cmp_gt_i64_e64 s[0:1], 0, v[4:5]
	v_writelane_b32 v172, s0, 6
	v_not_b32_e32 v1, v5
	v_lshlrev_b32_e32 v5, 28, v6
	v_lshrrev_b32_e32 v13, 8, v6
	v_writelane_b32 v172, s1, 7
	v_cmp_gt_i64_e64 s[0:1], 0, v[4:5]
	v_writelane_b32 v172, s0, 8
	v_not_b32_e32 v3, v5
	v_lshlrev_b32_e32 v5, 30, v13
	v_writelane_b32 v172, s1, 9
	v_cmp_gt_i64_e64 s[0:1], 0, v[4:5]
	v_writelane_b32 v172, s0, 10
	v_not_b32_e32 v9, v5
	v_lshlrev_b32_e32 v5, 29, v13
	;; [unrolled: 5-line block ×3, first 2 shown]
	v_writelane_b32 v172, s1, 13
	v_cmp_gt_i64_e64 s[0:1], 0, v[4:5]
	v_writelane_b32 v172, s0, 14
	v_not_b32_e32 v13, v5
	v_lshlrev_b32_sdwa v5, v8, v6 dst_sel:DWORD dst_unused:UNUSED_PAD src0_sel:DWORD src1_sel:WORD_1
	v_writelane_b32 v172, s1, 15
	v_cmp_gt_i64_e64 s[0:1], 0, v[4:5]
	v_writelane_b32 v172, s0, 16
	v_not_b32_e32 v15, v5
	v_lshlrev_b32_sdwa v5, v10, v6 dst_sel:DWORD dst_unused:UNUSED_PAD src0_sel:DWORD src1_sel:WORD_1
	;; [unrolled: 5-line block ×3, first 2 shown]
	v_writelane_b32 v172, s1, 19
	v_cmp_gt_i64_e64 s[0:1], 0, v[4:5]
	v_writelane_b32 v172, s0, 20
	v_not_b32_e32 v19, v5
	v_lshlrev_b32_sdwa v5, v8, v6 dst_sel:DWORD dst_unused:UNUSED_PAD src0_sel:DWORD src1_sel:BYTE_3
	v_writelane_b32 v172, s1, 21
	v_cmp_gt_i64_e64 s[0:1], 0, v[4:5]
	v_writelane_b32 v172, s0, 22
	v_not_b32_e32 v21, v5
	v_lshlrev_b32_sdwa v5, v10, v6 dst_sel:DWORD dst_unused:UNUSED_PAD src0_sel:DWORD src1_sel:BYTE_3
	;; [unrolled: 5-line block ×3, first 2 shown]
	v_writelane_b32 v172, s1, 25
	v_cmp_gt_i64_e64 s[0:1], 0, v[4:5]
	v_writelane_b32 v172, s0, 26
	v_not_b32_e32 v25, v5
	v_lshlrev_b32_e32 v5, 30, v7
	v_writelane_b32 v172, s1, 27
	v_cmp_gt_i64_e64 s[0:1], 0, v[4:5]
	v_writelane_b32 v172, s0, 28
	v_not_b32_e32 v27, v5
	v_lshlrev_b32_e32 v5, 29, v7
	;; [unrolled: 5-line block ×3, first 2 shown]
	v_lshrrev_b32_e32 v14, 8, v7
	v_writelane_b32 v172, s1, 31
	v_cmp_gt_i64_e64 s[0:1], 0, v[4:5]
	v_writelane_b32 v172, s0, 32
	v_not_b32_e32 v31, v5
	v_lshlrev_b32_e32 v5, 30, v14
	v_writelane_b32 v172, s1, 33
	v_cmp_gt_i64_e64 s[0:1], 0, v[4:5]
	v_writelane_b32 v172, s0, 34
	v_not_b32_e32 v33, v5
	v_lshlrev_b32_e32 v5, 29, v14
	;; [unrolled: 5-line block ×3, first 2 shown]
	v_writelane_b32 v172, s1, 37
	v_cmp_gt_i64_e64 s[0:1], 0, v[4:5]
	v_writelane_b32 v172, s0, 38
	v_not_b32_e32 v37, v5
	v_lshlrev_b32_sdwa v5, v8, v7 dst_sel:DWORD dst_unused:UNUSED_PAD src0_sel:DWORD src1_sel:WORD_1
	v_writelane_b32 v172, s1, 39
	v_cmp_gt_i64_e64 s[0:1], 0, v[4:5]
	v_writelane_b32 v172, s0, 40
	v_not_b32_e32 v39, v5
	v_lshlrev_b32_sdwa v5, v10, v7 dst_sel:DWORD dst_unused:UNUSED_PAD src0_sel:DWORD src1_sel:WORD_1
	;; [unrolled: 5-line block ×3, first 2 shown]
	v_writelane_b32 v172, s1, 43
	v_cmp_gt_i64_e64 s[0:1], 0, v[4:5]
	v_writelane_b32 v172, s0, 44
	v_not_b32_e32 v43, v5
	v_lshlrev_b32_sdwa v5, v8, v7 dst_sel:DWORD dst_unused:UNUSED_PAD src0_sel:DWORD src1_sel:BYTE_3
	v_writelane_b32 v172, s1, 45
	v_cmp_gt_i64_e64 s[0:1], 0, v[4:5]
	v_writelane_b32 v172, s0, 46
	v_not_b32_e32 v45, v5
	v_lshlrev_b32_sdwa v5, v10, v7 dst_sel:DWORD dst_unused:UNUSED_PAD src0_sel:DWORD src1_sel:BYTE_3
	;; [unrolled: 5-line block ×3, first 2 shown]
	v_writelane_b32 v172, s1, 49
	v_cmp_gt_i64_e64 s[0:1], 0, v[4:5]
	v_lshrrev_b32_e32 v8, 4, v6
	v_writelane_b32 v172, s0, 50
	v_not_b32_e32 v49, v5
	v_lshlrev_b32_e32 v5, 30, v8
	v_writelane_b32 v172, s1, 51
	v_cmp_gt_i64_e64 s[0:1], 0, v[4:5]
	v_writelane_b32 v172, s0, 52
	v_not_b32_e32 v51, v5
	v_lshlrev_b32_e32 v5, 29, v8
	v_writelane_b32 v172, s1, 53
	v_cmp_gt_i64_e64 s[0:1], 0, v[4:5]
	;; [unrolled: 5-line block ×3, first 2 shown]
	v_lshrrev_b32_e32 v8, 12, v6
	v_writelane_b32 v172, s0, 56
	v_not_b32_e32 v55, v5
	v_lshlrev_b32_e32 v5, 30, v8
	v_writelane_b32 v172, s1, 57
	v_cmp_gt_i64_e64 s[0:1], 0, v[4:5]
	v_writelane_b32 v172, s0, 58
	v_not_b32_e32 v57, v5
	v_lshlrev_b32_e32 v5, 29, v8
	v_writelane_b32 v172, s1, 59
	v_cmp_gt_i64_e64 s[0:1], 0, v[4:5]
	v_not_b32_e32 v59, v5
	v_lshlrev_b32_e32 v5, 28, v8
	v_lshrrev_b32_e32 v8, 20, v6
	v_cmp_gt_i64_e64 s[58:59], 0, v[4:5]
	v_not_b32_e32 v61, v5
	v_lshlrev_b32_e32 v5, 30, v8
	v_cmp_gt_i64_e64 s[60:61], 0, v[4:5]
	v_not_b32_e32 v63, v5
	v_lshlrev_b32_e32 v5, 29, v8
	;; [unrolled: 3-line block ×3, first 2 shown]
	v_lshrrev_b32_e32 v69, 28, v6
	v_cmp_gt_i64_e64 s[64:65], 0, v[4:5]
	v_not_b32_e32 v67, v5
	v_lshlrev_b32_e32 v5, 30, v69
	v_cmp_gt_i64_e64 s[66:67], 0, v[4:5]
	v_not_b32_e32 v70, v5
	v_lshlrev_b32_e32 v5, 29, v69
	v_cmp_gt_i64_e64 s[68:69], 0, v[4:5]
	v_not_b32_e32 v71, v5
	v_and_b32_e32 v5, 0xf0000000, v6
	v_lshrrev_b32_e32 v8, 4, v7
	v_bfe_u32 v14, v7, 16, 1
	v_cmp_gt_i64_e64 s[70:71], 0, v[4:5]
	v_not_b32_e32 v73, v5
	v_lshlrev_b32_e32 v5, 30, v8
	v_writelane_b32 v172, s0, 60
	v_add_co_u32_e32 v113, vcc, -1, v14
	v_cmp_gt_i64_e64 s[72:73], 0, v[4:5]
	v_not_b32_e32 v75, v5
	v_lshlrev_b32_e32 v5, 29, v8
	v_bfe_u32 v12, v7, 24, 1
	v_writelane_b32 v172, s1, 61
	v_addc_co_u32_e64 v114, s[0:1], 0, -1, vcc
	v_add_u32_e32 v10, -1, v85
	v_cmp_gt_i64_e64 s[74:75], 0, v[4:5]
	v_not_b32_e32 v77, v5
	v_lshlrev_b32_e32 v5, 28, v8
	v_and_b32_e32 v8, 64, v85
	v_add_co_u32_e32 v115, vcc, -1, v12
	v_addc_co_u32_e64 v116, s[0:1], 0, -1, vcc
	v_cmp_lt_i32_e32 vcc, v10, v8
	v_bfe_u32 v8, v6, 4, 1
	v_cndmask_b32_e32 v79, v10, v85, vcc
	v_add_co_u32_e32 v117, vcc, -1, v8
	v_bfe_u32 v8, v6, 12, 1
	v_addc_co_u32_e64 v118, s[0:1], 0, -1, vcc
	v_add_co_u32_e32 v119, vcc, -1, v8
	v_bfe_u32 v8, v6, 20, 1
	v_addc_co_u32_e64 v120, s[0:1], 0, -1, vcc
	;; [unrolled: 3-line block ×7, first 2 shown]
	v_add_co_u32_e32 v131, vcc, -1, v8
	v_lshrrev_b32_e32 v8, 12, v7
	v_cmp_gt_i64_e64 s[76:77], 0, v[4:5]
	v_not_b32_e32 v80, v5
	v_lshlrev_b32_e32 v5, 30, v8
	v_not_b32_e32 v81, v5
	v_cmp_gt_i64_e64 s[78:79], 0, v[4:5]
	v_lshlrev_b32_e32 v5, 29, v8
	v_not_b32_e32 v83, v5
	v_cmp_gt_i64_e64 s[80:81], 0, v[4:5]
	v_lshlrev_b32_e32 v5, 28, v8
	v_lshrrev_b32_e32 v8, 20, v7
	v_not_b32_e32 v86, v5
	v_cmp_gt_i64_e64 s[82:83], 0, v[4:5]
	v_lshlrev_b32_e32 v5, 30, v8
	v_not_b32_e32 v88, v5
	v_cmp_gt_i64_e64 s[84:85], 0, v[4:5]
	v_lshlrev_b32_e32 v5, 29, v8
	v_and_b32_e32 v92, 15, v6
	v_bfe_u32 v93, v6, 8, 4
	v_bfe_u32 v94, v6, 16, 4
	;; [unrolled: 1-line block ×6, first 2 shown]
	v_and_b32_e32 v155, 0x100, v6
	v_and_b32_e32 v156, 0x10000, v6
	;; [unrolled: 1-line block ×7, first 2 shown]
	v_lshrrev_b32_e32 v6, 4, v100
	v_not_b32_e32 v89, v5
	v_cmp_gt_i64_e64 s[86:87], 0, v[4:5]
	v_lshlrev_b32_e32 v5, 28, v8
	v_and_b32_e32 v133, 4, v6
	v_ashrrev_i32_e32 v6, 31, v1
	v_ashrrev_i32_e32 v8, 31, v3
	v_lshrrev_b32_e32 v1, 6, v90
	v_mul_u32_u24_e32 v3, 3, v92
	v_add_lshl_u32 v136, v1, v3, 2
	v_mul_u32_u24_e32 v3, 3, v93
	v_add_lshl_u32 v137, v1, v3, 2
	v_mul_u32_u24_e32 v3, 3, v94
	v_and_b32_e32 v96, 15, v7
	v_add_lshl_u32 v138, v1, v3, 2
	v_mul_u32_u24_e32 v3, 3, v95
	v_bfe_u32 v97, v7, 8, 4
	v_add_lshl_u32 v139, v1, v3, 2
	v_mul_u32_u24_e32 v3, 3, v96
	v_bfe_u32 v98, v7, 16, 4
	;; [unrolled: 3-line block ×3, first 2 shown]
	v_add_lshl_u32 v142, v1, v3, 2
	v_mul_u32_u24_e32 v3, 3, v98
	v_add_lshl_u32 v144, v1, v3, 2
	v_mul_u32_u24_e32 v3, 3, v101
	;; [unrolled: 2-line block ×5, first 2 shown]
	v_bfe_u32 v148, v7, 4, 4
	v_add_lshl_u32 v145, v1, v3, 2
	v_mul_u32_u24_e32 v3, 3, v69
	v_bfe_u32 v149, v7, 12, 4
	v_lshrrev_b32_e32 v151, 28, v7
	v_add_lshl_u32 v147, v1, v3, 2
	v_mul_u32_u24_e32 v3, 3, v148
	v_bfe_u32 v150, v7, 20, 4
	v_not_b32_e32 v152, v5
	v_cmp_gt_i64_e64 s[88:89], 0, v[4:5]
	v_lshlrev_b32_e32 v5, 30, v151
	v_add_lshl_u32 v148, v1, v3, 2
	v_mul_u32_u24_e32 v3, 3, v149
	v_not_b32_e32 v153, v5
	v_cmp_gt_i64_e64 s[90:91], 0, v[4:5]
	v_lshlrev_b32_e32 v5, 29, v151
	v_add_lshl_u32 v149, v1, v3, 2
	v_mul_u32_u24_e32 v3, 3, v150
	v_not_b32_e32 v154, v5
	v_add_lshl_u32 v150, v1, v3, 2
	v_mul_u32_u24_e32 v3, 3, v151
	v_cmp_gt_i64_e64 s[92:93], 0, v[4:5]
	v_and_b32_e32 v5, 0xf0000000, v7
	v_add_lshl_u32 v151, v1, v3, 2
	v_not_b32_e32 v1, v5
	v_addc_co_u32_e64 v132, s[0:1], 0, -1, vcc
	v_and_b32_e32 v158, 0x100, v7
	v_and_b32_e32 v159, 0x10000, v7
	;; [unrolled: 1-line block ×6, first 2 shown]
	v_ashrrev_i32_e32 v0, 31, v0
	v_ashrrev_i32_e32 v10, 31, v9
	;; [unrolled: 1-line block ×45, first 2 shown]
	v_and_b32_e32 v101, 0x10000000, v7
	v_writelane_b32 v172, s6, 62
	v_ashrrev_i32_e32 v98, 31, v1
	v_add_u32_e32 v135, -4, v133
	v_writelane_b32 v172, s7, 63
	v_lshlrev_b32_e32 v152, 2, v79
	v_mov_b32_e32 v1, v0
	v_mov_b32_e32 v3, v6
	;; [unrolled: 1-line block ×39, first 2 shown]
	v_cmp_gt_u32_e64 s[0:1], 2, v100
	v_mov_b32_e32 v81, v82
	v_cmp_lt_u32_e64 s[6:7], 1, v168
	v_mov_b32_e32 v83, v84
	v_mov_b32_e32 v85, v86
	v_cmp_eq_u32_e64 s[18:19], 1, v87
	v_cmp_ne_u32_e64 s[20:21], 0, v155
	v_mov_b32_e32 v87, v88
	v_cmp_ne_u32_e64 s[22:23], 0, v156
	v_cmp_ne_u32_e64 s[24:25], 0, v157
	v_mov_b32_e32 v89, v90
	v_cmp_eq_u32_e64 s[26:27], 1, v91
	v_cmp_ne_u32_e64 s[28:29], 0, v158
	v_mov_b32_e32 v91, v92
	v_cmp_ne_u32_e64 s[30:31], 0, v159
	v_cmp_ne_u32_e64 s[34:35], 0, v160
	v_mov_b32_e32 v93, v94
	v_cmp_ne_u32_e64 s[36:37], 0, v161
	;; [unrolled: 3-line block ×4, first 2 shown]
	v_cmp_ne_u32_e64 s[46:47], 0, v166
	v_cmp_ne_u32_e64 s[48:49], 0, v167
	v_cmp_ne_u32_e64 s[50:51], 0, v101
	v_cmp_gt_i64_e64 s[52:53], 0, v[4:5]
	s_branch .LBB53_2
.LBB53_1:                               ;   in Loop: Header=BB53_2 Depth=1
	s_or_b64 exec, exec, s[56:57]
	s_waitcnt lgkmcnt(0)
	v_add_u32_e32 v100, v101, v100
	ds_bpermute_b32 v100, v152, v100
	s_add_i32 s33, s33, -1
	s_cmp_eq_u32 s33, 0
	s_waitcnt lgkmcnt(0)
	v_cndmask_b32_e64 v100, v100, v101, s[54:55]
	ds_write_b32 v134, v100 offset:8
	s_waitcnt lgkmcnt(0)
	s_barrier
	s_cbranch_scc1 .LBB53_46
.LBB53_2:                               ; =>This Inner Loop Header: Depth=1
	v_readlane_b32 s56, v172, 4
	v_cndmask_b32_e64 v5, 0, 1, s[18:19]
	v_readlane_b32 s57, v172, 5
	v_cmp_ne_u32_e32 vcc, 0, v5
	v_cndmask_b32_e64 v101, 0, 1, s[56:57]
	v_xor_b32_e32 v5, vcc_hi, v102
	v_xor_b32_e32 v100, vcc_lo, v99
	v_cmp_ne_u32_e32 vcc, 0, v101
	v_readlane_b32 s56, v172, 6
	v_and_b32_e32 v5, exec_hi, v5
	v_xor_b32_e32 v101, vcc_hi, v1
	v_readlane_b32 s57, v172, 7
	v_and_b32_e32 v5, v5, v101
	v_cndmask_b32_e64 v101, 0, 1, s[56:57]
	v_xor_b32_e32 v153, vcc_lo, v0
	v_cmp_ne_u32_e32 vcc, 0, v101
	v_readlane_b32 s56, v172, 8
	v_xor_b32_e32 v101, vcc_hi, v3
	v_readlane_b32 s57, v172, 9
	v_and_b32_e32 v100, exec_lo, v100
	v_and_b32_e32 v5, v5, v101
	v_cndmask_b32_e64 v101, 0, 1, s[56:57]
	v_and_b32_e32 v100, v100, v153
	v_xor_b32_e32 v153, vcc_lo, v6
	v_cmp_ne_u32_e32 vcc, 0, v101
	v_and_b32_e32 v100, v100, v153
	v_xor_b32_e32 v153, vcc_lo, v8
	v_xor_b32_e32 v101, vcc_hi, v7
	v_and_b32_e32 v100, v100, v153
	v_and_b32_e32 v101, v5, v101
	v_mbcnt_lo_u32_b32 v5, v100, 0
	v_mbcnt_hi_u32_b32 v5, v101, v5
	v_cmp_eq_u32_e64 s[56:57], 0, v5
	v_cmp_ne_u64_e32 vcc, 0, v[100:101]
	s_and_b64 vcc, vcc, s[56:57]
	ds_write_b32 v134, v4 offset:8
	s_waitcnt lgkmcnt(0)
	s_barrier
	s_waitcnt lgkmcnt(0)
	; wave barrier
	s_and_saveexec_b64 s[56:57], vcc
	s_cbranch_execz .LBB53_4
; %bb.3:                                ;   in Loop: Header=BB53_2 Depth=1
	v_bcnt_u32_b32 v5, v100, 0
	v_bcnt_u32_b32 v5, v101, v5
	ds_write_b32 v136, v5 offset:8
.LBB53_4:                               ;   in Loop: Header=BB53_2 Depth=1
	s_or_b64 exec, exec, s[56:57]
	v_readlane_b32 s56, v172, 10
	v_cndmask_b32_e64 v100, 0, 1, s[20:21]
	v_readlane_b32 s57, v172, 11
	v_cmp_ne_u32_e32 vcc, 0, v100
	v_cndmask_b32_e64 v153, 0, 1, s[56:57]
	v_xor_b32_e32 v100, vcc_hi, v104
	v_xor_b32_e32 v101, vcc_lo, v103
	v_cmp_ne_u32_e32 vcc, 0, v153
	v_readlane_b32 s56, v172, 12
	v_and_b32_e32 v100, exec_hi, v100
	v_xor_b32_e32 v153, vcc_hi, v9
	v_readlane_b32 s57, v172, 13
	v_and_b32_e32 v100, v100, v153
	v_cndmask_b32_e64 v153, 0, 1, s[56:57]
	v_and_b32_e32 v101, exec_lo, v101
	v_xor_b32_e32 v154, vcc_lo, v10
	v_cmp_ne_u32_e32 vcc, 0, v153
	v_readlane_b32 s56, v172, 14
	v_and_b32_e32 v101, v101, v154
	v_xor_b32_e32 v153, vcc_hi, v11
	v_xor_b32_e32 v154, vcc_lo, v12
	v_readlane_b32 s57, v172, 15
	v_and_b32_e32 v100, v100, v153
	v_and_b32_e32 v153, v101, v154
	v_cndmask_b32_e64 v101, 0, 1, s[56:57]
	v_cmp_ne_u32_e32 vcc, 0, v101
	v_xor_b32_e32 v101, vcc_hi, v13
	v_xor_b32_e32 v154, vcc_lo, v14
	; wave barrier
	ds_read_b32 v5, v137 offset:8
	v_and_b32_e32 v101, v100, v101
	v_and_b32_e32 v100, v153, v154
	v_mbcnt_lo_u32_b32 v153, v100, 0
	v_mbcnt_hi_u32_b32 v153, v101, v153
	v_cmp_eq_u32_e32 vcc, 0, v153
	v_cmp_ne_u64_e64 s[56:57], 0, v[100:101]
	s_and_b64 vcc, s[56:57], vcc
	; wave barrier
	s_and_saveexec_b64 s[56:57], vcc
	s_cbranch_execz .LBB53_6
; %bb.5:                                ;   in Loop: Header=BB53_2 Depth=1
	v_bcnt_u32_b32 v100, v100, 0
	v_bcnt_u32_b32 v100, v101, v100
	s_waitcnt lgkmcnt(0)
	v_add_u32_e32 v5, v5, v100
	ds_write_b32 v137, v5 offset:8
.LBB53_6:                               ;   in Loop: Header=BB53_2 Depth=1
	s_or_b64 exec, exec, s[56:57]
	v_readlane_b32 s56, v172, 16
	v_cndmask_b32_e64 v100, 0, 1, s[22:23]
	v_readlane_b32 s57, v172, 17
	v_cmp_ne_u32_e32 vcc, 0, v100
	v_cndmask_b32_e64 v153, 0, 1, s[56:57]
	v_xor_b32_e32 v100, vcc_hi, v106
	v_xor_b32_e32 v101, vcc_lo, v105
	v_cmp_ne_u32_e32 vcc, 0, v153
	v_readlane_b32 s56, v172, 18
	v_and_b32_e32 v100, exec_hi, v100
	v_xor_b32_e32 v153, vcc_hi, v15
	v_readlane_b32 s57, v172, 19
	v_and_b32_e32 v100, v100, v153
	v_cndmask_b32_e64 v153, 0, 1, s[56:57]
	v_and_b32_e32 v101, exec_lo, v101
	v_xor_b32_e32 v154, vcc_lo, v16
	v_cmp_ne_u32_e32 vcc, 0, v153
	v_readlane_b32 s56, v172, 20
	v_and_b32_e32 v101, v101, v154
	v_xor_b32_e32 v153, vcc_hi, v17
	v_xor_b32_e32 v154, vcc_lo, v18
	v_readlane_b32 s57, v172, 21
	v_and_b32_e32 v100, v100, v153
	v_and_b32_e32 v153, v101, v154
	v_cndmask_b32_e64 v101, 0, 1, s[56:57]
	v_cmp_ne_u32_e32 vcc, 0, v101
	v_xor_b32_e32 v101, vcc_hi, v19
	v_xor_b32_e32 v154, vcc_lo, v20
	; wave barrier
	s_waitcnt lgkmcnt(0)
	ds_read_b32 v5, v138 offset:8
	v_and_b32_e32 v101, v100, v101
	v_and_b32_e32 v100, v153, v154
	v_mbcnt_lo_u32_b32 v153, v100, 0
	v_mbcnt_hi_u32_b32 v153, v101, v153
	v_cmp_eq_u32_e32 vcc, 0, v153
	v_cmp_ne_u64_e64 s[56:57], 0, v[100:101]
	s_and_b64 vcc, s[56:57], vcc
	; wave barrier
	s_and_saveexec_b64 s[56:57], vcc
	s_cbranch_execz .LBB53_8
; %bb.7:                                ;   in Loop: Header=BB53_2 Depth=1
	v_bcnt_u32_b32 v100, v100, 0
	v_bcnt_u32_b32 v100, v101, v100
	s_waitcnt lgkmcnt(0)
	v_add_u32_e32 v5, v5, v100
	ds_write_b32 v138, v5 offset:8
.LBB53_8:                               ;   in Loop: Header=BB53_2 Depth=1
	s_or_b64 exec, exec, s[56:57]
	v_readlane_b32 s56, v172, 22
	v_cndmask_b32_e64 v100, 0, 1, s[24:25]
	v_readlane_b32 s57, v172, 23
	v_cmp_ne_u32_e32 vcc, 0, v100
	v_cndmask_b32_e64 v153, 0, 1, s[56:57]
	v_xor_b32_e32 v100, vcc_hi, v108
	v_xor_b32_e32 v101, vcc_lo, v107
	v_cmp_ne_u32_e32 vcc, 0, v153
	v_readlane_b32 s56, v172, 24
	v_and_b32_e32 v100, exec_hi, v100
	v_xor_b32_e32 v153, vcc_hi, v21
	v_readlane_b32 s57, v172, 25
	v_and_b32_e32 v100, v100, v153
	v_cndmask_b32_e64 v153, 0, 1, s[56:57]
	v_and_b32_e32 v101, exec_lo, v101
	v_xor_b32_e32 v154, vcc_lo, v22
	v_cmp_ne_u32_e32 vcc, 0, v153
	v_readlane_b32 s56, v172, 26
	v_and_b32_e32 v101, v101, v154
	v_xor_b32_e32 v153, vcc_hi, v23
	v_xor_b32_e32 v154, vcc_lo, v24
	v_readlane_b32 s57, v172, 27
	v_and_b32_e32 v100, v100, v153
	v_and_b32_e32 v153, v101, v154
	v_cndmask_b32_e64 v101, 0, 1, s[56:57]
	v_cmp_ne_u32_e32 vcc, 0, v101
	v_xor_b32_e32 v101, vcc_hi, v25
	v_xor_b32_e32 v154, vcc_lo, v26
	; wave barrier
	s_waitcnt lgkmcnt(0)
	ds_read_b32 v5, v139 offset:8
	v_and_b32_e32 v101, v100, v101
	v_and_b32_e32 v100, v153, v154
	v_mbcnt_lo_u32_b32 v153, v100, 0
	v_mbcnt_hi_u32_b32 v153, v101, v153
	v_cmp_eq_u32_e32 vcc, 0, v153
	v_cmp_ne_u64_e64 s[56:57], 0, v[100:101]
	s_and_b64 vcc, s[56:57], vcc
	; wave barrier
	s_and_saveexec_b64 s[56:57], vcc
	s_cbranch_execz .LBB53_10
; %bb.9:                                ;   in Loop: Header=BB53_2 Depth=1
	v_bcnt_u32_b32 v100, v100, 0
	v_bcnt_u32_b32 v100, v101, v100
	s_waitcnt lgkmcnt(0)
	v_add_u32_e32 v5, v5, v100
	ds_write_b32 v139, v5 offset:8
.LBB53_10:                              ;   in Loop: Header=BB53_2 Depth=1
	s_or_b64 exec, exec, s[56:57]
	v_readlane_b32 s56, v172, 28
	v_cndmask_b32_e64 v100, 0, 1, s[26:27]
	v_readlane_b32 s57, v172, 29
	v_cmp_ne_u32_e32 vcc, 0, v100
	v_cndmask_b32_e64 v153, 0, 1, s[56:57]
	v_xor_b32_e32 v100, vcc_hi, v110
	v_xor_b32_e32 v101, vcc_lo, v109
	v_cmp_ne_u32_e32 vcc, 0, v153
	v_readlane_b32 s56, v172, 30
	v_and_b32_e32 v100, exec_hi, v100
	v_xor_b32_e32 v153, vcc_hi, v27
	v_readlane_b32 s57, v172, 31
	v_and_b32_e32 v100, v100, v153
	v_cndmask_b32_e64 v153, 0, 1, s[56:57]
	v_and_b32_e32 v101, exec_lo, v101
	v_xor_b32_e32 v154, vcc_lo, v28
	v_cmp_ne_u32_e32 vcc, 0, v153
	v_readlane_b32 s56, v172, 32
	v_and_b32_e32 v101, v101, v154
	v_xor_b32_e32 v153, vcc_hi, v29
	v_xor_b32_e32 v154, vcc_lo, v30
	v_readlane_b32 s57, v172, 33
	v_and_b32_e32 v100, v100, v153
	v_and_b32_e32 v153, v101, v154
	v_cndmask_b32_e64 v101, 0, 1, s[56:57]
	v_cmp_ne_u32_e32 vcc, 0, v101
	v_xor_b32_e32 v101, vcc_hi, v31
	v_xor_b32_e32 v154, vcc_lo, v32
	; wave barrier
	s_waitcnt lgkmcnt(0)
	ds_read_b32 v5, v141 offset:8
	v_and_b32_e32 v101, v100, v101
	v_and_b32_e32 v100, v153, v154
	v_mbcnt_lo_u32_b32 v153, v100, 0
	v_mbcnt_hi_u32_b32 v153, v101, v153
	v_cmp_eq_u32_e32 vcc, 0, v153
	v_cmp_ne_u64_e64 s[56:57], 0, v[100:101]
	s_and_b64 vcc, s[56:57], vcc
	; wave barrier
	s_and_saveexec_b64 s[56:57], vcc
	s_cbranch_execz .LBB53_12
; %bb.11:                               ;   in Loop: Header=BB53_2 Depth=1
	v_bcnt_u32_b32 v100, v100, 0
	v_bcnt_u32_b32 v100, v101, v100
	s_waitcnt lgkmcnt(0)
	v_add_u32_e32 v5, v5, v100
	ds_write_b32 v141, v5 offset:8
.LBB53_12:                              ;   in Loop: Header=BB53_2 Depth=1
	s_or_b64 exec, exec, s[56:57]
	v_readlane_b32 s56, v172, 34
	v_cndmask_b32_e64 v100, 0, 1, s[28:29]
	v_readlane_b32 s57, v172, 35
	v_cmp_ne_u32_e32 vcc, 0, v100
	v_cndmask_b32_e64 v153, 0, 1, s[56:57]
	v_xor_b32_e32 v100, vcc_hi, v112
	v_xor_b32_e32 v101, vcc_lo, v111
	v_cmp_ne_u32_e32 vcc, 0, v153
	v_readlane_b32 s56, v172, 36
	v_and_b32_e32 v100, exec_hi, v100
	v_xor_b32_e32 v153, vcc_hi, v33
	v_readlane_b32 s57, v172, 37
	v_and_b32_e32 v100, v100, v153
	v_cndmask_b32_e64 v153, 0, 1, s[56:57]
	v_and_b32_e32 v101, exec_lo, v101
	v_xor_b32_e32 v154, vcc_lo, v34
	v_cmp_ne_u32_e32 vcc, 0, v153
	v_readlane_b32 s56, v172, 38
	v_and_b32_e32 v101, v101, v154
	v_xor_b32_e32 v153, vcc_hi, v35
	v_xor_b32_e32 v154, vcc_lo, v36
	v_readlane_b32 s57, v172, 39
	v_and_b32_e32 v100, v100, v153
	v_and_b32_e32 v153, v101, v154
	v_cndmask_b32_e64 v101, 0, 1, s[56:57]
	v_cmp_ne_u32_e32 vcc, 0, v101
	v_xor_b32_e32 v101, vcc_hi, v37
	v_xor_b32_e32 v154, vcc_lo, v38
	; wave barrier
	s_waitcnt lgkmcnt(0)
	ds_read_b32 v5, v142 offset:8
	v_and_b32_e32 v101, v100, v101
	v_and_b32_e32 v100, v153, v154
	v_mbcnt_lo_u32_b32 v153, v100, 0
	v_mbcnt_hi_u32_b32 v153, v101, v153
	v_cmp_eq_u32_e32 vcc, 0, v153
	v_cmp_ne_u64_e64 s[56:57], 0, v[100:101]
	s_and_b64 vcc, s[56:57], vcc
	; wave barrier
	s_and_saveexec_b64 s[56:57], vcc
	s_cbranch_execz .LBB53_14
; %bb.13:                               ;   in Loop: Header=BB53_2 Depth=1
	v_bcnt_u32_b32 v100, v100, 0
	v_bcnt_u32_b32 v100, v101, v100
	s_waitcnt lgkmcnt(0)
	v_add_u32_e32 v5, v5, v100
	ds_write_b32 v142, v5 offset:8
.LBB53_14:                              ;   in Loop: Header=BB53_2 Depth=1
	;; [unrolled: 49-line block ×4, first 2 shown]
	s_or_b64 exec, exec, s[56:57]
	; wave barrier
	s_waitcnt lgkmcnt(0)
	s_barrier
	ds_read_b32 v5, v134 offset:8
	s_waitcnt lgkmcnt(0)
	s_nop 0
	v_mov_b32_dpp v100, v5 row_shr:1 row_mask:0xf bank_mask:0xf
	v_cndmask_b32_e64 v100, v100, 0, s[4:5]
	v_add_u32_e32 v5, v100, v5
	s_nop 1
	v_mov_b32_dpp v100, v5 row_shr:2 row_mask:0xf bank_mask:0xf
	v_cndmask_b32_e64 v100, 0, v100, s[6:7]
	v_add_u32_e32 v5, v5, v100
	;; [unrolled: 4-line block ×4, first 2 shown]
	s_nop 1
	v_mov_b32_dpp v100, v5 row_bcast:15 row_mask:0xf bank_mask:0xf
	v_cndmask_b32_e64 v100, v100, 0, s[12:13]
	v_add_u32_e32 v5, v5, v100
	s_nop 1
	v_mov_b32_dpp v100, v5 row_bcast:31 row_mask:0xf bank_mask:0xf
	v_cndmask_b32_e64 v100, 0, v100, s[14:15]
	v_add_u32_e32 v5, v5, v100
	s_and_saveexec_b64 s[56:57], s[94:95]
	s_xor_b64 s[56:57], exec, s[56:57]
	s_cbranch_execz .LBB53_20
; %bb.19:                               ;   in Loop: Header=BB53_2 Depth=1
	ds_write_b32 v133, v5
.LBB53_20:                              ;   in Loop: Header=BB53_2 Depth=1
	s_or_b64 exec, exec, s[56:57]
	s_waitcnt lgkmcnt(0)
	s_barrier
	s_and_saveexec_b64 s[56:57], s[0:1]
	s_cbranch_execz .LBB53_22
; %bb.21:                               ;   in Loop: Header=BB53_2 Depth=1
	ds_read_b32 v100, v134
	s_waitcnt lgkmcnt(0)
	s_nop 0
	v_mov_b32_dpp v101, v100 row_shr:1 row_mask:0xf bank_mask:0xf
	v_cndmask_b32_e64 v101, v101, 0, s[16:17]
	v_add_u32_e32 v100, v101, v100
	ds_write_b32 v134, v100
.LBB53_22:                              ;   in Loop: Header=BB53_2 Depth=1
	s_or_b64 exec, exec, s[56:57]
	v_mov_b32_e32 v100, 0
	s_waitcnt lgkmcnt(0)
	s_barrier
	s_and_saveexec_b64 s[56:57], s[2:3]
	s_cbranch_execz .LBB53_24
; %bb.23:                               ;   in Loop: Header=BB53_2 Depth=1
	ds_read_b32 v100, v135
.LBB53_24:                              ;   in Loop: Header=BB53_2 Depth=1
	s_or_b64 exec, exec, s[56:57]
	s_waitcnt lgkmcnt(0)
	v_add_u32_e32 v5, v100, v5
	ds_bpermute_b32 v5, v152, v5
	v_readlane_b32 s56, v172, 52
	v_readlane_b32 s57, v172, 53
	v_cndmask_b32_e64 v101, 0, 1, s[56:57]
	v_readlane_b32 s56, v172, 54
	s_waitcnt lgkmcnt(0)
	v_cndmask_b32_e64 v5, v5, v100, s[54:55]
	ds_write_b32 v134, v5 offset:8
	v_cndmask_b32_e64 v5, 0, 1, s[36:37]
	v_cmp_ne_u32_e32 vcc, 0, v5
	v_xor_b32_e32 v5, vcc_hi, v118
	v_xor_b32_e32 v100, vcc_lo, v117
	v_cmp_ne_u32_e32 vcc, 0, v101
	v_and_b32_e32 v5, exec_hi, v5
	v_xor_b32_e32 v101, vcc_hi, v51
	v_readlane_b32 s57, v172, 55
	v_and_b32_e32 v5, v5, v101
	v_cndmask_b32_e64 v101, 0, 1, s[56:57]
	v_xor_b32_e32 v153, vcc_lo, v52
	v_cmp_ne_u32_e32 vcc, 0, v101
	v_readlane_b32 s56, v172, 56
	v_xor_b32_e32 v101, vcc_hi, v53
	v_readlane_b32 s57, v172, 57
	v_and_b32_e32 v100, exec_lo, v100
	v_and_b32_e32 v5, v5, v101
	v_cndmask_b32_e64 v101, 0, 1, s[56:57]
	v_and_b32_e32 v100, v100, v153
	v_xor_b32_e32 v153, vcc_lo, v54
	v_cmp_ne_u32_e32 vcc, 0, v101
	v_and_b32_e32 v100, v100, v153
	v_xor_b32_e32 v153, vcc_lo, v56
	v_xor_b32_e32 v101, vcc_hi, v55
	v_and_b32_e32 v100, v100, v153
	v_and_b32_e32 v101, v5, v101
	v_mbcnt_lo_u32_b32 v5, v100, 0
	v_mbcnt_hi_u32_b32 v5, v101, v5
	v_cmp_eq_u32_e32 vcc, 0, v5
	v_cmp_ne_u64_e64 s[56:57], 0, v[100:101]
	s_and_b64 vcc, s[56:57], vcc
	s_waitcnt lgkmcnt(0)
	s_barrier
	ds_write_b32 v134, v4 offset:8
	s_waitcnt lgkmcnt(0)
	s_barrier
	s_waitcnt lgkmcnt(0)
	; wave barrier
	s_and_saveexec_b64 s[56:57], vcc
	s_cbranch_execz .LBB53_26
; %bb.25:                               ;   in Loop: Header=BB53_2 Depth=1
	v_bcnt_u32_b32 v100, v100, 0
	v_bcnt_u32_b32 v100, v101, v100
	ds_write_b32 v140, v100 offset:8
.LBB53_26:                              ;   in Loop: Header=BB53_2 Depth=1
	s_or_b64 exec, exec, s[56:57]
	v_readlane_b32 s56, v172, 58
	v_cndmask_b32_e64 v100, 0, 1, s[38:39]
	v_readlane_b32 s57, v172, 59
	v_cmp_ne_u32_e32 vcc, 0, v100
	v_cndmask_b32_e64 v154, 0, 1, s[56:57]
	v_xor_b32_e32 v100, vcc_hi, v120
	v_xor_b32_e32 v101, vcc_lo, v119
	v_cmp_ne_u32_e32 vcc, 0, v154
	v_readlane_b32 s56, v172, 60
	v_and_b32_e32 v100, exec_hi, v100
	v_xor_b32_e32 v154, vcc_hi, v57
	v_readlane_b32 s57, v172, 61
	v_and_b32_e32 v100, v100, v154
	v_cndmask_b32_e64 v154, 0, 1, s[56:57]
	v_and_b32_e32 v101, exec_lo, v101
	v_xor_b32_e32 v155, vcc_lo, v58
	v_cmp_ne_u32_e32 vcc, 0, v154
	v_and_b32_e32 v101, v101, v155
	v_xor_b32_e32 v154, vcc_hi, v59
	v_xor_b32_e32 v155, vcc_lo, v60
	v_and_b32_e32 v100, v100, v154
	v_and_b32_e32 v154, v101, v155
	v_cndmask_b32_e64 v101, 0, 1, s[58:59]
	v_cmp_ne_u32_e32 vcc, 0, v101
	v_xor_b32_e32 v101, vcc_hi, v61
	v_xor_b32_e32 v155, vcc_lo, v62
	; wave barrier
	ds_read_b32 v153, v143 offset:8
	v_and_b32_e32 v101, v100, v101
	v_and_b32_e32 v100, v154, v155
	v_mbcnt_lo_u32_b32 v154, v100, 0
	v_mbcnt_hi_u32_b32 v154, v101, v154
	v_cmp_eq_u32_e32 vcc, 0, v154
	v_cmp_ne_u64_e64 s[56:57], 0, v[100:101]
	s_and_b64 vcc, s[56:57], vcc
	; wave barrier
	s_and_saveexec_b64 s[56:57], vcc
	s_cbranch_execz .LBB53_28
; %bb.27:                               ;   in Loop: Header=BB53_2 Depth=1
	v_bcnt_u32_b32 v100, v100, 0
	v_bcnt_u32_b32 v100, v101, v100
	s_waitcnt lgkmcnt(0)
	v_add_u32_e32 v100, v153, v100
	ds_write_b32 v143, v100 offset:8
.LBB53_28:                              ;   in Loop: Header=BB53_2 Depth=1
	s_or_b64 exec, exec, s[56:57]
	v_cndmask_b32_e64 v100, 0, 1, s[40:41]
	v_cmp_ne_u32_e32 vcc, 0, v100
	v_cndmask_b32_e64 v156, 0, 1, s[60:61]
	v_xor_b32_e32 v100, vcc_hi, v122
	v_xor_b32_e32 v101, vcc_lo, v121
	v_cmp_ne_u32_e32 vcc, 0, v156
	v_and_b32_e32 v100, exec_hi, v100
	v_xor_b32_e32 v156, vcc_hi, v63
	v_and_b32_e32 v100, v100, v156
	v_cndmask_b32_e64 v156, 0, 1, s[62:63]
	v_and_b32_e32 v101, exec_lo, v101
	v_xor_b32_e32 v157, vcc_lo, v64
	v_cmp_ne_u32_e32 vcc, 0, v156
	v_and_b32_e32 v101, v101, v157
	v_xor_b32_e32 v156, vcc_hi, v65
	v_xor_b32_e32 v157, vcc_lo, v66
	v_and_b32_e32 v100, v100, v156
	v_and_b32_e32 v156, v101, v157
	v_cndmask_b32_e64 v101, 0, 1, s[64:65]
	v_cmp_ne_u32_e32 vcc, 0, v101
	v_xor_b32_e32 v101, vcc_hi, v67
	v_xor_b32_e32 v157, vcc_lo, v68
	; wave barrier
	ds_read_b32 v155, v145 offset:8
	v_and_b32_e32 v101, v100, v101
	v_and_b32_e32 v100, v156, v157
	v_mbcnt_lo_u32_b32 v156, v100, 0
	v_mbcnt_hi_u32_b32 v156, v101, v156
	v_cmp_eq_u32_e32 vcc, 0, v156
	v_cmp_ne_u64_e64 s[56:57], 0, v[100:101]
	s_and_b64 vcc, s[56:57], vcc
	; wave barrier
	s_and_saveexec_b64 s[56:57], vcc
	s_cbranch_execz .LBB53_30
; %bb.29:                               ;   in Loop: Header=BB53_2 Depth=1
	v_bcnt_u32_b32 v100, v100, 0
	v_bcnt_u32_b32 v100, v101, v100
	s_waitcnt lgkmcnt(0)
	v_add_u32_e32 v100, v155, v100
	ds_write_b32 v145, v100 offset:8
.LBB53_30:                              ;   in Loop: Header=BB53_2 Depth=1
	s_or_b64 exec, exec, s[56:57]
	v_cndmask_b32_e64 v100, 0, 1, s[42:43]
	v_cmp_ne_u32_e32 vcc, 0, v100
	v_cndmask_b32_e64 v158, 0, 1, s[66:67]
	v_xor_b32_e32 v100, vcc_hi, v124
	v_xor_b32_e32 v101, vcc_lo, v123
	v_cmp_ne_u32_e32 vcc, 0, v158
	v_and_b32_e32 v100, exec_hi, v100
	v_xor_b32_e32 v158, vcc_hi, v69
	;; [unrolled: 42-line block ×6, first 2 shown]
	v_and_b32_e32 v100, v100, v166
	v_cndmask_b32_e64 v166, 0, 1, s[92:93]
	v_and_b32_e32 v101, exec_lo, v101
	v_xor_b32_e32 v167, vcc_lo, v94
	v_cmp_ne_u32_e32 vcc, 0, v166
	v_and_b32_e32 v101, v101, v167
	v_xor_b32_e32 v166, vcc_hi, v95
	v_xor_b32_e32 v167, vcc_lo, v96
	v_and_b32_e32 v100, v100, v166
	v_and_b32_e32 v166, v101, v167
	v_cndmask_b32_e64 v101, 0, 1, s[52:53]
	v_cmp_ne_u32_e32 vcc, 0, v101
	v_xor_b32_e32 v101, vcc_hi, v97
	v_xor_b32_e32 v167, vcc_lo, v98
	; wave barrier
	ds_read_b32 v165, v151 offset:8
	v_and_b32_e32 v101, v100, v101
	v_and_b32_e32 v100, v166, v167
	v_mbcnt_lo_u32_b32 v166, v100, 0
	v_mbcnt_hi_u32_b32 v166, v101, v166
	v_cmp_eq_u32_e32 vcc, 0, v166
	v_cmp_ne_u64_e64 s[56:57], 0, v[100:101]
	s_and_b64 vcc, s[56:57], vcc
	; wave barrier
	s_and_saveexec_b64 s[56:57], vcc
	s_cbranch_execz .LBB53_40
; %bb.39:                               ;   in Loop: Header=BB53_2 Depth=1
	v_bcnt_u32_b32 v100, v100, 0
	v_bcnt_u32_b32 v100, v101, v100
	s_waitcnt lgkmcnt(0)
	v_add_u32_e32 v100, v165, v100
	ds_write_b32 v151, v100 offset:8
.LBB53_40:                              ;   in Loop: Header=BB53_2 Depth=1
	s_or_b64 exec, exec, s[56:57]
	; wave barrier
	s_waitcnt lgkmcnt(0)
	s_barrier
	ds_read_b32 v100, v134 offset:8
	s_waitcnt lgkmcnt(0)
	s_nop 0
	v_mov_b32_dpp v101, v100 row_shr:1 row_mask:0xf bank_mask:0xf
	v_cndmask_b32_e64 v101, v101, 0, s[4:5]
	v_add_u32_e32 v100, v101, v100
	s_nop 1
	v_mov_b32_dpp v101, v100 row_shr:2 row_mask:0xf bank_mask:0xf
	v_cndmask_b32_e64 v101, 0, v101, s[6:7]
	v_add_u32_e32 v100, v100, v101
	;; [unrolled: 4-line block ×4, first 2 shown]
	s_nop 1
	v_mov_b32_dpp v101, v100 row_bcast:15 row_mask:0xf bank_mask:0xf
	v_cndmask_b32_e64 v101, v101, 0, s[12:13]
	v_add_u32_e32 v100, v100, v101
	s_nop 1
	v_mov_b32_dpp v101, v100 row_bcast:31 row_mask:0xf bank_mask:0xf
	v_cndmask_b32_e64 v101, 0, v101, s[14:15]
	v_add_u32_e32 v100, v100, v101
	s_and_saveexec_b64 s[56:57], s[94:95]
	s_cbranch_execz .LBB53_42
; %bb.41:                               ;   in Loop: Header=BB53_2 Depth=1
	ds_write_b32 v133, v100
.LBB53_42:                              ;   in Loop: Header=BB53_2 Depth=1
	s_or_b64 exec, exec, s[56:57]
	s_waitcnt lgkmcnt(0)
	s_barrier
	s_and_saveexec_b64 s[56:57], s[0:1]
	s_cbranch_execz .LBB53_44
; %bb.43:                               ;   in Loop: Header=BB53_2 Depth=1
	ds_read_b32 v101, v134
	s_waitcnt lgkmcnt(0)
	s_nop 0
	v_mov_b32_dpp v167, v101 row_shr:1 row_mask:0xf bank_mask:0xf
	v_cndmask_b32_e64 v167, v167, 0, s[16:17]
	v_add_u32_e32 v101, v167, v101
	ds_write_b32 v134, v101
.LBB53_44:                              ;   in Loop: Header=BB53_2 Depth=1
	s_or_b64 exec, exec, s[56:57]
	v_mov_b32_e32 v101, 0
	s_waitcnt lgkmcnt(0)
	s_barrier
	s_and_saveexec_b64 s[56:57], s[2:3]
	s_cbranch_execz .LBB53_1
; %bb.45:                               ;   in Loop: Header=BB53_2 Depth=1
	ds_read_b32 v101, v135
	s_branch .LBB53_1
.LBB53_46:
	ds_read_b32 v4, v151 offset:8
	ds_read_b32 v6, v150 offset:8
	;; [unrolled: 1-line block ×8, first 2 shown]
	v_readlane_b32 s0, v172, 62
	v_readlane_b32 s4, v172, 0
	;; [unrolled: 1-line block ×5, first 2 shown]
	s_lshl_b64 s[0:1], s[0:1], 2
	s_mov_b64 s[2:3], s[6:7]
	s_add_u32 s0, s2, s0
	s_addc_u32 s1, s3, s1
	v_lshlrev_b32_e32 v11, 2, v2
	s_waitcnt lgkmcnt(1)
	v_add3_u32 v1, v154, v153, v0
	s_waitcnt lgkmcnt(0)
	v_add_u32_e32 v0, v10, v5
	v_add3_u32 v3, v158, v157, v3
	v_add3_u32 v2, v156, v155, v9
	global_store_dwordx4 v11, v[0:3], s[0:1]
	v_readlane_b32 s5, v172, 1
	v_add3_u32 v1, v162, v161, v7
	v_add3_u32 v0, v160, v159, v8
	;; [unrolled: 1-line block ×4, first 2 shown]
	global_store_dwordx4 v11, v[0:3], s[0:1] offset:16
	s_endpgm
	.section	.rodata,"a",@progbits
	.p2align	6, 0x0
	.amdhsa_kernel _Z11rank_kernelIhLj4ELb0EL18RadixRankAlgorithm2ELj128ELj8ELj10EEvPKT_Pi
		.amdhsa_group_segment_fixed_size 520
		.amdhsa_private_segment_fixed_size 0
		.amdhsa_kernarg_size 272
		.amdhsa_user_sgpr_count 6
		.amdhsa_user_sgpr_private_segment_buffer 1
		.amdhsa_user_sgpr_dispatch_ptr 0
		.amdhsa_user_sgpr_queue_ptr 0
		.amdhsa_user_sgpr_kernarg_segment_ptr 1
		.amdhsa_user_sgpr_dispatch_id 0
		.amdhsa_user_sgpr_flat_scratch_init 0
		.amdhsa_user_sgpr_kernarg_preload_length 0
		.amdhsa_user_sgpr_kernarg_preload_offset 0
		.amdhsa_user_sgpr_private_segment_size 0
		.amdhsa_uses_dynamic_stack 0
		.amdhsa_system_sgpr_private_segment_wavefront_offset 0
		.amdhsa_system_sgpr_workgroup_id_x 1
		.amdhsa_system_sgpr_workgroup_id_y 0
		.amdhsa_system_sgpr_workgroup_id_z 0
		.amdhsa_system_sgpr_workgroup_info 0
		.amdhsa_system_vgpr_workitem_id 2
		.amdhsa_next_free_vgpr 173
		.amdhsa_next_free_sgpr 96
		.amdhsa_accum_offset 176
		.amdhsa_reserve_vcc 1
		.amdhsa_reserve_flat_scratch 0
		.amdhsa_float_round_mode_32 0
		.amdhsa_float_round_mode_16_64 0
		.amdhsa_float_denorm_mode_32 3
		.amdhsa_float_denorm_mode_16_64 3
		.amdhsa_dx10_clamp 1
		.amdhsa_ieee_mode 1
		.amdhsa_fp16_overflow 0
		.amdhsa_tg_split 0
		.amdhsa_exception_fp_ieee_invalid_op 0
		.amdhsa_exception_fp_denorm_src 0
		.amdhsa_exception_fp_ieee_div_zero 0
		.amdhsa_exception_fp_ieee_overflow 0
		.amdhsa_exception_fp_ieee_underflow 0
		.amdhsa_exception_fp_ieee_inexact 0
		.amdhsa_exception_int_div_zero 0
	.end_amdhsa_kernel
	.section	.text._Z11rank_kernelIhLj4ELb0EL18RadixRankAlgorithm2ELj128ELj8ELj10EEvPKT_Pi,"axG",@progbits,_Z11rank_kernelIhLj4ELb0EL18RadixRankAlgorithm2ELj128ELj8ELj10EEvPKT_Pi,comdat
.Lfunc_end53:
	.size	_Z11rank_kernelIhLj4ELb0EL18RadixRankAlgorithm2ELj128ELj8ELj10EEvPKT_Pi, .Lfunc_end53-_Z11rank_kernelIhLj4ELb0EL18RadixRankAlgorithm2ELj128ELj8ELj10EEvPKT_Pi
                                        ; -- End function
	.section	.AMDGPU.csdata,"",@progbits
; Kernel info:
; codeLenInByte = 7408
; NumSgprs: 100
; NumVgprs: 173
; NumAgprs: 0
; TotalNumVgprs: 173
; ScratchSize: 0
; MemoryBound: 0
; FloatMode: 240
; IeeeMode: 1
; LDSByteSize: 520 bytes/workgroup (compile time only)
; SGPRBlocks: 12
; VGPRBlocks: 21
; NumSGPRsForWavesPerEU: 100
; NumVGPRsForWavesPerEU: 173
; AccumOffset: 176
; Occupancy: 2
; WaveLimiterHint : 0
; COMPUTE_PGM_RSRC2:SCRATCH_EN: 0
; COMPUTE_PGM_RSRC2:USER_SGPR: 6
; COMPUTE_PGM_RSRC2:TRAP_HANDLER: 0
; COMPUTE_PGM_RSRC2:TGID_X_EN: 1
; COMPUTE_PGM_RSRC2:TGID_Y_EN: 0
; COMPUTE_PGM_RSRC2:TGID_Z_EN: 0
; COMPUTE_PGM_RSRC2:TIDIG_COMP_CNT: 2
; COMPUTE_PGM_RSRC3_GFX90A:ACCUM_OFFSET: 43
; COMPUTE_PGM_RSRC3_GFX90A:TG_SPLIT: 0
	.section	.text._Z11rank_kernelIhLj4ELb0EL18RadixRankAlgorithm0ELj128ELj16ELj10EEvPKT_Pi,"axG",@progbits,_Z11rank_kernelIhLj4ELb0EL18RadixRankAlgorithm0ELj128ELj16ELj10EEvPKT_Pi,comdat
	.protected	_Z11rank_kernelIhLj4ELb0EL18RadixRankAlgorithm0ELj128ELj16ELj10EEvPKT_Pi ; -- Begin function _Z11rank_kernelIhLj4ELb0EL18RadixRankAlgorithm0ELj128ELj16ELj10EEvPKT_Pi
	.globl	_Z11rank_kernelIhLj4ELb0EL18RadixRankAlgorithm0ELj128ELj16ELj10EEvPKT_Pi
	.p2align	8
	.type	_Z11rank_kernelIhLj4ELb0EL18RadixRankAlgorithm0ELj128ELj16ELj10EEvPKT_Pi,@function
_Z11rank_kernelIhLj4ELb0EL18RadixRankAlgorithm0ELj128ELj16ELj10EEvPKT_Pi: ; @_Z11rank_kernelIhLj4ELb0EL18RadixRankAlgorithm0ELj128ELj16ELj10EEvPKT_Pi
; %bb.0:
	s_load_dwordx4 s[20:23], s[4:5], 0x0
	s_lshl_b32 s24, s6, 11
	v_lshlrev_b32_e32 v6, 4, v0
	v_mbcnt_lo_u32_b32 v1, -1, 0
	v_mbcnt_hi_u32_b32 v1, -1, v1
	s_waitcnt lgkmcnt(0)
	s_add_u32 s0, s20, s24
	s_addc_u32 s1, s21, 0
	global_load_dwordx4 v[2:5], v6, s[0:1]
	v_and_b32_e32 v8, 15, v1
	v_cmp_eq_u32_e64 s[0:1], 0, v8
	v_cmp_lt_u32_e64 s[2:3], 1, v8
	v_cmp_lt_u32_e64 s[4:5], 3, v8
	;; [unrolled: 1-line block ×3, first 2 shown]
	v_and_b32_e32 v8, 16, v1
	v_cmp_eq_u32_e64 s[8:9], 0, v8
	v_or_b32_e32 v8, 63, v0
	v_cmp_eq_u32_e64 s[12:13], v8, v0
	v_add_u32_e32 v8, -1, v1
	v_and_b32_e32 v9, 64, v1
	v_cmp_lt_i32_e32 vcc, v8, v9
	v_cndmask_b32_e32 v8, v8, v1, vcc
	s_mov_b32 s25, 0
	v_cmp_lt_u32_e64 s[10:11], 31, v1
	v_lshlrev_b32_e32 v11, 2, v8
	v_cmp_eq_u32_e64 s[18:19], 0, v1
	v_lshrrev_b32_e32 v8, 4, v0
	v_and_b32_e32 v1, 1, v1
	v_mov_b32_e32 v7, 0
	v_lshlrev_b32_e32 v10, 5, v0
	v_cmp_gt_u32_e64 s[14:15], 2, v0
	v_cmp_lt_u32_e64 s[16:17], 63, v0
	v_and_b32_e32 v12, 4, v8
	v_lshlrev_b32_e32 v13, 2, v0
	v_cmp_eq_u32_e64 s[20:21], 0, v1
	v_or_b32_e32 v1, 0x80, v0
	s_movk_i32 s33, 0x380
	s_mov_b32 s36, s25
	s_branch .LBB54_2
.LBB54_1:                               ;   in Loop: Header=BB54_2 Depth=1
	s_add_i32 s36, s36, 1
	s_cmp_eq_u32 s36, 10
	s_cbranch_scc1 .LBB54_16
.LBB54_2:                               ; =>This Loop Header: Depth=1
                                        ;     Child Loop BB54_4 Depth 2
                                        ;       Child Loop BB54_6 Depth 3
	s_mov_b32 s37, 28
	s_mov_b64 s[26:27], -1
	s_branch .LBB54_4
.LBB54_3:                               ;   in Loop: Header=BB54_4 Depth=2
	s_or_b64 exec, exec, s[28:29]
	s_waitcnt lgkmcnt(0)
	v_add_u32_e32 v44, v45, v44
	ds_bpermute_b32 v44, v11, v44
	ds_read_b32 v46, v7 offset:4100
	s_mov_b32 s37, 24
	s_andn2_b64 vcc, exec, s[26:27]
	s_mov_b64 s[26:27], 0
	s_waitcnt lgkmcnt(1)
	v_cndmask_b32_e64 v47, v44, v45, s[18:19]
	ds_read2_b32 v[44:45], v10 offset1:1
	s_waitcnt lgkmcnt(1)
	v_lshl_add_u32 v50, v46, 16, v47
	ds_read2_b32 v[46:47], v10 offset0:2 offset1:3
	ds_read2_b32 v[48:49], v10 offset0:4 offset1:5
	ds_read_b32 v51, v10 offset:24
	s_waitcnt lgkmcnt(3)
	v_add_u32_e32 v44, v50, v44
	ds_write2_b32 v10, v50, v44 offset1:1
	v_add_u32_e32 v44, v45, v44
	s_waitcnt lgkmcnt(3)
	v_add_u32_e32 v45, v46, v44
	ds_write2_b32 v10, v44, v45 offset0:2 offset1:3
	v_add_u32_e32 v44, v47, v45
	s_waitcnt lgkmcnt(3)
	v_add_u32_e32 v45, v48, v44
	ds_write2_b32 v10, v44, v45 offset0:4 offset1:5
	v_add_u32_e32 v44, v49, v45
	s_waitcnt lgkmcnt(3)
	v_add_u32_e32 v45, v51, v44
	ds_write2_b32 v10, v44, v45 offset0:6 offset1:7
	s_waitcnt lgkmcnt(0)
	s_barrier
	s_cbranch_vccz .LBB54_1
.LBB54_4:                               ;   Parent Loop BB54_2 Depth=1
                                        ; =>  This Loop Header: Depth=2
                                        ;       Child Loop BB54_6 Depth 3
	s_xor_b64 s[26:27], s[26:27], -1
	s_mov_b32 s38, 0
	s_mov_b64 s[28:29], 0
	v_pk_mov_b32 v[8:9], v[0:1], v[0:1] op_sel:[0,1]
	s_branch .LBB54_6
.LBB54_5:                               ;   in Loop: Header=BB54_6 Depth=3
	s_or_b64 exec, exec, s[34:35]
	s_add_i32 s38, s38, 2
	v_cmp_eq_u32_e64 s[30:31], 8, s38
	v_add_u32_e32 v9, 0x100, v9
	s_or_b64 s[28:29], s[30:31], s[28:29]
	v_add_u32_e32 v8, 0x100, v8
	s_andn2_b64 exec, exec, s[28:29]
	s_cbranch_execz .LBB54_10
.LBB54_6:                               ;   Parent Loop BB54_2 Depth=1
                                        ;     Parent Loop BB54_4 Depth=2
                                        ; =>    This Inner Loop Header: Depth=3
	s_or_b32 s30, s38, 1
	v_cmp_le_u32_e64 s[30:31], s30, 7
	v_cmp_le_u32_e64 s[40:41], s38, 7
	s_and_saveexec_b64 s[34:35], s[40:41]
	s_cbranch_execz .LBB54_8
; %bb.7:                                ;   in Loop: Header=BB54_6 Depth=3
	v_lshlrev_b32_e32 v14, 2, v8
	ds_write_b32 v14, v7
.LBB54_8:                               ;   in Loop: Header=BB54_6 Depth=3
	s_or_b64 exec, exec, s[34:35]
	s_and_saveexec_b64 s[34:35], s[30:31]
	s_cbranch_execz .LBB54_5
; %bb.9:                                ;   in Loop: Header=BB54_6 Depth=3
	v_lshlrev_b32_e32 v14, 2, v9
	ds_write_b32 v14, v7
	s_branch .LBB54_5
.LBB54_10:                              ;   in Loop: Header=BB54_4 Depth=2
	s_or_b64 exec, exec, s[28:29]
	s_waitcnt vmcnt(0)
	v_lshlrev_b32_sdwa v8, s37, v2 dst_sel:DWORD dst_unused:UNUSED_PAD src0_sel:DWORD src1_sel:BYTE_0
	v_lshrrev_b32_e32 v9, 21, v8
	v_and_or_b32 v9, v9, s33, v0
	v_alignbit_b32 v8, v9, v8, 31
	v_lshlrev_b32_e32 v14, 1, v8
	ds_read_u16 v8, v14
	v_lshlrev_b32_sdwa v9, s37, v2 dst_sel:DWORD dst_unused:UNUSED_PAD src0_sel:DWORD src1_sel:BYTE_1
	v_lshrrev_b32_e32 v15, 21, v9
	v_and_or_b32 v15, v15, s33, v0
	v_alignbit_b32 v9, v15, v9, 31
	s_waitcnt lgkmcnt(0)
	v_add_u16_e32 v15, 1, v8
	ds_write_b16 v14, v15
	v_lshlrev_b32_e32 v16, 1, v9
	ds_read_u16 v9, v16
	v_lshlrev_b32_sdwa v15, s37, v2 dst_sel:DWORD dst_unused:UNUSED_PAD src0_sel:DWORD src1_sel:BYTE_2
	v_lshrrev_b32_e32 v17, 21, v15
	v_and_or_b32 v17, v17, s33, v0
	v_alignbit_b32 v15, v17, v15, 31
	s_waitcnt lgkmcnt(0)
	v_add_u16_e32 v18, 1, v9
	ds_write_b16 v16, v18
	v_lshlrev_b32_e32 v18, 1, v15
	ds_read_u16 v15, v18
	v_lshlrev_b32_sdwa v17, s37, v2 dst_sel:DWORD dst_unused:UNUSED_PAD src0_sel:DWORD src1_sel:BYTE_3
	v_lshrrev_b32_e32 v19, 21, v17
	v_and_or_b32 v19, v19, s33, v0
	v_alignbit_b32 v17, v19, v17, 31
	s_waitcnt lgkmcnt(0)
	v_add_u16_e32 v20, 1, v15
	ds_write_b16 v18, v20
	v_lshlrev_b32_e32 v20, 1, v17
	ds_read_u16 v17, v20
	v_lshlrev_b32_sdwa v19, s37, v3 dst_sel:DWORD dst_unused:UNUSED_PAD src0_sel:DWORD src1_sel:BYTE_0
	s_waitcnt lgkmcnt(0)
	v_add_u16_e32 v21, 1, v17
	ds_write_b16 v20, v21
	v_lshrrev_b32_e32 v21, 21, v19
	v_and_or_b32 v21, v21, s33, v0
	v_alignbit_b32 v19, v21, v19, 31
	v_lshlrev_b32_e32 v22, 1, v19
	ds_read_u16 v19, v22
	s_waitcnt lgkmcnt(0)
	v_add_u16_e32 v21, 1, v19
	ds_write_b16 v22, v21
	v_lshlrev_b32_sdwa v21, s37, v3 dst_sel:DWORD dst_unused:UNUSED_PAD src0_sel:DWORD src1_sel:BYTE_1
	v_lshrrev_b32_e32 v23, 21, v21
	v_and_or_b32 v23, v23, s33, v0
	v_alignbit_b32 v21, v23, v21, 31
	v_lshlrev_b32_e32 v24, 1, v21
	ds_read_u16 v21, v24
	s_waitcnt lgkmcnt(0)
	v_add_u16_e32 v23, 1, v21
	ds_write_b16 v24, v23
	v_lshlrev_b32_sdwa v23, s37, v3 dst_sel:DWORD dst_unused:UNUSED_PAD src0_sel:DWORD src1_sel:BYTE_2
	v_lshrrev_b32_e32 v25, 21, v23
	v_and_or_b32 v25, v25, s33, v0
	v_alignbit_b32 v23, v25, v23, 31
	v_lshlrev_b32_e32 v26, 1, v23
	ds_read_u16 v23, v26
	s_waitcnt lgkmcnt(0)
	v_add_u16_e32 v25, 1, v23
	ds_write_b16 v26, v25
	v_lshlrev_b32_sdwa v25, s37, v3 dst_sel:DWORD dst_unused:UNUSED_PAD src0_sel:DWORD src1_sel:BYTE_3
	v_lshrrev_b32_e32 v27, 21, v25
	v_and_or_b32 v27, v27, s33, v0
	v_alignbit_b32 v25, v27, v25, 31
	v_lshlrev_b32_e32 v28, 1, v25
	ds_read_u16 v25, v28
	s_waitcnt lgkmcnt(0)
	v_add_u16_e32 v27, 1, v25
	ds_write_b16 v28, v27
	v_lshlrev_b32_sdwa v27, s37, v4 dst_sel:DWORD dst_unused:UNUSED_PAD src0_sel:DWORD src1_sel:BYTE_0
	v_lshrrev_b32_e32 v29, 21, v27
	v_and_or_b32 v29, v29, s33, v0
	v_alignbit_b32 v27, v29, v27, 31
	v_lshlrev_b32_e32 v30, 1, v27
	ds_read_u16 v27, v30
	s_waitcnt lgkmcnt(0)
	v_add_u16_e32 v29, 1, v27
	ds_write_b16 v30, v29
	v_lshlrev_b32_sdwa v29, s37, v4 dst_sel:DWORD dst_unused:UNUSED_PAD src0_sel:DWORD src1_sel:BYTE_1
	v_lshrrev_b32_e32 v31, 21, v29
	v_and_or_b32 v31, v31, s33, v0
	v_alignbit_b32 v29, v31, v29, 31
	v_lshlrev_b32_e32 v32, 1, v29
	ds_read_u16 v29, v32
	s_waitcnt lgkmcnt(0)
	v_add_u16_e32 v31, 1, v29
	ds_write_b16 v32, v31
	v_lshlrev_b32_sdwa v31, s37, v4 dst_sel:DWORD dst_unused:UNUSED_PAD src0_sel:DWORD src1_sel:BYTE_2
	v_lshrrev_b32_e32 v33, 21, v31
	v_and_or_b32 v33, v33, s33, v0
	v_alignbit_b32 v31, v33, v31, 31
	v_lshlrev_b32_e32 v34, 1, v31
	ds_read_u16 v31, v34
	s_waitcnt lgkmcnt(0)
	v_add_u16_e32 v33, 1, v31
	ds_write_b16 v34, v33
	v_lshlrev_b32_sdwa v33, s37, v4 dst_sel:DWORD dst_unused:UNUSED_PAD src0_sel:DWORD src1_sel:BYTE_3
	v_lshrrev_b32_e32 v35, 21, v33
	v_and_or_b32 v35, v35, s33, v0
	v_alignbit_b32 v33, v35, v33, 31
	v_lshlrev_b32_e32 v36, 1, v33
	ds_read_u16 v33, v36
	s_waitcnt lgkmcnt(0)
	v_add_u16_e32 v35, 1, v33
	ds_write_b16 v36, v35
	v_lshlrev_b32_sdwa v35, s37, v5 dst_sel:DWORD dst_unused:UNUSED_PAD src0_sel:DWORD src1_sel:BYTE_0
	v_lshrrev_b32_e32 v37, 21, v35
	v_and_or_b32 v37, v37, s33, v0
	v_alignbit_b32 v35, v37, v35, 31
	v_lshlrev_b32_e32 v38, 1, v35
	ds_read_u16 v35, v38
	s_waitcnt lgkmcnt(0)
	v_add_u16_e32 v37, 1, v35
	ds_write_b16 v38, v37
	v_lshlrev_b32_sdwa v37, s37, v5 dst_sel:DWORD dst_unused:UNUSED_PAD src0_sel:DWORD src1_sel:BYTE_1
	v_lshrrev_b32_e32 v39, 21, v37
	v_and_or_b32 v39, v39, s33, v0
	v_alignbit_b32 v37, v39, v37, 31
	v_lshlrev_b32_e32 v40, 1, v37
	ds_read_u16 v37, v40
	s_waitcnt lgkmcnt(0)
	v_add_u16_e32 v39, 1, v37
	ds_write_b16 v40, v39
	v_lshlrev_b32_sdwa v39, s37, v5 dst_sel:DWORD dst_unused:UNUSED_PAD src0_sel:DWORD src1_sel:BYTE_2
	v_lshrrev_b32_e32 v41, 21, v39
	v_and_or_b32 v41, v41, s33, v0
	v_alignbit_b32 v39, v41, v39, 31
	v_lshlrev_b32_e32 v42, 1, v39
	ds_read_u16 v39, v42
	s_waitcnt lgkmcnt(0)
	v_add_u16_e32 v41, 1, v39
	ds_write_b16 v42, v41
	v_lshlrev_b32_sdwa v41, s37, v5 dst_sel:DWORD dst_unused:UNUSED_PAD src0_sel:DWORD src1_sel:BYTE_3
	v_lshrrev_b32_e32 v43, 21, v41
	v_and_or_b32 v43, v43, s33, v0
	v_alignbit_b32 v41, v43, v41, 31
	v_lshlrev_b32_e32 v43, 1, v41
	ds_read_u16 v41, v43
	s_waitcnt lgkmcnt(0)
	v_add_u16_e32 v44, 1, v41
	ds_write_b16 v43, v44
	s_waitcnt lgkmcnt(0)
	s_barrier
	ds_read2_b32 v[44:45], v10 offset1:1
	ds_read2_b32 v[46:47], v10 offset0:2 offset1:3
	ds_read2_b32 v[48:49], v10 offset0:4 offset1:5
	;; [unrolled: 1-line block ×3, first 2 shown]
	s_waitcnt lgkmcnt(3)
	v_add_u32_e32 v44, v45, v44
	s_waitcnt lgkmcnt(2)
	v_add3_u32 v44, v44, v46, v47
	s_waitcnt lgkmcnt(1)
	v_add3_u32 v44, v44, v48, v49
	;; [unrolled: 2-line block ×3, first 2 shown]
	s_nop 1
	v_mov_b32_dpp v45, v44 row_shr:1 row_mask:0xf bank_mask:0xf
	v_cndmask_b32_e64 v45, v45, 0, s[0:1]
	v_add_u32_e32 v44, v45, v44
	s_nop 1
	v_mov_b32_dpp v45, v44 row_shr:2 row_mask:0xf bank_mask:0xf
	v_cndmask_b32_e64 v45, 0, v45, s[2:3]
	v_add_u32_e32 v44, v44, v45
	;; [unrolled: 4-line block ×4, first 2 shown]
	s_nop 1
	v_mov_b32_dpp v45, v44 row_bcast:15 row_mask:0xf bank_mask:0xf
	v_cndmask_b32_e64 v45, v45, 0, s[8:9]
	v_add_u32_e32 v44, v44, v45
	s_nop 1
	v_mov_b32_dpp v45, v44 row_bcast:31 row_mask:0xf bank_mask:0xf
	v_cndmask_b32_e64 v45, 0, v45, s[10:11]
	v_add_u32_e32 v44, v44, v45
	s_and_saveexec_b64 s[28:29], s[12:13]
	s_cbranch_execz .LBB54_12
; %bb.11:                               ;   in Loop: Header=BB54_4 Depth=2
	ds_write_b32 v12, v44 offset:4096
.LBB54_12:                              ;   in Loop: Header=BB54_4 Depth=2
	s_or_b64 exec, exec, s[28:29]
	s_waitcnt lgkmcnt(0)
	s_barrier
	s_and_saveexec_b64 s[28:29], s[14:15]
	s_cbranch_execz .LBB54_14
; %bb.13:                               ;   in Loop: Header=BB54_4 Depth=2
	ds_read_b32 v45, v13 offset:4096
	s_waitcnt lgkmcnt(0)
	s_nop 0
	v_mov_b32_dpp v46, v45 row_shr:1 row_mask:0xf bank_mask:0xf
	v_cndmask_b32_e64 v46, v46, 0, s[20:21]
	v_add_u32_e32 v45, v46, v45
	ds_write_b32 v13, v45 offset:4096
.LBB54_14:                              ;   in Loop: Header=BB54_4 Depth=2
	s_or_b64 exec, exec, s[28:29]
	v_mov_b32_e32 v45, 0
	s_waitcnt lgkmcnt(0)
	s_barrier
	s_and_saveexec_b64 s[28:29], s[16:17]
	s_cbranch_execz .LBB54_3
; %bb.15:                               ;   in Loop: Header=BB54_4 Depth=2
	ds_read_b32 v45, v12 offset:4092
	s_branch .LBB54_3
.LBB54_16:
	ds_read_u16 v0, v43
	ds_read_u16 v1, v42
	;; [unrolled: 1-line block ×16, first 2 shown]
	s_lshl_b64 s[0:1], s[24:25], 2
	s_add_u32 s0, s22, s0
	s_waitcnt lgkmcnt(14)
	v_add_u32_sdwa v2, v1, v39 dst_sel:DWORD dst_unused:UNUSED_PAD src0_sel:DWORD src1_sel:WORD_0
	s_waitcnt lgkmcnt(13)
	v_add_u32_sdwa v1, v4, v37 dst_sel:DWORD dst_unused:UNUSED_PAD src0_sel:DWORD src1_sel:WORD_0
	;; [unrolled: 2-line block ×6, first 2 shown]
	s_addc_u32 s1, s23, s1
	v_lshlrev_b32_e32 v4, 2, v6
	v_add_u32_sdwa v3, v0, v41 dst_sel:DWORD dst_unused:UNUSED_PAD src0_sel:DWORD src1_sel:WORD_0
	v_add_u32_sdwa v0, v5, v35 dst_sel:DWORD dst_unused:UNUSED_PAD src0_sel:DWORD src1_sel:WORD_0
	;; [unrolled: 1-line block ×10, first 2 shown]
	global_store_dwordx4 v4, v[14:17], s[0:1]
	global_store_dwordx4 v4, v[22:25], s[0:1] offset:16
	global_store_dwordx4 v4, v[10:13], s[0:1] offset:32
	;; [unrolled: 1-line block ×3, first 2 shown]
	s_endpgm
	.section	.rodata,"a",@progbits
	.p2align	6, 0x0
	.amdhsa_kernel _Z11rank_kernelIhLj4ELb0EL18RadixRankAlgorithm0ELj128ELj16ELj10EEvPKT_Pi
		.amdhsa_group_segment_fixed_size 4104
		.amdhsa_private_segment_fixed_size 0
		.amdhsa_kernarg_size 16
		.amdhsa_user_sgpr_count 6
		.amdhsa_user_sgpr_private_segment_buffer 1
		.amdhsa_user_sgpr_dispatch_ptr 0
		.amdhsa_user_sgpr_queue_ptr 0
		.amdhsa_user_sgpr_kernarg_segment_ptr 1
		.amdhsa_user_sgpr_dispatch_id 0
		.amdhsa_user_sgpr_flat_scratch_init 0
		.amdhsa_user_sgpr_kernarg_preload_length 0
		.amdhsa_user_sgpr_kernarg_preload_offset 0
		.amdhsa_user_sgpr_private_segment_size 0
		.amdhsa_uses_dynamic_stack 0
		.amdhsa_system_sgpr_private_segment_wavefront_offset 0
		.amdhsa_system_sgpr_workgroup_id_x 1
		.amdhsa_system_sgpr_workgroup_id_y 0
		.amdhsa_system_sgpr_workgroup_id_z 0
		.amdhsa_system_sgpr_workgroup_info 0
		.amdhsa_system_vgpr_workitem_id 0
		.amdhsa_next_free_vgpr 52
		.amdhsa_next_free_sgpr 42
		.amdhsa_accum_offset 52
		.amdhsa_reserve_vcc 1
		.amdhsa_reserve_flat_scratch 0
		.amdhsa_float_round_mode_32 0
		.amdhsa_float_round_mode_16_64 0
		.amdhsa_float_denorm_mode_32 3
		.amdhsa_float_denorm_mode_16_64 3
		.amdhsa_dx10_clamp 1
		.amdhsa_ieee_mode 1
		.amdhsa_fp16_overflow 0
		.amdhsa_tg_split 0
		.amdhsa_exception_fp_ieee_invalid_op 0
		.amdhsa_exception_fp_denorm_src 0
		.amdhsa_exception_fp_ieee_div_zero 0
		.amdhsa_exception_fp_ieee_overflow 0
		.amdhsa_exception_fp_ieee_underflow 0
		.amdhsa_exception_fp_ieee_inexact 0
		.amdhsa_exception_int_div_zero 0
	.end_amdhsa_kernel
	.section	.text._Z11rank_kernelIhLj4ELb0EL18RadixRankAlgorithm0ELj128ELj16ELj10EEvPKT_Pi,"axG",@progbits,_Z11rank_kernelIhLj4ELb0EL18RadixRankAlgorithm0ELj128ELj16ELj10EEvPKT_Pi,comdat
.Lfunc_end54:
	.size	_Z11rank_kernelIhLj4ELb0EL18RadixRankAlgorithm0ELj128ELj16ELj10EEvPKT_Pi, .Lfunc_end54-_Z11rank_kernelIhLj4ELb0EL18RadixRankAlgorithm0ELj128ELj16ELj10EEvPKT_Pi
                                        ; -- End function
	.section	.AMDGPU.csdata,"",@progbits
; Kernel info:
; codeLenInByte = 2144
; NumSgprs: 46
; NumVgprs: 52
; NumAgprs: 0
; TotalNumVgprs: 52
; ScratchSize: 0
; MemoryBound: 0
; FloatMode: 240
; IeeeMode: 1
; LDSByteSize: 4104 bytes/workgroup (compile time only)
; SGPRBlocks: 5
; VGPRBlocks: 6
; NumSGPRsForWavesPerEU: 46
; NumVGPRsForWavesPerEU: 52
; AccumOffset: 52
; Occupancy: 8
; WaveLimiterHint : 0
; COMPUTE_PGM_RSRC2:SCRATCH_EN: 0
; COMPUTE_PGM_RSRC2:USER_SGPR: 6
; COMPUTE_PGM_RSRC2:TRAP_HANDLER: 0
; COMPUTE_PGM_RSRC2:TGID_X_EN: 1
; COMPUTE_PGM_RSRC2:TGID_Y_EN: 0
; COMPUTE_PGM_RSRC2:TGID_Z_EN: 0
; COMPUTE_PGM_RSRC2:TIDIG_COMP_CNT: 0
; COMPUTE_PGM_RSRC3_GFX90A:ACCUM_OFFSET: 12
; COMPUTE_PGM_RSRC3_GFX90A:TG_SPLIT: 0
	.section	.text._Z11rank_kernelIhLj4ELb0EL18RadixRankAlgorithm1ELj128ELj16ELj10EEvPKT_Pi,"axG",@progbits,_Z11rank_kernelIhLj4ELb0EL18RadixRankAlgorithm1ELj128ELj16ELj10EEvPKT_Pi,comdat
	.protected	_Z11rank_kernelIhLj4ELb0EL18RadixRankAlgorithm1ELj128ELj16ELj10EEvPKT_Pi ; -- Begin function _Z11rank_kernelIhLj4ELb0EL18RadixRankAlgorithm1ELj128ELj16ELj10EEvPKT_Pi
	.globl	_Z11rank_kernelIhLj4ELb0EL18RadixRankAlgorithm1ELj128ELj16ELj10EEvPKT_Pi
	.p2align	8
	.type	_Z11rank_kernelIhLj4ELb0EL18RadixRankAlgorithm1ELj128ELj16ELj10EEvPKT_Pi,@function
_Z11rank_kernelIhLj4ELb0EL18RadixRankAlgorithm1ELj128ELj16ELj10EEvPKT_Pi: ; @_Z11rank_kernelIhLj4ELb0EL18RadixRankAlgorithm1ELj128ELj16ELj10EEvPKT_Pi
; %bb.0:
	s_load_dwordx4 s[20:23], s[4:5], 0x0
	s_lshl_b32 s24, s6, 11
	v_lshlrev_b32_e32 v6, 4, v0
	v_mbcnt_lo_u32_b32 v1, -1, 0
	v_mbcnt_hi_u32_b32 v1, -1, v1
	s_waitcnt lgkmcnt(0)
	s_add_u32 s0, s20, s24
	s_addc_u32 s1, s21, 0
	global_load_dwordx4 v[2:5], v6, s[0:1]
	v_and_b32_e32 v8, 15, v1
	v_cmp_eq_u32_e64 s[0:1], 0, v8
	v_cmp_lt_u32_e64 s[2:3], 1, v8
	v_cmp_lt_u32_e64 s[4:5], 3, v8
	;; [unrolled: 1-line block ×3, first 2 shown]
	v_and_b32_e32 v8, 16, v1
	v_cmp_eq_u32_e64 s[8:9], 0, v8
	v_or_b32_e32 v8, 63, v0
	v_cmp_eq_u32_e64 s[12:13], v8, v0
	v_add_u32_e32 v8, -1, v1
	v_and_b32_e32 v9, 64, v1
	v_cmp_lt_i32_e32 vcc, v8, v9
	v_cndmask_b32_e32 v8, v8, v1, vcc
	s_mov_b32 s25, 0
	v_cmp_lt_u32_e64 s[10:11], 31, v1
	v_lshlrev_b32_e32 v17, 2, v8
	v_cmp_eq_u32_e64 s[18:19], 0, v1
	v_lshrrev_b32_e32 v8, 4, v0
	v_and_b32_e32 v1, 1, v1
	v_mov_b32_e32 v7, 0
	v_lshlrev_b32_e32 v16, 5, v0
	v_cmp_gt_u32_e64 s[14:15], 2, v0
	v_cmp_lt_u32_e64 s[16:17], 63, v0
	v_and_b32_e32 v18, 4, v8
	v_lshlrev_b32_e32 v19, 2, v0
	v_cmp_eq_u32_e64 s[20:21], 0, v1
	v_or_b32_e32 v1, 0x80, v0
	s_movk_i32 s33, 0x380
	s_mov_b32 s36, s25
	s_branch .LBB55_2
.LBB55_1:                               ;   in Loop: Header=BB55_2 Depth=1
	s_add_i32 s36, s36, 1
	s_cmp_eq_u32 s36, 10
	s_cbranch_scc1 .LBB55_16
.LBB55_2:                               ; =>This Loop Header: Depth=1
                                        ;     Child Loop BB55_4 Depth 2
                                        ;       Child Loop BB55_6 Depth 3
	s_mov_b32 s37, 28
	s_mov_b64 s[26:27], -1
	s_branch .LBB55_4
.LBB55_3:                               ;   in Loop: Header=BB55_4 Depth=2
	s_or_b64 exec, exec, s[28:29]
	s_waitcnt lgkmcnt(0)
	v_add_u32_e32 v9, v52, v9
	ds_bpermute_b32 v9, v17, v9
	ds_read_b32 v53, v7 offset:4100
	s_mov_b32 s37, 24
	s_andn2_b64 vcc, exec, s[26:27]
	s_mov_b64 s[26:27], 0
	s_waitcnt lgkmcnt(1)
	v_cndmask_b32_e64 v9, v9, v52, s[18:19]
	s_waitcnt lgkmcnt(0)
	v_lshl_add_u32 v9, v53, 16, v9
	v_add_u32_e32 v14, v9, v14
	v_add_u32_e32 v15, v14, v15
	ds_write2_b32 v16, v9, v14 offset1:1
	v_add_u32_e32 v9, v15, v12
	v_add_u32_e32 v12, v9, v13
	ds_write2_b32 v16, v15, v9 offset0:2 offset1:3
	v_add_u32_e32 v9, v12, v10
	v_add_u32_e32 v10, v9, v11
	;; [unrolled: 1-line block ×3, first 2 shown]
	ds_write2_b32 v16, v12, v9 offset0:4 offset1:5
	ds_write2_b32 v16, v10, v8 offset0:6 offset1:7
	s_waitcnt lgkmcnt(0)
	s_barrier
	s_cbranch_vccz .LBB55_1
.LBB55_4:                               ;   Parent Loop BB55_2 Depth=1
                                        ; =>  This Loop Header: Depth=2
                                        ;       Child Loop BB55_6 Depth 3
	s_xor_b64 s[26:27], s[26:27], -1
	s_mov_b32 s38, 0
	s_mov_b64 s[28:29], 0
	v_pk_mov_b32 v[8:9], v[0:1], v[0:1] op_sel:[0,1]
	s_branch .LBB55_6
.LBB55_5:                               ;   in Loop: Header=BB55_6 Depth=3
	s_or_b64 exec, exec, s[34:35]
	s_add_i32 s38, s38, 2
	v_cmp_eq_u32_e64 s[30:31], 8, s38
	v_add_u32_e32 v9, 0x100, v9
	s_or_b64 s[28:29], s[30:31], s[28:29]
	v_add_u32_e32 v8, 0x100, v8
	s_andn2_b64 exec, exec, s[28:29]
	s_cbranch_execz .LBB55_10
.LBB55_6:                               ;   Parent Loop BB55_2 Depth=1
                                        ;     Parent Loop BB55_4 Depth=2
                                        ; =>    This Inner Loop Header: Depth=3
	s_or_b32 s30, s38, 1
	v_cmp_le_u32_e64 s[30:31], s30, 7
	v_cmp_le_u32_e64 s[40:41], s38, 7
	s_and_saveexec_b64 s[34:35], s[40:41]
	s_cbranch_execz .LBB55_8
; %bb.7:                                ;   in Loop: Header=BB55_6 Depth=3
	v_lshlrev_b32_e32 v10, 2, v8
	ds_write_b32 v10, v7
.LBB55_8:                               ;   in Loop: Header=BB55_6 Depth=3
	s_or_b64 exec, exec, s[34:35]
	s_and_saveexec_b64 s[34:35], s[30:31]
	s_cbranch_execz .LBB55_5
; %bb.9:                                ;   in Loop: Header=BB55_6 Depth=3
	v_lshlrev_b32_e32 v10, 2, v9
	ds_write_b32 v10, v7
	s_branch .LBB55_5
.LBB55_10:                              ;   in Loop: Header=BB55_4 Depth=2
	s_or_b64 exec, exec, s[28:29]
	s_waitcnt vmcnt(0)
	v_lshlrev_b32_sdwa v8, s37, v2 dst_sel:DWORD dst_unused:UNUSED_PAD src0_sel:DWORD src1_sel:BYTE_0
	v_lshrrev_b32_e32 v9, 21, v8
	v_and_or_b32 v9, v9, s33, v0
	v_alignbit_b32 v8, v9, v8, 31
	v_lshlrev_b32_e32 v22, 1, v8
	ds_read_u16 v20, v22
	v_lshlrev_b32_sdwa v8, s37, v2 dst_sel:DWORD dst_unused:UNUSED_PAD src0_sel:DWORD src1_sel:BYTE_1
	v_lshrrev_b32_e32 v9, 21, v8
	v_and_or_b32 v9, v9, s33, v0
	v_alignbit_b32 v8, v9, v8, 31
	s_waitcnt lgkmcnt(0)
	v_add_u16_e32 v9, 1, v20
	ds_write_b16 v22, v9
	v_lshlrev_b32_e32 v24, 1, v8
	ds_read_u16 v21, v24
	v_lshlrev_b32_sdwa v8, s37, v2 dst_sel:DWORD dst_unused:UNUSED_PAD src0_sel:DWORD src1_sel:BYTE_2
	v_lshrrev_b32_e32 v9, 21, v8
	v_and_or_b32 v9, v9, s33, v0
	v_alignbit_b32 v8, v9, v8, 31
	s_waitcnt lgkmcnt(0)
	v_add_u16_e32 v10, 1, v21
	ds_write_b16 v24, v10
	v_lshlrev_b32_e32 v26, 1, v8
	ds_read_u16 v23, v26
	v_lshlrev_b32_sdwa v8, s37, v2 dst_sel:DWORD dst_unused:UNUSED_PAD src0_sel:DWORD src1_sel:BYTE_3
	v_lshrrev_b32_e32 v9, 21, v8
	v_and_or_b32 v9, v9, s33, v0
	v_alignbit_b32 v8, v9, v8, 31
	s_waitcnt lgkmcnt(0)
	v_add_u16_e32 v10, 1, v23
	ds_write_b16 v26, v10
	v_lshlrev_b32_e32 v28, 1, v8
	ds_read_u16 v25, v28
	v_lshlrev_b32_sdwa v8, s37, v3 dst_sel:DWORD dst_unused:UNUSED_PAD src0_sel:DWORD src1_sel:BYTE_0
	s_waitcnt lgkmcnt(0)
	v_add_u16_e32 v9, 1, v25
	ds_write_b16 v28, v9
	v_lshrrev_b32_e32 v9, 21, v8
	v_and_or_b32 v9, v9, s33, v0
	v_alignbit_b32 v8, v9, v8, 31
	v_lshlrev_b32_e32 v30, 1, v8
	ds_read_u16 v27, v30
	s_waitcnt lgkmcnt(0)
	v_add_u16_e32 v8, 1, v27
	ds_write_b16 v30, v8
	v_lshlrev_b32_sdwa v8, s37, v3 dst_sel:DWORD dst_unused:UNUSED_PAD src0_sel:DWORD src1_sel:BYTE_1
	v_lshrrev_b32_e32 v9, 21, v8
	v_and_or_b32 v9, v9, s33, v0
	v_alignbit_b32 v8, v9, v8, 31
	v_lshlrev_b32_e32 v32, 1, v8
	ds_read_u16 v29, v32
	s_waitcnt lgkmcnt(0)
	v_add_u16_e32 v8, 1, v29
	ds_write_b16 v32, v8
	v_lshlrev_b32_sdwa v8, s37, v3 dst_sel:DWORD dst_unused:UNUSED_PAD src0_sel:DWORD src1_sel:BYTE_2
	v_lshrrev_b32_e32 v9, 21, v8
	v_and_or_b32 v9, v9, s33, v0
	v_alignbit_b32 v8, v9, v8, 31
	v_lshlrev_b32_e32 v34, 1, v8
	ds_read_u16 v31, v34
	s_waitcnt lgkmcnt(0)
	v_add_u16_e32 v8, 1, v31
	ds_write_b16 v34, v8
	v_lshlrev_b32_sdwa v8, s37, v3 dst_sel:DWORD dst_unused:UNUSED_PAD src0_sel:DWORD src1_sel:BYTE_3
	v_lshrrev_b32_e32 v9, 21, v8
	v_and_or_b32 v9, v9, s33, v0
	v_alignbit_b32 v8, v9, v8, 31
	v_lshlrev_b32_e32 v36, 1, v8
	ds_read_u16 v33, v36
	s_waitcnt lgkmcnt(0)
	v_add_u16_e32 v8, 1, v33
	ds_write_b16 v36, v8
	v_lshlrev_b32_sdwa v8, s37, v4 dst_sel:DWORD dst_unused:UNUSED_PAD src0_sel:DWORD src1_sel:BYTE_0
	v_lshrrev_b32_e32 v9, 21, v8
	v_and_or_b32 v9, v9, s33, v0
	v_alignbit_b32 v8, v9, v8, 31
	v_lshlrev_b32_e32 v38, 1, v8
	ds_read_u16 v35, v38
	s_waitcnt lgkmcnt(0)
	v_add_u16_e32 v8, 1, v35
	ds_write_b16 v38, v8
	v_lshlrev_b32_sdwa v8, s37, v4 dst_sel:DWORD dst_unused:UNUSED_PAD src0_sel:DWORD src1_sel:BYTE_1
	v_lshrrev_b32_e32 v9, 21, v8
	v_and_or_b32 v9, v9, s33, v0
	v_alignbit_b32 v8, v9, v8, 31
	v_lshlrev_b32_e32 v40, 1, v8
	ds_read_u16 v37, v40
	s_waitcnt lgkmcnt(0)
	v_add_u16_e32 v8, 1, v37
	ds_write_b16 v40, v8
	v_lshlrev_b32_sdwa v8, s37, v4 dst_sel:DWORD dst_unused:UNUSED_PAD src0_sel:DWORD src1_sel:BYTE_2
	v_lshrrev_b32_e32 v9, 21, v8
	v_and_or_b32 v9, v9, s33, v0
	v_alignbit_b32 v8, v9, v8, 31
	v_lshlrev_b32_e32 v42, 1, v8
	ds_read_u16 v39, v42
	s_waitcnt lgkmcnt(0)
	v_add_u16_e32 v8, 1, v39
	ds_write_b16 v42, v8
	v_lshlrev_b32_sdwa v8, s37, v4 dst_sel:DWORD dst_unused:UNUSED_PAD src0_sel:DWORD src1_sel:BYTE_3
	v_lshrrev_b32_e32 v9, 21, v8
	v_and_or_b32 v9, v9, s33, v0
	v_alignbit_b32 v8, v9, v8, 31
	v_lshlrev_b32_e32 v44, 1, v8
	ds_read_u16 v41, v44
	s_waitcnt lgkmcnt(0)
	v_add_u16_e32 v8, 1, v41
	ds_write_b16 v44, v8
	v_lshlrev_b32_sdwa v8, s37, v5 dst_sel:DWORD dst_unused:UNUSED_PAD src0_sel:DWORD src1_sel:BYTE_0
	v_lshrrev_b32_e32 v9, 21, v8
	v_and_or_b32 v9, v9, s33, v0
	v_alignbit_b32 v8, v9, v8, 31
	v_lshlrev_b32_e32 v46, 1, v8
	ds_read_u16 v43, v46
	s_waitcnt lgkmcnt(0)
	v_add_u16_e32 v8, 1, v43
	ds_write_b16 v46, v8
	v_lshlrev_b32_sdwa v8, s37, v5 dst_sel:DWORD dst_unused:UNUSED_PAD src0_sel:DWORD src1_sel:BYTE_1
	v_lshrrev_b32_e32 v9, 21, v8
	v_and_or_b32 v9, v9, s33, v0
	v_alignbit_b32 v8, v9, v8, 31
	v_lshlrev_b32_e32 v48, 1, v8
	ds_read_u16 v45, v48
	s_waitcnt lgkmcnt(0)
	v_add_u16_e32 v8, 1, v45
	ds_write_b16 v48, v8
	v_lshlrev_b32_sdwa v8, s37, v5 dst_sel:DWORD dst_unused:UNUSED_PAD src0_sel:DWORD src1_sel:BYTE_2
	v_lshrrev_b32_e32 v9, 21, v8
	v_and_or_b32 v9, v9, s33, v0
	v_alignbit_b32 v8, v9, v8, 31
	v_lshlrev_b32_e32 v50, 1, v8
	ds_read_u16 v47, v50
	s_waitcnt lgkmcnt(0)
	v_add_u16_e32 v8, 1, v47
	ds_write_b16 v50, v8
	v_lshlrev_b32_sdwa v8, s37, v5 dst_sel:DWORD dst_unused:UNUSED_PAD src0_sel:DWORD src1_sel:BYTE_3
	v_lshrrev_b32_e32 v9, 21, v8
	v_and_or_b32 v9, v9, s33, v0
	v_alignbit_b32 v8, v9, v8, 31
	v_lshlrev_b32_e32 v51, 1, v8
	ds_read_u16 v49, v51
	s_waitcnt lgkmcnt(0)
	v_add_u16_e32 v8, 1, v49
	ds_write_b16 v51, v8
	s_waitcnt lgkmcnt(0)
	s_barrier
	ds_read2_b32 v[14:15], v16 offset1:1
	ds_read2_b32 v[12:13], v16 offset0:2 offset1:3
	ds_read2_b32 v[10:11], v16 offset0:4 offset1:5
	;; [unrolled: 1-line block ×3, first 2 shown]
	s_waitcnt lgkmcnt(3)
	v_add_u32_e32 v52, v15, v14
	s_waitcnt lgkmcnt(2)
	v_add3_u32 v52, v52, v12, v13
	s_waitcnt lgkmcnt(1)
	v_add3_u32 v52, v52, v10, v11
	s_waitcnt lgkmcnt(0)
	v_add3_u32 v9, v52, v8, v9
	s_nop 1
	v_mov_b32_dpp v52, v9 row_shr:1 row_mask:0xf bank_mask:0xf
	v_cndmask_b32_e64 v52, v52, 0, s[0:1]
	v_add_u32_e32 v9, v52, v9
	s_nop 1
	v_mov_b32_dpp v52, v9 row_shr:2 row_mask:0xf bank_mask:0xf
	v_cndmask_b32_e64 v52, 0, v52, s[2:3]
	v_add_u32_e32 v9, v9, v52
	;; [unrolled: 4-line block ×4, first 2 shown]
	s_nop 1
	v_mov_b32_dpp v52, v9 row_bcast:15 row_mask:0xf bank_mask:0xf
	v_cndmask_b32_e64 v52, v52, 0, s[8:9]
	v_add_u32_e32 v9, v9, v52
	s_nop 1
	v_mov_b32_dpp v52, v9 row_bcast:31 row_mask:0xf bank_mask:0xf
	v_cndmask_b32_e64 v52, 0, v52, s[10:11]
	v_add_u32_e32 v9, v9, v52
	s_and_saveexec_b64 s[28:29], s[12:13]
	s_cbranch_execz .LBB55_12
; %bb.11:                               ;   in Loop: Header=BB55_4 Depth=2
	ds_write_b32 v18, v9 offset:4096
.LBB55_12:                              ;   in Loop: Header=BB55_4 Depth=2
	s_or_b64 exec, exec, s[28:29]
	s_waitcnt lgkmcnt(0)
	s_barrier
	s_and_saveexec_b64 s[28:29], s[14:15]
	s_cbranch_execz .LBB55_14
; %bb.13:                               ;   in Loop: Header=BB55_4 Depth=2
	ds_read_b32 v52, v19 offset:4096
	s_waitcnt lgkmcnt(0)
	s_nop 0
	v_mov_b32_dpp v53, v52 row_shr:1 row_mask:0xf bank_mask:0xf
	v_cndmask_b32_e64 v53, v53, 0, s[20:21]
	v_add_u32_e32 v52, v53, v52
	ds_write_b32 v19, v52 offset:4096
.LBB55_14:                              ;   in Loop: Header=BB55_4 Depth=2
	s_or_b64 exec, exec, s[28:29]
	v_mov_b32_e32 v52, 0
	s_waitcnt lgkmcnt(0)
	s_barrier
	s_and_saveexec_b64 s[28:29], s[16:17]
	s_cbranch_execz .LBB55_3
; %bb.15:                               ;   in Loop: Header=BB55_4 Depth=2
	ds_read_b32 v52, v18 offset:4092
	s_branch .LBB55_3
.LBB55_16:
	ds_read_u16 v0, v51
	ds_read_u16 v1, v50
	ds_read_u16 v4, v48
	ds_read_u16 v5, v46
	ds_read_u16 v7, v44
	ds_read_u16 v8, v42
	ds_read_u16 v9, v40
	ds_read_u16 v12, v38
	ds_read_u16 v13, v36
	ds_read_u16 v14, v34
	ds_read_u16 v16, v32
	ds_read_u16 v17, v30
	ds_read_u16 v18, v28
	ds_read_u16 v26, v26
	ds_read_u16 v24, v24
	ds_read_u16 v22, v22
	s_lshl_b64 s[0:1], s[24:25], 2
	s_add_u32 s0, s22, s0
	s_waitcnt lgkmcnt(14)
	v_add_u32_sdwa v2, v1, v47 dst_sel:DWORD dst_unused:UNUSED_PAD src0_sel:DWORD src1_sel:WORD_0
	s_waitcnt lgkmcnt(13)
	v_add_u32_sdwa v1, v4, v45 dst_sel:DWORD dst_unused:UNUSED_PAD src0_sel:DWORD src1_sel:WORD_0
	;; [unrolled: 2-line block ×11, first 2 shown]
	s_addc_u32 s1, s23, s1
	v_lshlrev_b32_e32 v4, 2, v6
	v_add_u32_sdwa v3, v0, v49 dst_sel:DWORD dst_unused:UNUSED_PAD src0_sel:DWORD src1_sel:WORD_0
	v_add_u32_sdwa v0, v5, v43 dst_sel:DWORD dst_unused:UNUSED_PAD src0_sel:DWORD src1_sel:WORD_0
	;; [unrolled: 1-line block ×5, first 2 shown]
	global_store_dwordx4 v4, v[16:19], s[0:1]
	global_store_dwordx4 v4, v[12:15], s[0:1] offset:16
	global_store_dwordx4 v4, v[8:11], s[0:1] offset:32
	;; [unrolled: 1-line block ×3, first 2 shown]
	s_endpgm
	.section	.rodata,"a",@progbits
	.p2align	6, 0x0
	.amdhsa_kernel _Z11rank_kernelIhLj4ELb0EL18RadixRankAlgorithm1ELj128ELj16ELj10EEvPKT_Pi
		.amdhsa_group_segment_fixed_size 4104
		.amdhsa_private_segment_fixed_size 0
		.amdhsa_kernarg_size 16
		.amdhsa_user_sgpr_count 6
		.amdhsa_user_sgpr_private_segment_buffer 1
		.amdhsa_user_sgpr_dispatch_ptr 0
		.amdhsa_user_sgpr_queue_ptr 0
		.amdhsa_user_sgpr_kernarg_segment_ptr 1
		.amdhsa_user_sgpr_dispatch_id 0
		.amdhsa_user_sgpr_flat_scratch_init 0
		.amdhsa_user_sgpr_kernarg_preload_length 0
		.amdhsa_user_sgpr_kernarg_preload_offset 0
		.amdhsa_user_sgpr_private_segment_size 0
		.amdhsa_uses_dynamic_stack 0
		.amdhsa_system_sgpr_private_segment_wavefront_offset 0
		.amdhsa_system_sgpr_workgroup_id_x 1
		.amdhsa_system_sgpr_workgroup_id_y 0
		.amdhsa_system_sgpr_workgroup_id_z 0
		.amdhsa_system_sgpr_workgroup_info 0
		.amdhsa_system_vgpr_workitem_id 0
		.amdhsa_next_free_vgpr 54
		.amdhsa_next_free_sgpr 42
		.amdhsa_accum_offset 56
		.amdhsa_reserve_vcc 1
		.amdhsa_reserve_flat_scratch 0
		.amdhsa_float_round_mode_32 0
		.amdhsa_float_round_mode_16_64 0
		.amdhsa_float_denorm_mode_32 3
		.amdhsa_float_denorm_mode_16_64 3
		.amdhsa_dx10_clamp 1
		.amdhsa_ieee_mode 1
		.amdhsa_fp16_overflow 0
		.amdhsa_tg_split 0
		.amdhsa_exception_fp_ieee_invalid_op 0
		.amdhsa_exception_fp_denorm_src 0
		.amdhsa_exception_fp_ieee_div_zero 0
		.amdhsa_exception_fp_ieee_overflow 0
		.amdhsa_exception_fp_ieee_underflow 0
		.amdhsa_exception_fp_ieee_inexact 0
		.amdhsa_exception_int_div_zero 0
	.end_amdhsa_kernel
	.section	.text._Z11rank_kernelIhLj4ELb0EL18RadixRankAlgorithm1ELj128ELj16ELj10EEvPKT_Pi,"axG",@progbits,_Z11rank_kernelIhLj4ELb0EL18RadixRankAlgorithm1ELj128ELj16ELj10EEvPKT_Pi,comdat
.Lfunc_end55:
	.size	_Z11rank_kernelIhLj4ELb0EL18RadixRankAlgorithm1ELj128ELj16ELj10EEvPKT_Pi, .Lfunc_end55-_Z11rank_kernelIhLj4ELb0EL18RadixRankAlgorithm1ELj128ELj16ELj10EEvPKT_Pi
                                        ; -- End function
	.section	.AMDGPU.csdata,"",@progbits
; Kernel info:
; codeLenInByte = 2116
; NumSgprs: 46
; NumVgprs: 54
; NumAgprs: 0
; TotalNumVgprs: 54
; ScratchSize: 0
; MemoryBound: 0
; FloatMode: 240
; IeeeMode: 1
; LDSByteSize: 4104 bytes/workgroup (compile time only)
; SGPRBlocks: 5
; VGPRBlocks: 6
; NumSGPRsForWavesPerEU: 46
; NumVGPRsForWavesPerEU: 54
; AccumOffset: 56
; Occupancy: 8
; WaveLimiterHint : 0
; COMPUTE_PGM_RSRC2:SCRATCH_EN: 0
; COMPUTE_PGM_RSRC2:USER_SGPR: 6
; COMPUTE_PGM_RSRC2:TRAP_HANDLER: 0
; COMPUTE_PGM_RSRC2:TGID_X_EN: 1
; COMPUTE_PGM_RSRC2:TGID_Y_EN: 0
; COMPUTE_PGM_RSRC2:TGID_Z_EN: 0
; COMPUTE_PGM_RSRC2:TIDIG_COMP_CNT: 0
; COMPUTE_PGM_RSRC3_GFX90A:ACCUM_OFFSET: 13
; COMPUTE_PGM_RSRC3_GFX90A:TG_SPLIT: 0
	.section	.text._Z11rank_kernelIhLj4ELb0EL18RadixRankAlgorithm2ELj128ELj16ELj10EEvPKT_Pi,"axG",@progbits,_Z11rank_kernelIhLj4ELb0EL18RadixRankAlgorithm2ELj128ELj16ELj10EEvPKT_Pi,comdat
	.protected	_Z11rank_kernelIhLj4ELb0EL18RadixRankAlgorithm2ELj128ELj16ELj10EEvPKT_Pi ; -- Begin function _Z11rank_kernelIhLj4ELb0EL18RadixRankAlgorithm2ELj128ELj16ELj10EEvPKT_Pi
	.globl	_Z11rank_kernelIhLj4ELb0EL18RadixRankAlgorithm2ELj128ELj16ELj10EEvPKT_Pi
	.p2align	8
	.type	_Z11rank_kernelIhLj4ELb0EL18RadixRankAlgorithm2ELj128ELj16ELj10EEvPKT_Pi,@function
_Z11rank_kernelIhLj4ELb0EL18RadixRankAlgorithm2ELj128ELj16ELj10EEvPKT_Pi: ; @_Z11rank_kernelIhLj4ELb0EL18RadixRankAlgorithm2ELj128ELj16ELj10EEvPKT_Pi
; %bb.0:
	s_load_dwordx4 s[8:11], s[4:5], 0x0
	s_load_dword s0, s[4:5], 0x1c
	s_lshl_b32 s4, s6, 11
	v_and_b32_e32 v28, 0x3ff, v0
	v_lshlrev_b32_e32 v2, 4, v28
	s_waitcnt lgkmcnt(0)
	s_add_u32 s2, s8, s4
	s_addc_u32 s3, s9, 0
	v_accvgpr_write_b32 a0, v2
	global_load_dwordx4 v[2:5], v2, s[2:3]
	v_mbcnt_lo_u32_b32 v1, -1, 0
	v_mbcnt_hi_u32_b32 v1, -1, v1
	s_mov_b64 s[6:7], s[10:11]
                                        ; implicit-def: $vgpr253 : SGPR spill to VGPR lane
	v_bfe_u32 v6, v0, 10, 10
	v_bfe_u32 v0, v0, 20, 10
	v_add_u32_e32 v9, -1, v1
	v_and_b32_e32 v10, 64, v1
	s_lshr_b32 s1, s0, 16
	v_writelane_b32 v253, s4, 0
	v_cmp_lt_i32_e32 vcc, v9, v10
	s_and_b32 s0, s0, 0xffff
	v_mad_u32_u24 v0, v0, s1, v6
	v_writelane_b32 v253, s5, 1
	v_lshrrev_b32_e32 v12, 4, v28
	v_cndmask_b32_e32 v9, v9, v1, vcc
	v_mad_u64_u32 v[14:15], s[0:1], v0, s0, v[28:29]
	v_writelane_b32 v253, s6, 2
	v_and_b32_e32 v10, 4, v12
	v_lshlrev_b32_e32 v9, 2, v9
	v_writelane_b32 v253, s7, 3
	s_mov_b32 s5, 0
	v_accvgpr_write_b32 a2, v9
	v_add_u32_e32 v9, -4, v10
	v_writelane_b32 v253, s4, 4
	v_mov_b32_e32 v8, 0
	v_accvgpr_write_b32 a3, v9
	v_writelane_b32 v253, s5, 5
	v_lshrrev_b32_e32 v21, 6, v14
	v_accvgpr_write_b32 a1, v10
	v_mov_b32_e32 v46, 30
	v_mov_b32_e32 v48, 29
	;; [unrolled: 1-line block ×3, first 2 shown]
                                        ; implicit-def: $vgpr254 : SGPR spill to VGPR lane
                                        ; implicit-def: $vgpr255 : SGPR spill to VGPR lane
	v_or_b32_e32 v23, 63, v28
	v_lshlrev_b32_e32 v193, 2, v28
	v_cmp_gt_u32_e64 s[2:3], 2, v28
	v_cmp_lt_u32_e64 s[4:5], 63, v28
	v_and_b32_e32 v13, 15, v1
	v_and_b32_e32 v7, 16, v1
	;; [unrolled: 1-line block ×3, first 2 shown]
	v_cmp_lt_u32_e64 s[16:17], 31, v1
	v_cmp_eq_u32_e64 s[88:89], 0, v1
	v_cmp_eq_u32_e64 s[6:7], 0, v13
	v_cmp_lt_u32_e64 s[8:9], 1, v13
	v_cmp_lt_u32_e64 s[10:11], 3, v13
	;; [unrolled: 1-line block ×3, first 2 shown]
	v_cmp_eq_u32_e64 s[14:15], 0, v7
	v_cmp_eq_u32_e64 s[18:19], 0, v11
	s_mov_b32 s33, 10
	s_waitcnt vmcnt(0)
	v_and_b32_e32 v15, 1, v2
	v_add_co_u32_e32 v24, vcc, -1, v15
	v_lshlrev_b32_e32 v9, 30, v2
	v_accvgpr_write_b32 a4, v24
	v_addc_co_u32_e64 v24, s[0:1], 0, -1, vcc
	v_bfe_u32 v18, v2, 8, 1
	v_cmp_gt_i64_e64 s[0:1], 0, v[8:9]
	v_writelane_b32 v253, s0, 6
	v_add_co_u32_e32 v18, vcc, -1, v18
	v_and_b32_e32 v14, 15, v2
	v_bfe_u32 v20, v2, 16, 4
	v_bfe_u32 v22, v2, 16, 1
	v_writelane_b32 v253, s1, 7
	v_accvgpr_write_b32 a6, v18
	v_addc_co_u32_e64 v18, s[0:1], 0, -1, vcc
	v_bfe_u32 v16, v2, 8, 4
	v_mul_u32_u24_e32 v14, 3, v14
	v_accvgpr_write_b32 a7, v18
	v_mul_u32_u24_e32 v18, 3, v20
	v_add_co_u32_e32 v20, vcc, -1, v22
	v_accvgpr_write_b32 a5, v24
	v_not_b32_e32 v24, v9
	v_lshlrev_b32_e32 v9, 29, v2
	v_mul_u32_u24_e32 v16, 3, v16
	v_accvgpr_write_b32 a8, v20
	v_addc_co_u32_e64 v20, s[0:1], 0, -1, vcc
	v_add_lshl_u32 v14, v21, v14, 2
	v_accvgpr_write_b32 a9, v20
	v_ashrrev_i32_e32 v20, 31, v24
	v_cmp_gt_i64_e64 s[0:1], 0, v[8:9]
	v_accvgpr_write_b32 a11, v14
	v_add_lshl_u32 v14, v21, v16, 2
	v_accvgpr_write_b32 a10, v20
	v_writelane_b32 v253, s0, 8
	v_not_b32_e32 v20, v9
	v_lshlrev_b32_e32 v9, 28, v2
	v_accvgpr_write_b32 a12, v14
	v_add_lshl_u32 v14, v21, v18, 2
	v_lshrrev_b32_e32 v10, 8, v2
	v_writelane_b32 v253, s1, 9
	v_accvgpr_write_b32 a13, v14
	v_ashrrev_i32_e32 v14, 31, v20
	v_cmp_gt_i64_e64 s[0:1], 0, v[8:9]
	v_accvgpr_write_b32 a14, v14
	v_writelane_b32 v253, s0, 10
	v_not_b32_e32 v14, v9
	v_lshlrev_b32_e32 v9, 30, v10
	v_writelane_b32 v253, s1, 11
	v_ashrrev_i32_e32 v14, 31, v14
	v_cmp_gt_i64_e64 s[0:1], 0, v[8:9]
	v_accvgpr_write_b32 a16, v14
	v_writelane_b32 v253, s0, 12
	v_not_b32_e32 v14, v9
	v_lshlrev_b32_e32 v9, 29, v10
	v_writelane_b32 v253, s1, 13
	v_ashrrev_i32_e32 v14, 31, v14
	v_cmp_gt_i64_e64 s[0:1], 0, v[8:9]
	v_accvgpr_write_b32 a18, v14
	v_writelane_b32 v253, s0, 14
	v_not_b32_e32 v14, v9
	v_lshlrev_b32_e32 v9, 28, v10
	v_writelane_b32 v253, s1, 15
	v_cmp_gt_i64_e64 s[0:1], 0, v[8:9]
	v_writelane_b32 v253, s0, 16
	v_not_b32_e32 v10, v9
	v_lshlrev_b32_sdwa v9, v46, v2 dst_sel:DWORD dst_unused:UNUSED_PAD src0_sel:DWORD src1_sel:WORD_1
	v_writelane_b32 v253, s1, 17
	v_ashrrev_i32_e32 v10, 31, v10
	v_cmp_gt_i64_e64 s[0:1], 0, v[8:9]
	v_accvgpr_write_b32 a22, v10
	v_writelane_b32 v253, s0, 18
	v_not_b32_e32 v10, v9
	v_lshlrev_b32_sdwa v9, v48, v2 dst_sel:DWORD dst_unused:UNUSED_PAD src0_sel:DWORD src1_sel:WORD_1
	v_writelane_b32 v253, s1, 19
	v_ashrrev_i32_e32 v10, 31, v10
	v_cmp_gt_i64_e64 s[0:1], 0, v[8:9]
	v_not_b32_e32 v9, v9
	v_accvgpr_write_b32 a24, v10
	v_writelane_b32 v253, s0, 20
	v_ashrrev_i32_e32 v10, 31, v9
	v_lshlrev_b32_sdwa v9, v54, v2 dst_sel:DWORD dst_unused:UNUSED_PAD src0_sel:DWORD src1_sel:WORD_1
	v_writelane_b32 v253, s1, 21
	v_cmp_gt_i64_e64 s[0:1], 0, v[8:9]
	v_not_b32_e32 v9, v9
	v_accvgpr_write_b32 a26, v10
	v_ashrrev_i32_e32 v10, 31, v9
	v_bfe_u32 v9, v2, 24, 4
	v_mul_u32_u24_e32 v9, 3, v9
	v_add_lshl_u32 v9, v21, v9, 2
	v_accvgpr_write_b32 a15, v9
	v_bfe_u32 v9, v2, 24, 1
	v_writelane_b32 v253, s0, 22
	v_add_co_u32_e32 v9, vcc, -1, v9
	v_writelane_b32 v253, s1, 23
	v_accvgpr_write_b32 a17, v9
	v_addc_co_u32_e64 v9, s[0:1], 0, -1, vcc
	v_accvgpr_write_b32 a19, v9
	v_lshlrev_b32_sdwa v9, v46, v2 dst_sel:DWORD dst_unused:UNUSED_PAD src0_sel:DWORD src1_sel:BYTE_3
	v_cmp_gt_i64_e64 s[0:1], 0, v[8:9]
	v_not_b32_e32 v9, v9
	v_accvgpr_write_b32 a28, v10
	v_writelane_b32 v253, s0, 24
	v_ashrrev_i32_e32 v10, 31, v9
	v_lshlrev_b32_sdwa v9, v48, v2 dst_sel:DWORD dst_unused:UNUSED_PAD src0_sel:DWORD src1_sel:BYTE_3
	v_writelane_b32 v253, s1, 25
	v_cmp_gt_i64_e64 s[0:1], 0, v[8:9]
	v_writelane_b32 v253, s0, 26
	v_not_b32_e32 v29, v9
	v_lshlrev_b32_sdwa v9, v54, v2 dst_sel:DWORD dst_unused:UNUSED_PAD src0_sel:DWORD src1_sel:BYTE_3
	v_writelane_b32 v253, s1, 27
	v_cmp_gt_i64_e64 s[0:1], 0, v[8:9]
	v_and_b32_e32 v27, 1, v3
	v_writelane_b32 v253, s0, 28
	v_not_b32_e32 v30, v9
	v_add_co_u32_e32 v9, vcc, -1, v27
	v_writelane_b32 v253, s1, 29
	v_accvgpr_write_b32 a21, v9
	v_addc_co_u32_e64 v9, s[0:1], 0, -1, vcc
	v_accvgpr_write_b32 a23, v9
	v_lshlrev_b32_e32 v9, 30, v3
	v_cmp_gt_i64_e64 s[0:1], 0, v[8:9]
	v_writelane_b32 v253, s0, 30
	v_not_b32_e32 v32, v9
	v_lshlrev_b32_e32 v9, 29, v3
	v_writelane_b32 v253, s1, 31
	v_cmp_gt_i64_e64 s[0:1], 0, v[8:9]
	v_writelane_b32 v253, s0, 32
	v_not_b32_e32 v34, v9
	v_lshlrev_b32_e32 v9, 28, v3
	v_writelane_b32 v253, s1, 33
	v_cmp_gt_i64_e64 s[0:1], 0, v[8:9]
	v_not_b32_e32 v36, v9
	v_bfe_u32 v9, v3, 8, 1
	v_writelane_b32 v253, s0, 34
	v_add_co_u32_e32 v9, vcc, -1, v9
	v_lshrrev_b32_e32 v12, 8, v3
	v_writelane_b32 v253, s1, 35
	v_accvgpr_write_b32 a25, v9
	v_addc_co_u32_e64 v9, s[0:1], 0, -1, vcc
	v_accvgpr_write_b32 a27, v9
	v_lshlrev_b32_e32 v9, 30, v12
	v_cmp_gt_i64_e64 s[0:1], 0, v[8:9]
	v_writelane_b32 v253, s0, 36
	v_not_b32_e32 v40, v9
	v_lshlrev_b32_e32 v9, 29, v12
	v_writelane_b32 v253, s1, 37
	v_cmp_gt_i64_e64 s[0:1], 0, v[8:9]
	v_writelane_b32 v253, s0, 38
	v_not_b32_e32 v35, v9
	v_lshlrev_b32_e32 v9, 28, v12
	v_writelane_b32 v253, s1, 39
	v_cmp_gt_i64_e64 s[0:1], 0, v[8:9]
	v_not_b32_e32 v39, v9
	v_bfe_u32 v9, v3, 16, 1
	v_writelane_b32 v253, s0, 40
	v_add_co_u32_e32 v9, vcc, -1, v9
	v_writelane_b32 v253, s1, 41
	v_accvgpr_write_b32 a29, v9
	v_addc_co_u32_e64 v217, s[0:1], 0, -1, vcc
	v_lshlrev_b32_sdwa v9, v46, v3 dst_sel:DWORD dst_unused:UNUSED_PAD src0_sel:DWORD src1_sel:WORD_1
	v_cmp_gt_i64_e64 s[0:1], 0, v[8:9]
	v_writelane_b32 v253, s0, 42
	v_not_b32_e32 v41, v9
	v_lshlrev_b32_sdwa v9, v48, v3 dst_sel:DWORD dst_unused:UNUSED_PAD src0_sel:DWORD src1_sel:WORD_1
	v_writelane_b32 v253, s1, 43
	v_cmp_gt_i64_e64 s[0:1], 0, v[8:9]
	v_writelane_b32 v253, s0, 44
	v_not_b32_e32 v43, v9
	v_lshlrev_b32_sdwa v9, v54, v3 dst_sel:DWORD dst_unused:UNUSED_PAD src0_sel:DWORD src1_sel:WORD_1
	v_writelane_b32 v253, s1, 45
	v_cmp_gt_i64_e64 s[0:1], 0, v[8:9]
	v_not_b32_e32 v47, v9
	v_bfe_u32 v9, v3, 24, 1
	v_writelane_b32 v253, s0, 46
	v_add_co_u32_e32 v218, vcc, -1, v9
	v_writelane_b32 v253, s1, 47
	v_addc_co_u32_e64 v219, s[0:1], 0, -1, vcc
	v_lshlrev_b32_sdwa v9, v46, v3 dst_sel:DWORD dst_unused:UNUSED_PAD src0_sel:DWORD src1_sel:BYTE_3
	v_cmp_gt_i64_e64 s[0:1], 0, v[8:9]
	v_writelane_b32 v253, s0, 48
	v_not_b32_e32 v49, v9
	v_lshlrev_b32_sdwa v9, v48, v3 dst_sel:DWORD dst_unused:UNUSED_PAD src0_sel:DWORD src1_sel:BYTE_3
	v_writelane_b32 v253, s1, 49
	v_cmp_gt_i64_e64 s[0:1], 0, v[8:9]
	v_writelane_b32 v253, s0, 50
	v_not_b32_e32 v51, v9
	v_lshlrev_b32_sdwa v9, v54, v3 dst_sel:DWORD dst_unused:UNUSED_PAD src0_sel:DWORD src1_sel:BYTE_3
	v_writelane_b32 v253, s1, 51
	v_cmp_gt_i64_e64 s[0:1], 0, v[8:9]
	v_and_b32_e32 v53, 1, v4
	v_writelane_b32 v253, s0, 52
	v_add_co_u32_e32 v220, vcc, -1, v53
	v_writelane_b32 v253, s1, 53
	v_not_b32_e32 v55, v9
	v_addc_co_u32_e64 v221, s[0:1], 0, -1, vcc
	v_lshlrev_b32_e32 v9, 30, v4
	v_cmp_gt_i64_e64 s[0:1], 0, v[8:9]
	v_writelane_b32 v253, s0, 54
	v_not_b32_e32 v57, v9
	v_lshlrev_b32_e32 v9, 29, v4
	v_writelane_b32 v253, s1, 55
	v_cmp_gt_i64_e64 s[0:1], 0, v[8:9]
	v_writelane_b32 v253, s0, 56
	v_not_b32_e32 v59, v9
	v_lshlrev_b32_e32 v9, 28, v4
	v_writelane_b32 v253, s1, 57
	v_cmp_gt_i64_e64 s[0:1], 0, v[8:9]
	v_not_b32_e32 v61, v9
	v_bfe_u32 v9, v4, 8, 1
	v_lshrrev_b32_e32 v6, 8, v4
	v_writelane_b32 v253, s0, 58
	v_add_co_u32_e32 v222, vcc, -1, v9
	v_writelane_b32 v253, s1, 59
	v_addc_co_u32_e64 v223, s[0:1], 0, -1, vcc
	v_lshlrev_b32_e32 v9, 30, v6
	v_cmp_gt_i64_e64 s[0:1], 0, v[8:9]
	v_writelane_b32 v253, s0, 60
	v_not_b32_e32 v63, v9
	v_lshlrev_b32_e32 v9, 29, v6
	v_writelane_b32 v253, s1, 61
	v_cmp_gt_i64_e64 s[0:1], 0, v[8:9]
	v_writelane_b32 v253, s0, 62
	v_not_b32_e32 v168, v9
	v_lshlrev_b32_e32 v9, 28, v6
	v_writelane_b32 v253, s1, 63
	v_cmp_gt_i64_e64 s[0:1], 0, v[8:9]
	v_bfe_u32 v6, v4, 16, 1
	v_writelane_b32 v254, s0, 0
	v_add_co_u32_e32 v224, vcc, -1, v6
	v_writelane_b32 v254, s1, 1
	v_not_b32_e32 v65, v9
	v_addc_co_u32_e64 v225, s[0:1], 0, -1, vcc
	v_lshlrev_b32_sdwa v9, v46, v4 dst_sel:DWORD dst_unused:UNUSED_PAD src0_sel:DWORD src1_sel:WORD_1
	v_cmp_gt_i64_e64 s[0:1], 0, v[8:9]
	v_writelane_b32 v254, s0, 2
	v_not_b32_e32 v67, v9
	v_lshlrev_b32_sdwa v9, v48, v4 dst_sel:DWORD dst_unused:UNUSED_PAD src0_sel:DWORD src1_sel:WORD_1
	v_writelane_b32 v254, s1, 3
	v_cmp_gt_i64_e64 s[0:1], 0, v[8:9]
	v_writelane_b32 v254, s0, 4
	v_not_b32_e32 v170, v9
	v_lshlrev_b32_sdwa v9, v54, v4 dst_sel:DWORD dst_unused:UNUSED_PAD src0_sel:DWORD src1_sel:WORD_1
	v_writelane_b32 v254, s1, 5
	v_cmp_gt_i64_e64 s[0:1], 0, v[8:9]
	v_bfe_u32 v6, v4, 24, 1
	v_writelane_b32 v254, s0, 6
	v_add_co_u32_e32 v226, vcc, -1, v6
	v_writelane_b32 v254, s1, 7
	v_not_b32_e32 v68, v9
	v_addc_co_u32_e64 v227, s[0:1], 0, -1, vcc
	v_lshlrev_b32_sdwa v9, v46, v4 dst_sel:DWORD dst_unused:UNUSED_PAD src0_sel:DWORD src1_sel:BYTE_3
	v_cmp_gt_i64_e64 s[0:1], 0, v[8:9]
	v_writelane_b32 v254, s0, 8
	v_not_b32_e32 v71, v9
	v_lshlrev_b32_sdwa v9, v48, v4 dst_sel:DWORD dst_unused:UNUSED_PAD src0_sel:DWORD src1_sel:BYTE_3
	v_writelane_b32 v254, s1, 9
	v_cmp_gt_i64_e64 s[0:1], 0, v[8:9]
	v_writelane_b32 v254, s0, 10
	v_not_b32_e32 v171, v9
	v_lshlrev_b32_sdwa v9, v54, v4 dst_sel:DWORD dst_unused:UNUSED_PAD src0_sel:DWORD src1_sel:BYTE_3
	v_writelane_b32 v254, s1, 11
	v_cmp_gt_i64_e64 s[0:1], 0, v[8:9]
	v_and_b32_e32 v175, 1, v5
	v_writelane_b32 v254, s0, 12
	v_add_co_u32_e32 v228, vcc, -1, v175
	v_writelane_b32 v254, s1, 13
	v_not_b32_e32 v70, v9
	v_addc_co_u32_e64 v229, s[0:1], 0, -1, vcc
	v_lshlrev_b32_e32 v9, 30, v5
	v_cmp_gt_i64_e64 s[0:1], 0, v[8:9]
	v_writelane_b32 v254, s0, 14
	v_not_b32_e32 v72, v9
	v_lshlrev_b32_e32 v9, 29, v5
	v_writelane_b32 v254, s1, 15
	v_cmp_gt_i64_e64 s[0:1], 0, v[8:9]
	v_writelane_b32 v254, s0, 16
	v_not_b32_e32 v73, v9
	v_lshlrev_b32_e32 v9, 28, v5
	v_writelane_b32 v254, s1, 17
	v_cmp_gt_i64_e64 s[0:1], 0, v[8:9]
	v_bfe_u32 v6, v5, 8, 1
	v_lshrrev_b32_e32 v0, 8, v5
	v_writelane_b32 v254, s0, 18
	v_add_co_u32_e32 v230, vcc, -1, v6
	v_writelane_b32 v254, s1, 19
	v_not_b32_e32 v75, v9
	v_addc_co_u32_e64 v231, s[0:1], 0, -1, vcc
	v_lshlrev_b32_e32 v9, 30, v0
	v_cmp_gt_i64_e64 s[0:1], 0, v[8:9]
	v_writelane_b32 v254, s0, 20
	v_not_b32_e32 v77, v9
	v_lshlrev_b32_e32 v9, 29, v0
	v_writelane_b32 v254, s1, 21
	v_cmp_gt_i64_e64 s[0:1], 0, v[8:9]
	v_not_b32_e32 v79, v9
	v_lshlrev_b32_e32 v9, 28, v0
	v_bfe_u32 v0, v5, 16, 1
	v_writelane_b32 v254, s0, 22
	v_add_co_u32_e32 v232, vcc, -1, v0
	v_bfe_u32 v0, v5, 24, 1
	v_writelane_b32 v254, s1, 23
	v_addc_co_u32_e64 v233, s[0:1], 0, -1, vcc
	v_add_co_u32_e32 v234, vcc, -1, v0
	v_bfe_u32 v0, v2, 4, 1
	v_addc_co_u32_e64 v235, s[0:1], 0, -1, vcc
	v_add_co_u32_e32 v236, vcc, -1, v0
	v_bfe_u32 v0, v2, 12, 1
	;; [unrolled: 3-line block ×11, first 2 shown]
	v_accvgpr_write_b32 a30, v10
	v_addc_co_u32_e64 v199, s[0:1], 0, -1, vcc
	v_add_co_u32_e32 v195, vcc, -1, v0
	v_bfe_u32 v10, v4, 28, 1
	v_ashrrev_i32_e32 v216, 31, v14
	v_addc_co_u32_e64 v0, s[0:1], 0, -1, vcc
	v_add_co_u32_e32 v10, vcc, -1, v10
	v_bfe_u32 v14, v5, 4, 1
	v_addc_co_u32_e64 v12, s[0:1], 0, -1, vcc
	v_add_co_u32_e32 v14, vcc, -1, v14
	v_bfe_u32 v18, v5, 12, 1
	;; [unrolled: 3-line block ×4, first 2 shown]
	v_addc_co_u32_e64 v24, s[0:1], 0, -1, vcc
	v_add_co_u32_e32 v26, vcc, -1, v26
	v_addc_co_u32_e64 v207, s[0:1], 0, -1, vcc
	v_cmp_gt_i64_e64 s[0:1], 0, v[8:9]
	v_writelane_b32 v254, s0, 24
	v_not_b32_e32 v176, v9
	v_lshlrev_b32_sdwa v9, v46, v5 dst_sel:DWORD dst_unused:UNUSED_PAD src0_sel:DWORD src1_sel:WORD_1
	v_writelane_b32 v254, s1, 25
	v_cmp_gt_i64_e64 s[0:1], 0, v[8:9]
	v_not_b32_e32 v177, v9
	v_writelane_b32 v254, s0, 26
	v_lshlrev_b32_sdwa v9, v48, v5 dst_sel:DWORD dst_unused:UNUSED_PAD src0_sel:DWORD src1_sel:WORD_1
	v_writelane_b32 v254, s1, 27
	v_cmp_gt_i64_e64 s[0:1], 0, v[8:9]
	v_not_b32_e32 v178, v9
	v_writelane_b32 v254, s0, 28
	;; [unrolled: 5-line block ×3, first 2 shown]
	v_lshlrev_b32_sdwa v9, v46, v5 dst_sel:DWORD dst_unused:UNUSED_PAD src0_sel:DWORD src1_sel:BYTE_3
	v_writelane_b32 v254, s1, 31
	v_cmp_gt_i64_e64 s[0:1], 0, v[8:9]
	v_not_b32_e32 v180, v9
	v_writelane_b32 v254, s0, 32
	v_lshlrev_b32_sdwa v9, v48, v5 dst_sel:DWORD dst_unused:UNUSED_PAD src0_sel:DWORD src1_sel:BYTE_3
	v_writelane_b32 v254, s1, 33
	v_cmp_gt_i64_e64 s[0:1], 0, v[8:9]
	v_not_b32_e32 v182, v9
	v_writelane_b32 v254, s0, 34
	v_lshlrev_b32_sdwa v9, v54, v5 dst_sel:DWORD dst_unused:UNUSED_PAD src0_sel:DWORD src1_sel:BYTE_3
	v_writelane_b32 v254, s1, 35
	v_lshrrev_b32_e32 v48, 4, v2
	v_cmp_gt_i64_e64 s[0:1], 0, v[8:9]
	v_not_b32_e32 v183, v9
	v_writelane_b32 v254, s0, 36
	v_lshlrev_b32_e32 v9, 30, v48
	v_writelane_b32 v254, s1, 37
	v_cmp_gt_i64_e64 s[0:1], 0, v[8:9]
	v_not_b32_e32 v184, v9
	v_writelane_b32 v254, s0, 38
	v_lshlrev_b32_e32 v9, 29, v48
	v_writelane_b32 v254, s1, 39
	v_cmp_gt_i64_e64 s[0:1], 0, v[8:9]
	v_not_b32_e32 v186, v9
	v_writelane_b32 v254, s0, 40
	v_lshlrev_b32_e32 v9, 28, v48
	v_writelane_b32 v254, s1, 41
	v_lshrrev_b32_e32 v54, 12, v2
	v_cmp_gt_i64_e64 s[0:1], 0, v[8:9]
	v_not_b32_e32 v187, v9
	v_writelane_b32 v254, s0, 42
	v_lshlrev_b32_e32 v9, 30, v54
	v_writelane_b32 v254, s1, 43
	v_cmp_gt_i64_e64 s[0:1], 0, v[8:9]
	v_not_b32_e32 v188, v9
	v_writelane_b32 v254, s0, 44
	v_lshlrev_b32_e32 v9, 29, v54
	v_writelane_b32 v254, s1, 45
	v_cmp_gt_i64_e64 s[0:1], 0, v[8:9]
	v_not_b32_e32 v189, v9
	v_writelane_b32 v254, s0, 46
	v_lshlrev_b32_e32 v9, 28, v54
	;; [unrolled: 16-line block ×3, first 2 shown]
	v_writelane_b32 v254, s1, 53
	v_lshrrev_b32_e32 v128, 28, v2
	v_cmp_gt_i64_e64 s[0:1], 0, v[8:9]
	v_not_b32_e32 v87, v9
	v_writelane_b32 v254, s0, 54
	v_lshlrev_b32_e32 v9, 30, v128
	v_writelane_b32 v254, s1, 55
	v_cmp_gt_i64_e64 s[0:1], 0, v[8:9]
	v_not_b32_e32 v89, v9
	v_writelane_b32 v254, s0, 56
	v_lshlrev_b32_e32 v9, 29, v128
	v_writelane_b32 v254, s1, 57
	v_cmp_gt_i64_e64 s[0:1], 0, v[8:9]
	v_not_b32_e32 v91, v9
	v_writelane_b32 v254, s0, 58
	v_and_b32_e32 v9, 0xf0000000, v2
	v_and_b32_e32 v17, 0x100, v2
	;; [unrolled: 1-line block ×4, first 2 shown]
	v_bfe_u32 v46, v2, 4, 4
	v_and_b32_e32 v190, 16, v2
	v_bfe_u32 v48, v2, 12, 4
	v_and_b32_e32 v110, 0x1000, v2
	;; [unrolled: 2-line block ×3, first 2 shown]
	v_and_b32_e32 v114, 0x10000000, v2
	v_writelane_b32 v254, s1, 59
	v_lshrrev_b32_e32 v2, 4, v3
	v_cmp_gt_i64_e64 s[0:1], 0, v[8:9]
	v_not_b32_e32 v93, v9
	v_writelane_b32 v254, s0, 60
	v_lshlrev_b32_e32 v9, 30, v2
	v_writelane_b32 v254, s1, 61
	v_cmp_gt_i64_e64 s[0:1], 0, v[8:9]
	v_not_b32_e32 v95, v9
	v_writelane_b32 v254, s0, 62
	v_lshlrev_b32_e32 v9, 29, v2
	v_writelane_b32 v254, s1, 63
	v_cmp_gt_i64_e64 s[0:1], 0, v[8:9]
	v_not_b32_e32 v97, v9
	v_writelane_b32 v255, s0, 0
	v_lshlrev_b32_e32 v9, 28, v2
	v_writelane_b32 v255, s1, 1
	v_lshrrev_b32_e32 v2, 12, v3
	v_cmp_gt_i64_e64 s[0:1], 0, v[8:9]
	v_not_b32_e32 v99, v9
	v_writelane_b32 v255, s0, 2
	v_lshlrev_b32_e32 v9, 30, v2
	v_writelane_b32 v255, s1, 3
	v_cmp_gt_i64_e64 s[0:1], 0, v[8:9]
	v_not_b32_e32 v101, v9
	v_writelane_b32 v255, s0, 4
	v_lshlrev_b32_e32 v9, 29, v2
	v_writelane_b32 v255, s1, 5
	v_cmp_gt_i64_e64 s[0:1], 0, v[8:9]
	v_not_b32_e32 v103, v9
	v_writelane_b32 v255, s0, 6
	v_lshlrev_b32_e32 v9, 28, v2
	;; [unrolled: 16-line block ×3, first 2 shown]
	v_writelane_b32 v255, s1, 13
	v_lshrrev_b32_e32 v138, 28, v3
	v_cmp_gt_i64_e64 s[0:1], 0, v[8:9]
	v_not_b32_e32 v115, v9
	v_writelane_b32 v255, s0, 14
	v_lshlrev_b32_e32 v9, 30, v138
	v_writelane_b32 v255, s1, 15
	v_cmp_gt_i64_e64 s[0:1], 0, v[8:9]
	v_not_b32_e32 v117, v9
	v_writelane_b32 v255, s0, 16
	v_lshlrev_b32_e32 v9, 29, v138
	v_writelane_b32 v255, s1, 17
	v_cmp_gt_i64_e64 s[0:1], 0, v[8:9]
	v_not_b32_e32 v119, v9
	v_writelane_b32 v255, s0, 18
	v_and_b32_e32 v9, 0xf0000000, v3
	v_writelane_b32 v255, s1, 19
	v_lshrrev_b32_e32 v2, 4, v4
	v_cmp_gt_i64_e64 s[0:1], 0, v[8:9]
	v_and_b32_e32 v31, 15, v3
	v_bfe_u32 v38, v3, 8, 4
	v_and_b32_e32 v33, 0x100, v3
	v_bfe_u32 v42, v3, 16, 4
	;; [unrolled: 2-line block ×6, first 2 shown]
	v_and_b32_e32 v124, 0x100000, v3
	v_and_b32_e32 v126, 0x10000000, v3
	v_not_b32_e32 v3, v9
	v_writelane_b32 v255, s0, 20
	v_lshlrev_b32_e32 v9, 30, v2
	v_writelane_b32 v255, s1, 21
	v_cmp_gt_i64_e64 s[0:1], 0, v[8:9]
	v_not_b32_e32 v121, v9
	v_writelane_b32 v255, s0, 22
	v_lshlrev_b32_e32 v9, 29, v2
	v_writelane_b32 v255, s1, 23
	v_cmp_gt_i64_e64 s[0:1], 0, v[8:9]
	v_not_b32_e32 v123, v9
	v_writelane_b32 v255, s0, 24
	v_lshlrev_b32_e32 v9, 28, v2
	v_writelane_b32 v255, s1, 25
	v_lshrrev_b32_e32 v2, 12, v4
	v_cmp_gt_i64_e64 s[0:1], 0, v[8:9]
	v_not_b32_e32 v125, v9
	v_writelane_b32 v255, s0, 26
	v_lshlrev_b32_e32 v9, 30, v2
	v_writelane_b32 v255, s1, 27
	v_cmp_gt_i64_e64 s[0:1], 0, v[8:9]
	v_not_b32_e32 v127, v9
	v_writelane_b32 v255, s0, 28
	v_lshlrev_b32_e32 v9, 29, v2
	v_writelane_b32 v255, s1, 29
	v_cmp_gt_i64_e64 s[0:1], 0, v[8:9]
	v_not_b32_e32 v129, v9
	v_writelane_b32 v255, s0, 30
	v_lshlrev_b32_e32 v9, 28, v2
	v_writelane_b32 v255, s1, 31
	v_lshrrev_b32_e32 v2, 20, v4
	v_cmp_gt_i64_e64 s[0:1], 0, v[8:9]
	;; [unrolled: 16-line block ×3, first 2 shown]
	v_not_b32_e32 v137, v9
	v_writelane_b32 v255, s0, 38
	v_lshlrev_b32_e32 v9, 30, v150
	v_writelane_b32 v255, s1, 39
	v_cmp_gt_i64_e64 s[0:1], 0, v[8:9]
	v_not_b32_e32 v139, v9
	v_writelane_b32 v255, s0, 40
	v_lshlrev_b32_e32 v9, 29, v150
	v_writelane_b32 v255, s1, 41
	v_cmp_gt_i64_e64 s[0:1], 0, v[8:9]
	v_not_b32_e32 v141, v9
	v_writelane_b32 v255, s0, 42
	v_and_b32_e32 v9, 0xf0000000, v4
	v_writelane_b32 v255, s1, 43
	v_lshrrev_b32_e32 v2, 4, v5
	v_cmp_gt_i64_e64 s[0:1], 0, v[8:9]
	v_not_b32_e32 v143, v9
	v_writelane_b32 v255, s0, 44
	v_lshlrev_b32_e32 v9, 30, v2
	v_writelane_b32 v255, s1, 45
	v_cmp_gt_i64_e64 s[0:1], 0, v[8:9]
	v_not_b32_e32 v145, v9
	v_writelane_b32 v255, s0, 46
	v_lshlrev_b32_e32 v9, 29, v2
	v_writelane_b32 v255, s1, 47
	v_cmp_gt_i64_e64 s[0:1], 0, v[8:9]
	v_not_b32_e32 v147, v9
	v_writelane_b32 v255, s0, 48
	v_lshlrev_b32_e32 v9, 28, v2
	v_writelane_b32 v255, s1, 49
	v_lshrrev_b32_e32 v2, 12, v5
	v_cmp_gt_i64_e64 s[0:1], 0, v[8:9]
	v_not_b32_e32 v149, v9
	v_writelane_b32 v255, s0, 50
	v_lshlrev_b32_e32 v9, 30, v2
	v_writelane_b32 v255, s1, 51
	v_cmp_gt_i64_e64 s[0:1], 0, v[8:9]
	v_not_b32_e32 v151, v9
	v_writelane_b32 v255, s0, 52
	v_lshlrev_b32_e32 v9, 29, v2
	v_writelane_b32 v255, s1, 53
	v_cmp_gt_i64_e64 s[0:1], 0, v[8:9]
	v_not_b32_e32 v153, v9
	v_writelane_b32 v255, s0, 54
	v_lshlrev_b32_e32 v9, 28, v2
	;; [unrolled: 16-line block ×3, first 2 shown]
	v_writelane_b32 v255, s1, 61
	v_cmp_gt_i64_e64 s[0:1], 0, v[8:9]
	v_bfe_u32 v52, v4, 8, 4
	v_writelane_b32 v255, s0, 62
	v_bfe_u32 v56, v4, 16, 4
	v_writelane_b32 v255, s1, 63
	v_ashrrev_i32_e32 v2, 31, v29
	v_cmp_eq_u32_e64 s[0:1], v23, v28
	v_mul_u32_u24_e32 v23, 3, v52
	v_bfe_u32 v58, v4, 24, 4
	v_accvgpr_write_b32 a32, v2
	v_ashrrev_i32_e32 v2, 31, v30
	v_add_lshl_u32 v30, v21, v23, 2
	v_mul_u32_u24_e32 v23, 3, v56
	v_and_b32_e32 v173, 15, v5
	v_accvgpr_write_b32 a34, v2
	v_mul_u32_u24_e32 v2, 3, v31
	v_add_lshl_u32 v200, v21, v23, 2
	v_mul_u32_u24_e32 v23, 3, v58
	v_bfe_u32 v174, v5, 8, 4
	v_add_lshl_u32 v208, v21, v2, 2
	v_ashrrev_i32_e32 v2, 31, v32
	v_add_lshl_u32 v28, v21, v23, 2
	v_mul_u32_u24_e32 v23, 3, v173
	v_bfe_u32 v116, v5, 16, 4
	v_accvgpr_write_b32 a36, v2
	v_ashrrev_i32_e32 v2, 31, v34
	v_add_lshl_u32 v34, v21, v23, 2
	v_mul_u32_u24_e32 v23, 3, v174
	v_bfe_u32 v118, v5, 24, 4
	v_add_lshl_u32 v203, v21, v23, 2
	v_mul_u32_u24_e32 v23, 3, v116
	v_add_lshl_u32 v205, v21, v23, 2
	v_mul_u32_u24_e32 v23, 3, v118
	v_accvgpr_write_b32 a38, v2
	v_ashrrev_i32_e32 v2, 31, v36
	v_add_lshl_u32 v36, v21, v23, 2
	v_mul_u32_u24_e32 v23, 3, v46
	v_add_lshl_u32 v23, v21, v23, 2
	v_accvgpr_write_b32 a31, v23
	v_mul_u32_u24_e32 v23, 3, v48
	v_add_lshl_u32 v32, v21, v23, 2
	v_mul_u32_u24_e32 v23, 3, v54
	v_add_lshl_u32 v201, v21, v23, 2
	;; [unrolled: 2-line block ×4, first 2 shown]
	v_mul_u32_u24_e32 v23, 3, v134
	v_accvgpr_write_b32 a40, v2
	v_mul_u32_u24_e32 v2, 3, v38
	v_add_lshl_u32 v38, v21, v23, 2
	v_mul_u32_u24_e32 v23, 3, v136
	v_ashrrev_i32_e32 v60, 31, v35
	v_bfe_u32 v140, v4, 4, 4
	v_add_lshl_u32 v209, v21, v2, 2
	v_ashrrev_i32_e32 v2, 31, v40
	v_add_lshl_u32 v40, v21, v23, 2
	v_mul_u32_u24_e32 v23, 3, v138
	v_accvgpr_write_b32 a44, v60
	v_ashrrev_i32_e32 v60, 31, v39
	v_bfe_u32 v142, v4, 12, 4
	v_accvgpr_write_b32 a42, v2
	v_mul_u32_u24_e32 v2, 3, v42
	v_add_lshl_u32 v42, v21, v23, 2
	v_mul_u32_u24_e32 v23, 3, v140
	v_accvgpr_write_b32 a46, v60
	v_ashrrev_i32_e32 v60, 31, v41
	v_bfe_u32 v146, v4, 20, 4
	v_add_lshl_u32 v198, v21, v2, 2
	v_mul_u32_u24_e32 v2, 3, v44
	v_add_lshl_u32 v44, v21, v23, 2
	v_mul_u32_u24_e32 v23, 3, v142
	v_accvgpr_write_b32 a48, v60
	v_ashrrev_i32_e32 v60, 31, v43
	v_lshrrev_b32_e32 v166, 28, v5
	v_add_lshl_u32 v46, v21, v23, 2
	v_mul_u32_u24_e32 v23, 3, v146
	v_accvgpr_write_b32 a50, v60
	v_ashrrev_i32_e32 v60, 31, v47
	v_and_b32_e32 v50, 15, v4
	v_bfe_u32 v154, v5, 4, 4
	v_not_b32_e32 v161, v9
	v_lshlrev_b32_e32 v9, 30, v166
	v_add_lshl_u32 v48, v21, v23, 2
	v_mul_u32_u24_e32 v23, 3, v150
	v_accvgpr_write_b32 a52, v60
	v_ashrrev_i32_e32 v60, 31, v49
	v_and_b32_e32 v167, 0x100, v4
	v_and_b32_e32 v169, 0x10000, v4
	;; [unrolled: 1-line block ×7, first 2 shown]
	v_bfe_u32 v158, v5, 12, 4
	v_not_b32_e32 v163, v9
	v_cmp_gt_i64_e64 s[92:93], 0, v[8:9]
	v_lshlrev_b32_e32 v9, 29, v166
	v_mul_u32_u24_e32 v4, 3, v50
	v_add_lshl_u32 v50, v21, v23, 2
	v_mul_u32_u24_e32 v23, 3, v154
	v_accvgpr_write_b32 a54, v60
	v_ashrrev_i32_e32 v60, 31, v51
	v_bfe_u32 v162, v5, 20, 4
	v_not_b32_e32 v165, v9
	v_cmp_gt_i64_e64 s[94:95], 0, v[8:9]
	v_and_b32_e32 v9, 0xf0000000, v5
	v_add_lshl_u32 v52, v21, v23, 2
	v_mul_u32_u24_e32 v23, 3, v158
	v_accvgpr_write_b32 a56, v60
	v_ashrrev_i32_e32 v60, 31, v55
	v_and_b32_e32 v172, 0x100, v5
	v_and_b32_e32 v156, 16, v5
	;; [unrolled: 1-line block ×4, first 2 shown]
	v_add_lshl_u32 v54, v21, v23, 2
	v_mul_u32_u24_e32 v23, 3, v162
	v_accvgpr_write_b32 a58, v60
	v_ashrrev_i32_e32 v60, 31, v57
	v_not_b32_e32 v1, v9
	v_and_b32_e32 v181, 0x10000, v5
	v_and_b32_e32 v185, 0x1000000, v5
	;; [unrolled: 1-line block ×3, first 2 shown]
	v_add_lshl_u32 v56, v21, v23, 2
	v_mul_u32_u24_e32 v23, 3, v166
	v_accvgpr_write_b32 a60, v60
	v_ashrrev_i32_e32 v214, 31, v59
	v_ashrrev_i32_e32 v212, 31, v61
	;; [unrolled: 1-line block ×9, first 2 shown]
	v_cmp_ne_u32_e64 s[48:49], 0, v172
	v_ashrrev_i32_e32 v106, 31, v171
	v_ashrrev_i32_e32 v70, 31, v70
	;; [unrolled: 1-line block ×3, first 2 shown]
	v_cmp_ne_u32_e64 s[54:55], 0, v190
	v_ashrrev_i32_e32 v74, 31, v73
	v_cmp_ne_u32_e64 s[56:57], 0, v110
	v_ashrrev_i32_e32 v76, 31, v75
	;; [unrolled: 2-line block ×15, first 2 shown]
	v_ashrrev_i32_e32 v104, 31, v189
	v_ashrrev_i32_e32 v110, 31, v81
	;; [unrolled: 1-line block ×44, first 2 shown]
	v_add_lshl_u32 v2, v21, v2, 2
	v_add_lshl_u32 v4, v21, v4, 2
	;; [unrolled: 1-line block ×3, first 2 shown]
	v_cmp_eq_u32_e64 s[20:21], 1, v15
	v_cmp_ne_u32_e64 s[22:23], 0, v17
	v_cmp_ne_u32_e64 s[24:25], 0, v19
	v_cmp_ne_u32_e64 s[26:27], 0, v25
	v_cmp_eq_u32_e64 s[28:29], 1, v27
	v_cmp_ne_u32_e64 s[30:31], 0, v33
	v_cmp_ne_u32_e64 s[34:35], 0, v37
	v_cmp_ne_u32_e64 s[36:37], 0, v45
	;; [unrolled: 4-line block ×4, first 2 shown]
	v_cmp_gt_i64_e64 s[86:87], 0, v[8:9]
	v_accvgpr_read_b32 v1, a10
	v_accvgpr_read_b32 v3, a14
	;; [unrolled: 1-line block ×4, first 2 shown]
	v_accvgpr_write_b32 a20, v216
	v_mov_b32_e32 v9, v216
	v_accvgpr_read_b32 v11, a22
	v_accvgpr_read_b32 v13, a24
	;; [unrolled: 1-line block ×20, first 2 shown]
	v_accvgpr_write_b32 a62, v214
	v_mov_b32_e32 v51, v214
	v_accvgpr_write_b32 a64, v212
	v_mov_b32_e32 v53, v212
	;; [unrolled: 2-line block ×28, first 2 shown]
	v_mov_b32_e32 v107, v110
	v_mov_b32_e32 v109, v112
	;; [unrolled: 1-line block ×43, first 2 shown]
	v_accvgpr_read_b32 v68, a60
	s_branch .LBB56_2
.LBB56_1:                               ;   in Loop: Header=BB56_2 Depth=1
	s_or_b64 exec, exec, s[90:91]
	s_waitcnt lgkmcnt(0)
	v_add_u32_e32 v196, v197, v196
	v_accvgpr_read_b32 v216, a2
	ds_bpermute_b32 v196, v216, v196
	s_add_i32 s33, s33, -1
	s_cmp_eq_u32 s33, 0
	s_waitcnt lgkmcnt(0)
	v_cndmask_b32_e64 v196, v196, v197, s[88:89]
	ds_write_b32 v193, v196 offset:8
	s_waitcnt lgkmcnt(0)
	s_barrier
	s_cbranch_scc1 .LBB56_78
.LBB56_2:                               ; =>This Inner Loop Header: Depth=1
	v_readlane_b32 s90, v253, 6
	v_cndmask_b32_e64 v60, 0, 1, s[20:21]
	v_readlane_b32 s91, v253, 7
	v_cmp_ne_u32_e32 vcc, 0, v60
	v_accvgpr_read_b32 v60, a5
	v_accvgpr_read_b32 v62, a4
	v_cndmask_b32_e64 v64, 0, 1, s[90:91]
	v_xor_b32_e32 v60, vcc_hi, v60
	v_xor_b32_e32 v62, vcc_lo, v62
	v_cmp_ne_u32_e32 vcc, 0, v64
	v_readlane_b32 s90, v253, 8
	v_and_b32_e32 v60, exec_hi, v60
	v_xor_b32_e32 v64, vcc_hi, v1
	v_readlane_b32 s91, v253, 9
	v_accvgpr_read_b32 v66, a10
	v_and_b32_e32 v60, v60, v64
	v_cndmask_b32_e64 v64, 0, 1, s[90:91]
	v_and_b32_e32 v62, exec_lo, v62
	v_xor_b32_e32 v66, vcc_lo, v66
	v_cmp_ne_u32_e32 vcc, 0, v64
	v_readlane_b32 s90, v253, 10
	v_and_b32_e32 v62, v62, v66
	v_xor_b32_e32 v64, vcc_hi, v3
	v_accvgpr_read_b32 v66, a14
	v_readlane_b32 s91, v253, 11
	v_xor_b32_e32 v66, vcc_lo, v66
	v_and_b32_e32 v60, v60, v64
	v_cndmask_b32_e64 v64, 0, 1, s[90:91]
	v_and_b32_e32 v62, v62, v66
	v_cmp_ne_u32_e32 vcc, 0, v64
	v_accvgpr_read_b32 v66, a16
	v_xor_b32_e32 v66, vcc_lo, v66
	v_xor_b32_e32 v64, vcc_hi, v5
	v_and_b32_e32 v196, v62, v66
	v_and_b32_e32 v197, v60, v64
	v_mbcnt_lo_u32_b32 v60, v196, 0
	v_mbcnt_hi_u32_b32 v60, v197, v60
	v_cmp_eq_u32_e64 s[90:91], 0, v60
	v_cmp_ne_u64_e32 vcc, 0, v[196:197]
	s_and_b64 vcc, vcc, s[90:91]
	ds_write_b32 v193, v8 offset:8
	s_waitcnt lgkmcnt(0)
	s_barrier
	s_waitcnt lgkmcnt(0)
	; wave barrier
	s_and_saveexec_b64 s[90:91], vcc
	s_cbranch_execz .LBB56_4
; %bb.3:                                ;   in Loop: Header=BB56_2 Depth=1
	v_bcnt_u32_b32 v60, v196, 0
	v_bcnt_u32_b32 v60, v197, v60
	v_accvgpr_read_b32 v62, a11
	ds_write_b32 v62, v60 offset:8
.LBB56_4:                               ;   in Loop: Header=BB56_2 Depth=1
	s_or_b64 exec, exec, s[90:91]
	v_readlane_b32 s90, v253, 12
	v_cndmask_b32_e64 v62, 0, 1, s[22:23]
	v_readlane_b32 s91, v253, 13
	v_cmp_ne_u32_e32 vcc, 0, v62
	v_accvgpr_read_b32 v62, a7
	v_accvgpr_read_b32 v64, a6
	v_cndmask_b32_e64 v66, 0, 1, s[90:91]
	v_xor_b32_e32 v62, vcc_hi, v62
	v_xor_b32_e32 v64, vcc_lo, v64
	v_cmp_ne_u32_e32 vcc, 0, v66
	v_readlane_b32 s90, v253, 14
	v_and_b32_e32 v62, exec_hi, v62
	v_xor_b32_e32 v66, vcc_hi, v7
	v_readlane_b32 s91, v253, 15
	v_accvgpr_read_b32 v68, a18
	v_and_b32_e32 v62, v62, v66
	v_cndmask_b32_e64 v66, 0, 1, s[90:91]
	v_and_b32_e32 v64, exec_lo, v64
	v_xor_b32_e32 v68, vcc_lo, v68
	v_cmp_ne_u32_e32 vcc, 0, v66
	v_readlane_b32 s90, v253, 16
	v_and_b32_e32 v64, v64, v68
	v_xor_b32_e32 v66, vcc_hi, v9
	v_accvgpr_read_b32 v68, a20
	v_readlane_b32 s91, v253, 17
	v_xor_b32_e32 v68, vcc_lo, v68
	v_and_b32_e32 v62, v62, v66
	v_cndmask_b32_e64 v66, 0, 1, s[90:91]
	v_and_b32_e32 v64, v64, v68
	v_cmp_ne_u32_e32 vcc, 0, v66
	v_accvgpr_read_b32 v68, a22
	v_accvgpr_read_b32 v60, a12
	v_xor_b32_e32 v68, vcc_lo, v68
	; wave barrier
	ds_read_b32 v60, v60 offset:8
	v_xor_b32_e32 v66, vcc_hi, v11
	v_and_b32_e32 v196, v64, v68
	v_and_b32_e32 v197, v62, v66
	v_mbcnt_lo_u32_b32 v62, v196, 0
	v_mbcnt_hi_u32_b32 v62, v197, v62
	v_cmp_eq_u32_e32 vcc, 0, v62
	v_cmp_ne_u64_e64 s[90:91], 0, v[196:197]
	s_and_b64 vcc, s[90:91], vcc
	; wave barrier
	s_and_saveexec_b64 s[90:91], vcc
	s_cbranch_execz .LBB56_6
; %bb.5:                                ;   in Loop: Header=BB56_2 Depth=1
	v_bcnt_u32_b32 v62, v196, 0
	v_bcnt_u32_b32 v62, v197, v62
	s_waitcnt lgkmcnt(0)
	v_add_u32_e32 v60, v60, v62
	v_accvgpr_read_b32 v62, a12
	ds_write_b32 v62, v60 offset:8
.LBB56_6:                               ;   in Loop: Header=BB56_2 Depth=1
	s_or_b64 exec, exec, s[90:91]
	v_readlane_b32 s90, v253, 18
	v_cndmask_b32_e64 v62, 0, 1, s[24:25]
	v_readlane_b32 s91, v253, 19
	v_cmp_ne_u32_e32 vcc, 0, v62
	v_accvgpr_read_b32 v62, a9
	v_accvgpr_read_b32 v64, a8
	v_cndmask_b32_e64 v66, 0, 1, s[90:91]
	v_xor_b32_e32 v62, vcc_hi, v62
	v_xor_b32_e32 v64, vcc_lo, v64
	v_cmp_ne_u32_e32 vcc, 0, v66
	v_readlane_b32 s90, v253, 20
	v_and_b32_e32 v62, exec_hi, v62
	v_xor_b32_e32 v66, vcc_hi, v13
	v_readlane_b32 s91, v253, 21
	v_accvgpr_read_b32 v68, a24
	v_and_b32_e32 v62, v62, v66
	v_cndmask_b32_e64 v66, 0, 1, s[90:91]
	v_and_b32_e32 v64, exec_lo, v64
	v_xor_b32_e32 v68, vcc_lo, v68
	v_cmp_ne_u32_e32 vcc, 0, v66
	v_readlane_b32 s90, v253, 22
	v_and_b32_e32 v64, v64, v68
	v_xor_b32_e32 v66, vcc_hi, v15
	v_accvgpr_read_b32 v68, a26
	v_readlane_b32 s91, v253, 23
	v_xor_b32_e32 v68, vcc_lo, v68
	v_and_b32_e32 v62, v62, v66
	v_cndmask_b32_e64 v66, 0, 1, s[90:91]
	v_and_b32_e32 v64, v64, v68
	v_cmp_ne_u32_e32 vcc, 0, v66
	v_accvgpr_read_b32 v68, a28
	s_waitcnt lgkmcnt(0)
	v_accvgpr_read_b32 v60, a13
	v_xor_b32_e32 v68, vcc_lo, v68
	; wave barrier
	ds_read_b32 v60, v60 offset:8
	v_xor_b32_e32 v66, vcc_hi, v17
	v_and_b32_e32 v196, v64, v68
	v_and_b32_e32 v197, v62, v66
	v_mbcnt_lo_u32_b32 v62, v196, 0
	v_mbcnt_hi_u32_b32 v62, v197, v62
	v_cmp_eq_u32_e32 vcc, 0, v62
	v_cmp_ne_u64_e64 s[90:91], 0, v[196:197]
	s_and_b64 vcc, s[90:91], vcc
	; wave barrier
	s_and_saveexec_b64 s[90:91], vcc
	s_cbranch_execz .LBB56_8
; %bb.7:                                ;   in Loop: Header=BB56_2 Depth=1
	v_bcnt_u32_b32 v62, v196, 0
	v_bcnt_u32_b32 v62, v197, v62
	s_waitcnt lgkmcnt(0)
	v_add_u32_e32 v60, v60, v62
	v_accvgpr_read_b32 v62, a13
	ds_write_b32 v62, v60 offset:8
.LBB56_8:                               ;   in Loop: Header=BB56_2 Depth=1
	s_or_b64 exec, exec, s[90:91]
	v_readlane_b32 s90, v253, 24
	v_cndmask_b32_e64 v62, 0, 1, s[26:27]
	v_readlane_b32 s91, v253, 25
	v_cmp_ne_u32_e32 vcc, 0, v62
	v_accvgpr_read_b32 v62, a19
	v_accvgpr_read_b32 v64, a17
	v_cndmask_b32_e64 v66, 0, 1, s[90:91]
	v_xor_b32_e32 v62, vcc_hi, v62
	v_xor_b32_e32 v64, vcc_lo, v64
	v_cmp_ne_u32_e32 vcc, 0, v66
	v_readlane_b32 s90, v253, 26
	v_and_b32_e32 v62, exec_hi, v62
	v_xor_b32_e32 v66, vcc_hi, v19
	v_readlane_b32 s91, v253, 27
	v_accvgpr_read_b32 v68, a30
	v_and_b32_e32 v62, v62, v66
	v_cndmask_b32_e64 v66, 0, 1, s[90:91]
	v_and_b32_e32 v64, exec_lo, v64
	v_xor_b32_e32 v68, vcc_lo, v68
	v_cmp_ne_u32_e32 vcc, 0, v66
	v_readlane_b32 s90, v253, 28
	v_and_b32_e32 v64, v64, v68
	v_xor_b32_e32 v66, vcc_hi, v21
	v_accvgpr_read_b32 v68, a32
	v_readlane_b32 s91, v253, 29
	v_xor_b32_e32 v68, vcc_lo, v68
	v_and_b32_e32 v62, v62, v66
	v_cndmask_b32_e64 v66, 0, 1, s[90:91]
	v_and_b32_e32 v64, v64, v68
	v_cmp_ne_u32_e32 vcc, 0, v66
	v_accvgpr_read_b32 v68, a34
	s_waitcnt lgkmcnt(0)
	v_accvgpr_read_b32 v60, a15
	v_xor_b32_e32 v68, vcc_lo, v68
	; wave barrier
	ds_read_b32 v60, v60 offset:8
	v_xor_b32_e32 v66, vcc_hi, v23
	v_and_b32_e32 v196, v64, v68
	v_and_b32_e32 v197, v62, v66
	v_mbcnt_lo_u32_b32 v62, v196, 0
	v_mbcnt_hi_u32_b32 v62, v197, v62
	v_cmp_eq_u32_e32 vcc, 0, v62
	v_cmp_ne_u64_e64 s[90:91], 0, v[196:197]
	s_and_b64 vcc, s[90:91], vcc
	; wave barrier
	s_and_saveexec_b64 s[90:91], vcc
	s_cbranch_execz .LBB56_10
; %bb.9:                                ;   in Loop: Header=BB56_2 Depth=1
	v_bcnt_u32_b32 v62, v196, 0
	v_bcnt_u32_b32 v62, v197, v62
	s_waitcnt lgkmcnt(0)
	v_add_u32_e32 v60, v60, v62
	v_accvgpr_read_b32 v62, a15
	ds_write_b32 v62, v60 offset:8
.LBB56_10:                              ;   in Loop: Header=BB56_2 Depth=1
	s_or_b64 exec, exec, s[90:91]
	v_readlane_b32 s90, v253, 30
	v_cndmask_b32_e64 v62, 0, 1, s[28:29]
	v_readlane_b32 s91, v253, 31
	v_cmp_ne_u32_e32 vcc, 0, v62
	v_accvgpr_read_b32 v62, a23
	v_accvgpr_read_b32 v64, a21
	v_cndmask_b32_e64 v66, 0, 1, s[90:91]
	v_xor_b32_e32 v62, vcc_hi, v62
	v_xor_b32_e32 v64, vcc_lo, v64
	v_cmp_ne_u32_e32 vcc, 0, v66
	v_readlane_b32 s90, v253, 32
	v_and_b32_e32 v62, exec_hi, v62
	v_xor_b32_e32 v66, vcc_hi, v25
	v_readlane_b32 s91, v253, 33
	v_accvgpr_read_b32 v68, a36
	v_and_b32_e32 v62, v62, v66
	v_cndmask_b32_e64 v66, 0, 1, s[90:91]
	v_and_b32_e32 v64, exec_lo, v64
	v_xor_b32_e32 v68, vcc_lo, v68
	v_cmp_ne_u32_e32 vcc, 0, v66
	v_readlane_b32 s90, v253, 34
	v_and_b32_e32 v64, v64, v68
	v_xor_b32_e32 v66, vcc_hi, v27
	v_accvgpr_read_b32 v68, a38
	v_readlane_b32 s91, v253, 35
	v_xor_b32_e32 v68, vcc_lo, v68
	v_and_b32_e32 v62, v62, v66
	v_cndmask_b32_e64 v66, 0, 1, s[90:91]
	v_and_b32_e32 v64, v64, v68
	v_cmp_ne_u32_e32 vcc, 0, v66
	v_accvgpr_read_b32 v68, a40
	v_xor_b32_e32 v68, vcc_lo, v68
	; wave barrier
	s_waitcnt lgkmcnt(0)
	ds_read_b32 v60, v208 offset:8
	v_xor_b32_e32 v66, vcc_hi, v29
	v_and_b32_e32 v196, v64, v68
	v_and_b32_e32 v197, v62, v66
	v_mbcnt_lo_u32_b32 v62, v196, 0
	v_mbcnt_hi_u32_b32 v62, v197, v62
	v_cmp_eq_u32_e32 vcc, 0, v62
	v_cmp_ne_u64_e64 s[90:91], 0, v[196:197]
	s_and_b64 vcc, s[90:91], vcc
	; wave barrier
	s_and_saveexec_b64 s[90:91], vcc
	s_cbranch_execz .LBB56_12
; %bb.11:                               ;   in Loop: Header=BB56_2 Depth=1
	v_bcnt_u32_b32 v62, v196, 0
	v_bcnt_u32_b32 v62, v197, v62
	s_waitcnt lgkmcnt(0)
	v_add_u32_e32 v60, v60, v62
	ds_write_b32 v208, v60 offset:8
.LBB56_12:                              ;   in Loop: Header=BB56_2 Depth=1
	s_or_b64 exec, exec, s[90:91]
	v_readlane_b32 s90, v253, 36
	v_cndmask_b32_e64 v62, 0, 1, s[30:31]
	v_readlane_b32 s91, v253, 37
	v_cmp_ne_u32_e32 vcc, 0, v62
	v_accvgpr_read_b32 v62, a27
	v_accvgpr_read_b32 v64, a25
	v_cndmask_b32_e64 v66, 0, 1, s[90:91]
	v_xor_b32_e32 v62, vcc_hi, v62
	v_xor_b32_e32 v64, vcc_lo, v64
	v_cmp_ne_u32_e32 vcc, 0, v66
	v_readlane_b32 s90, v253, 38
	v_and_b32_e32 v62, exec_hi, v62
	v_xor_b32_e32 v66, vcc_hi, v31
	v_readlane_b32 s91, v253, 39
	v_accvgpr_read_b32 v68, a42
	v_and_b32_e32 v62, v62, v66
	v_cndmask_b32_e64 v66, 0, 1, s[90:91]
	v_and_b32_e32 v64, exec_lo, v64
	v_xor_b32_e32 v68, vcc_lo, v68
	v_cmp_ne_u32_e32 vcc, 0, v66
	v_readlane_b32 s90, v253, 40
	v_and_b32_e32 v64, v64, v68
	v_xor_b32_e32 v66, vcc_hi, v33
	v_accvgpr_read_b32 v68, a44
	v_readlane_b32 s91, v253, 41
	v_xor_b32_e32 v68, vcc_lo, v68
	v_and_b32_e32 v62, v62, v66
	v_cndmask_b32_e64 v66, 0, 1, s[90:91]
	v_and_b32_e32 v64, v64, v68
	v_cmp_ne_u32_e32 vcc, 0, v66
	v_accvgpr_read_b32 v68, a46
	v_xor_b32_e32 v68, vcc_lo, v68
	; wave barrier
	s_waitcnt lgkmcnt(0)
	ds_read_b32 v60, v209 offset:8
	v_xor_b32_e32 v66, vcc_hi, v35
	v_and_b32_e32 v196, v64, v68
	v_and_b32_e32 v197, v62, v66
	v_mbcnt_lo_u32_b32 v62, v196, 0
	v_mbcnt_hi_u32_b32 v62, v197, v62
	v_cmp_eq_u32_e32 vcc, 0, v62
	v_cmp_ne_u64_e64 s[90:91], 0, v[196:197]
	s_and_b64 vcc, s[90:91], vcc
	; wave barrier
	s_and_saveexec_b64 s[90:91], vcc
	s_cbranch_execz .LBB56_14
; %bb.13:                               ;   in Loop: Header=BB56_2 Depth=1
	v_bcnt_u32_b32 v62, v196, 0
	v_bcnt_u32_b32 v62, v197, v62
	s_waitcnt lgkmcnt(0)
	v_add_u32_e32 v60, v60, v62
	ds_write_b32 v209, v60 offset:8
.LBB56_14:                              ;   in Loop: Header=BB56_2 Depth=1
	s_or_b64 exec, exec, s[90:91]
	v_readlane_b32 s90, v253, 42
	v_cndmask_b32_e64 v62, 0, 1, s[34:35]
	v_readlane_b32 s91, v253, 43
	v_cmp_ne_u32_e32 vcc, 0, v62
	v_accvgpr_read_b32 v64, a29
	v_cndmask_b32_e64 v66, 0, 1, s[90:91]
	v_xor_b32_e32 v62, vcc_hi, v217
	v_xor_b32_e32 v64, vcc_lo, v64
	v_cmp_ne_u32_e32 vcc, 0, v66
	v_readlane_b32 s90, v253, 44
	v_and_b32_e32 v62, exec_hi, v62
	v_xor_b32_e32 v66, vcc_hi, v37
	v_readlane_b32 s91, v253, 45
	v_accvgpr_read_b32 v68, a48
	v_and_b32_e32 v62, v62, v66
	v_cndmask_b32_e64 v66, 0, 1, s[90:91]
	v_and_b32_e32 v64, exec_lo, v64
	v_xor_b32_e32 v68, vcc_lo, v68
	v_cmp_ne_u32_e32 vcc, 0, v66
	v_readlane_b32 s90, v253, 46
	v_and_b32_e32 v64, v64, v68
	v_xor_b32_e32 v66, vcc_hi, v39
	v_accvgpr_read_b32 v68, a50
	v_readlane_b32 s91, v253, 47
	v_xor_b32_e32 v68, vcc_lo, v68
	v_and_b32_e32 v62, v62, v66
	v_cndmask_b32_e64 v66, 0, 1, s[90:91]
	v_and_b32_e32 v64, v64, v68
	v_cmp_ne_u32_e32 vcc, 0, v66
	v_accvgpr_read_b32 v68, a52
	v_xor_b32_e32 v68, vcc_lo, v68
	; wave barrier
	s_waitcnt lgkmcnt(0)
	ds_read_b32 v60, v198 offset:8
	v_xor_b32_e32 v66, vcc_hi, v41
	v_and_b32_e32 v196, v64, v68
	v_and_b32_e32 v197, v62, v66
	v_mbcnt_lo_u32_b32 v62, v196, 0
	v_mbcnt_hi_u32_b32 v62, v197, v62
	v_cmp_eq_u32_e32 vcc, 0, v62
	v_cmp_ne_u64_e64 s[90:91], 0, v[196:197]
	s_and_b64 vcc, s[90:91], vcc
	; wave barrier
	s_and_saveexec_b64 s[90:91], vcc
	s_cbranch_execz .LBB56_16
; %bb.15:                               ;   in Loop: Header=BB56_2 Depth=1
	v_bcnt_u32_b32 v62, v196, 0
	v_bcnt_u32_b32 v62, v197, v62
	s_waitcnt lgkmcnt(0)
	v_add_u32_e32 v60, v60, v62
	ds_write_b32 v198, v60 offset:8
.LBB56_16:                              ;   in Loop: Header=BB56_2 Depth=1
	s_or_b64 exec, exec, s[90:91]
	v_readlane_b32 s90, v253, 48
	v_cndmask_b32_e64 v62, 0, 1, s[36:37]
	v_readlane_b32 s91, v253, 49
	v_cmp_ne_u32_e32 vcc, 0, v62
	v_cndmask_b32_e64 v66, 0, 1, s[90:91]
	v_xor_b32_e32 v62, vcc_hi, v219
	v_xor_b32_e32 v64, vcc_lo, v218
	v_cmp_ne_u32_e32 vcc, 0, v66
	v_readlane_b32 s90, v253, 50
	v_and_b32_e32 v62, exec_hi, v62
	v_xor_b32_e32 v66, vcc_hi, v43
	v_readlane_b32 s91, v253, 51
	v_accvgpr_read_b32 v68, a54
	v_and_b32_e32 v62, v62, v66
	v_cndmask_b32_e64 v66, 0, 1, s[90:91]
	v_and_b32_e32 v64, exec_lo, v64
	v_xor_b32_e32 v68, vcc_lo, v68
	v_cmp_ne_u32_e32 vcc, 0, v66
	v_readlane_b32 s90, v253, 52
	v_and_b32_e32 v64, v64, v68
	v_xor_b32_e32 v66, vcc_hi, v45
	v_accvgpr_read_b32 v68, a56
	v_readlane_b32 s91, v253, 53
	v_xor_b32_e32 v68, vcc_lo, v68
	v_and_b32_e32 v62, v62, v66
	v_cndmask_b32_e64 v66, 0, 1, s[90:91]
	v_and_b32_e32 v64, v64, v68
	v_cmp_ne_u32_e32 vcc, 0, v66
	v_accvgpr_read_b32 v68, a58
	v_xor_b32_e32 v68, vcc_lo, v68
	; wave barrier
	s_waitcnt lgkmcnt(0)
	ds_read_b32 v60, v2 offset:8
	v_xor_b32_e32 v66, vcc_hi, v47
	v_and_b32_e32 v196, v64, v68
	v_and_b32_e32 v197, v62, v66
	v_mbcnt_lo_u32_b32 v62, v196, 0
	v_mbcnt_hi_u32_b32 v62, v197, v62
	v_cmp_eq_u32_e32 vcc, 0, v62
	v_cmp_ne_u64_e64 s[90:91], 0, v[196:197]
	s_and_b64 vcc, s[90:91], vcc
	; wave barrier
	s_and_saveexec_b64 s[90:91], vcc
	s_cbranch_execz .LBB56_18
; %bb.17:                               ;   in Loop: Header=BB56_2 Depth=1
	v_bcnt_u32_b32 v62, v196, 0
	v_bcnt_u32_b32 v62, v197, v62
	s_waitcnt lgkmcnt(0)
	v_add_u32_e32 v60, v60, v62
	ds_write_b32 v2, v60 offset:8
.LBB56_18:                              ;   in Loop: Header=BB56_2 Depth=1
	s_or_b64 exec, exec, s[90:91]
	v_readlane_b32 s90, v253, 54
	v_cndmask_b32_e64 v62, 0, 1, s[38:39]
	v_readlane_b32 s91, v253, 55
	v_cmp_ne_u32_e32 vcc, 0, v62
	;; [unrolled: 52-line block ×9, first 2 shown]
	v_cndmask_b32_e64 v66, 0, 1, s[90:91]
	v_xor_b32_e32 v62, vcc_hi, v235
	v_xor_b32_e32 v64, vcc_lo, v234
	v_cmp_ne_u32_e32 vcc, 0, v66
	v_readlane_b32 s90, v254, 34
	v_and_b32_e32 v62, exec_hi, v62
	v_xor_b32_e32 v66, vcc_hi, v91
	v_readlane_b32 s91, v254, 35
	v_accvgpr_read_b32 v68, a102
	v_and_b32_e32 v62, v62, v66
	v_cndmask_b32_e64 v66, 0, 1, s[90:91]
	v_and_b32_e32 v64, exec_lo, v64
	v_xor_b32_e32 v68, vcc_lo, v68
	v_cmp_ne_u32_e32 vcc, 0, v66
	v_readlane_b32 s90, v254, 36
	v_and_b32_e32 v64, v64, v68
	v_xor_b32_e32 v66, vcc_hi, v93
	v_accvgpr_read_b32 v68, a104
	v_readlane_b32 s91, v254, 37
	v_xor_b32_e32 v68, vcc_lo, v68
	v_and_b32_e32 v62, v62, v66
	v_cndmask_b32_e64 v66, 0, 1, s[90:91]
	v_and_b32_e32 v64, v64, v68
	v_cmp_ne_u32_e32 vcc, 0, v66
	v_accvgpr_read_b32 v68, a106
	v_xor_b32_e32 v68, vcc_lo, v68
	; wave barrier
	s_waitcnt lgkmcnt(0)
	ds_read_b32 v60, v36 offset:8
	v_xor_b32_e32 v66, vcc_hi, v95
	v_and_b32_e32 v196, v64, v68
	v_and_b32_e32 v197, v62, v66
	v_mbcnt_lo_u32_b32 v62, v196, 0
	v_mbcnt_hi_u32_b32 v62, v197, v62
	v_cmp_eq_u32_e32 vcc, 0, v62
	v_cmp_ne_u64_e64 s[90:91], 0, v[196:197]
	s_and_b64 vcc, s[90:91], vcc
	; wave barrier
	s_and_saveexec_b64 s[90:91], vcc
	s_cbranch_execz .LBB56_34
; %bb.33:                               ;   in Loop: Header=BB56_2 Depth=1
	v_bcnt_u32_b32 v62, v196, 0
	v_bcnt_u32_b32 v62, v197, v62
	s_waitcnt lgkmcnt(0)
	v_add_u32_e32 v60, v60, v62
	ds_write_b32 v36, v60 offset:8
.LBB56_34:                              ;   in Loop: Header=BB56_2 Depth=1
	s_or_b64 exec, exec, s[90:91]
	; wave barrier
	s_waitcnt lgkmcnt(0)
	s_barrier
	ds_read_b32 v60, v193 offset:8
	s_waitcnt lgkmcnt(0)
	s_nop 0
	v_mov_b32_dpp v62, v60 row_shr:1 row_mask:0xf bank_mask:0xf
	v_cndmask_b32_e64 v62, v62, 0, s[6:7]
	v_add_u32_e32 v60, v62, v60
	s_nop 1
	v_mov_b32_dpp v62, v60 row_shr:2 row_mask:0xf bank_mask:0xf
	v_cndmask_b32_e64 v62, 0, v62, s[8:9]
	v_add_u32_e32 v60, v60, v62
	;; [unrolled: 4-line block ×4, first 2 shown]
	s_nop 1
	v_mov_b32_dpp v62, v60 row_bcast:15 row_mask:0xf bank_mask:0xf
	v_cndmask_b32_e64 v62, v62, 0, s[14:15]
	v_add_u32_e32 v60, v60, v62
	s_nop 1
	v_mov_b32_dpp v62, v60 row_bcast:31 row_mask:0xf bank_mask:0xf
	v_cndmask_b32_e64 v62, 0, v62, s[16:17]
	v_add_u32_e32 v60, v60, v62
	s_and_saveexec_b64 s[90:91], s[0:1]
	s_xor_b64 s[90:91], exec, s[90:91]
	s_cbranch_execz .LBB56_36
; %bb.35:                               ;   in Loop: Header=BB56_2 Depth=1
	v_accvgpr_read_b32 v62, a1
	ds_write_b32 v62, v60
.LBB56_36:                              ;   in Loop: Header=BB56_2 Depth=1
	s_or_b64 exec, exec, s[90:91]
	s_waitcnt lgkmcnt(0)
	s_barrier
	s_and_saveexec_b64 s[90:91], s[2:3]
	s_cbranch_execz .LBB56_38
; %bb.37:                               ;   in Loop: Header=BB56_2 Depth=1
	ds_read_b32 v62, v193
	s_waitcnt lgkmcnt(0)
	s_nop 0
	v_mov_b32_dpp v64, v62 row_shr:1 row_mask:0xf bank_mask:0xf
	v_cndmask_b32_e64 v64, v64, 0, s[18:19]
	v_add_u32_e32 v62, v64, v62
	ds_write_b32 v193, v62
.LBB56_38:                              ;   in Loop: Header=BB56_2 Depth=1
	s_or_b64 exec, exec, s[90:91]
	v_mov_b32_e32 v62, 0
	s_waitcnt lgkmcnt(0)
	s_barrier
	s_and_saveexec_b64 s[90:91], s[4:5]
	s_cbranch_execz .LBB56_40
; %bb.39:                               ;   in Loop: Header=BB56_2 Depth=1
	v_accvgpr_read_b32 v62, a3
	ds_read_b32 v62, v62
.LBB56_40:                              ;   in Loop: Header=BB56_2 Depth=1
	s_or_b64 exec, exec, s[90:91]
	s_waitcnt lgkmcnt(0)
	v_add_u32_e32 v60, v62, v60
	v_accvgpr_read_b32 v64, a2
	ds_bpermute_b32 v60, v64, v60
	v_readlane_b32 s90, v254, 38
	v_readlane_b32 s91, v254, 39
	v_cndmask_b32_e64 v64, 0, 1, s[90:91]
	v_readlane_b32 s90, v254, 40
	s_waitcnt lgkmcnt(0)
	v_cndmask_b32_e64 v60, v60, v62, s[88:89]
	ds_write_b32 v193, v60 offset:8
	v_cndmask_b32_e64 v60, 0, 1, s[54:55]
	v_cmp_ne_u32_e32 vcc, 0, v60
	v_xor_b32_e32 v60, vcc_hi, v237
	v_xor_b32_e32 v62, vcc_lo, v236
	v_cmp_ne_u32_e32 vcc, 0, v64
	v_and_b32_e32 v60, exec_hi, v60
	v_xor_b32_e32 v64, vcc_hi, v97
	v_readlane_b32 s91, v254, 41
	v_accvgpr_read_b32 v66, a108
	v_and_b32_e32 v60, v60, v64
	v_cndmask_b32_e64 v64, 0, 1, s[90:91]
	v_and_b32_e32 v62, exec_lo, v62
	v_xor_b32_e32 v66, vcc_lo, v66
	v_cmp_ne_u32_e32 vcc, 0, v64
	v_readlane_b32 s90, v254, 42
	v_and_b32_e32 v62, v62, v66
	v_xor_b32_e32 v64, vcc_hi, v99
	v_accvgpr_read_b32 v66, a110
	v_readlane_b32 s91, v254, 43
	v_xor_b32_e32 v66, vcc_lo, v66
	v_and_b32_e32 v60, v60, v64
	v_cndmask_b32_e64 v64, 0, 1, s[90:91]
	v_and_b32_e32 v62, v62, v66
	v_cmp_ne_u32_e32 vcc, 0, v64
	v_accvgpr_read_b32 v66, a112
	v_xor_b32_e32 v66, vcc_lo, v66
	v_xor_b32_e32 v64, vcc_hi, v101
	v_and_b32_e32 v196, v62, v66
	v_and_b32_e32 v197, v60, v64
	v_mbcnt_lo_u32_b32 v60, v196, 0
	v_mbcnt_hi_u32_b32 v60, v197, v60
	v_cmp_eq_u32_e32 vcc, 0, v60
	v_cmp_ne_u64_e64 s[90:91], 0, v[196:197]
	s_and_b64 vcc, s[90:91], vcc
	s_waitcnt lgkmcnt(0)
	s_barrier
	ds_write_b32 v193, v8 offset:8
	s_waitcnt lgkmcnt(0)
	s_barrier
	s_waitcnt lgkmcnt(0)
	; wave barrier
	s_and_saveexec_b64 s[90:91], vcc
	s_cbranch_execz .LBB56_42
; %bb.41:                               ;   in Loop: Header=BB56_2 Depth=1
	v_bcnt_u32_b32 v62, v196, 0
	v_bcnt_u32_b32 v62, v197, v62
	v_accvgpr_read_b32 v64, a31
	ds_write_b32 v64, v62 offset:8
.LBB56_42:                              ;   in Loop: Header=BB56_2 Depth=1
	s_or_b64 exec, exec, s[90:91]
	v_readlane_b32 s90, v254, 44
	v_cndmask_b32_e64 v64, 0, 1, s[56:57]
	v_readlane_b32 s91, v254, 45
	v_cmp_ne_u32_e32 vcc, 0, v64
	v_cndmask_b32_e64 v68, 0, 1, s[90:91]
	v_xor_b32_e32 v64, vcc_hi, v239
	v_xor_b32_e32 v66, vcc_lo, v238
	v_cmp_ne_u32_e32 vcc, 0, v68
	v_readlane_b32 s90, v254, 46
	v_and_b32_e32 v64, exec_hi, v64
	v_xor_b32_e32 v68, vcc_hi, v103
	v_readlane_b32 s91, v254, 47
	v_accvgpr_read_b32 v70, a114
	v_and_b32_e32 v64, v64, v68
	v_cndmask_b32_e64 v68, 0, 1, s[90:91]
	v_xor_b32_e32 v70, vcc_lo, v70
	v_cmp_ne_u32_e32 vcc, 0, v68
	v_readlane_b32 s90, v254, 48
	v_and_b32_e32 v66, exec_lo, v66
	v_xor_b32_e32 v68, vcc_hi, v105
	v_readlane_b32 s91, v254, 49
	v_and_b32_e32 v66, v66, v70
	v_accvgpr_read_b32 v70, a116
	v_and_b32_e32 v64, v64, v68
	v_cndmask_b32_e64 v68, 0, 1, s[90:91]
	v_xor_b32_e32 v70, vcc_lo, v70
	v_cmp_ne_u32_e32 vcc, 0, v68
	v_and_b32_e32 v66, v66, v70
	v_xor_b32_e32 v70, vcc_lo, v110
	; wave barrier
	ds_read_b32 v62, v32 offset:8
	v_xor_b32_e32 v68, vcc_hi, v107
	v_and_b32_e32 v196, v66, v70
	v_and_b32_e32 v197, v64, v68
	v_mbcnt_lo_u32_b32 v64, v196, 0
	v_mbcnt_hi_u32_b32 v64, v197, v64
	v_cmp_eq_u32_e32 vcc, 0, v64
	v_cmp_ne_u64_e64 s[90:91], 0, v[196:197]
	s_and_b64 vcc, s[90:91], vcc
	; wave barrier
	s_and_saveexec_b64 s[90:91], vcc
	s_cbranch_execz .LBB56_44
; %bb.43:                               ;   in Loop: Header=BB56_2 Depth=1
	v_bcnt_u32_b32 v66, v196, 0
	v_bcnt_u32_b32 v66, v197, v66
	s_waitcnt lgkmcnt(0)
	v_add_u32_e32 v66, v62, v66
	ds_write_b32 v32, v66 offset:8
.LBB56_44:                              ;   in Loop: Header=BB56_2 Depth=1
	s_or_b64 exec, exec, s[90:91]
	v_readlane_b32 s90, v254, 50
	v_cndmask_b32_e64 v68, 0, 1, s[58:59]
	v_readlane_b32 s91, v254, 51
	v_cmp_ne_u32_e32 vcc, 0, v68
	v_cndmask_b32_e64 v72, 0, 1, s[90:91]
	v_xor_b32_e32 v68, vcc_hi, v241
	v_xor_b32_e32 v70, vcc_lo, v240
	v_cmp_ne_u32_e32 vcc, 0, v72
	v_readlane_b32 s90, v254, 52
	v_and_b32_e32 v68, exec_hi, v68
	v_xor_b32_e32 v72, vcc_hi, v109
	v_readlane_b32 s91, v254, 53
	v_and_b32_e32 v68, v68, v72
	v_cndmask_b32_e64 v72, 0, 1, s[90:91]
	v_xor_b32_e32 v74, vcc_lo, v112
	v_cmp_ne_u32_e32 vcc, 0, v72
	v_readlane_b32 s90, v254, 54
	v_xor_b32_e32 v72, vcc_hi, v111
	v_readlane_b32 s91, v254, 55
	v_and_b32_e32 v70, exec_lo, v70
	v_and_b32_e32 v68, v68, v72
	v_cndmask_b32_e64 v72, 0, 1, s[90:91]
	v_and_b32_e32 v70, v70, v74
	v_xor_b32_e32 v74, vcc_lo, v114
	v_cmp_ne_u32_e32 vcc, 0, v72
	v_and_b32_e32 v70, v70, v74
	v_xor_b32_e32 v74, vcc_lo, v116
	; wave barrier
	ds_read_b32 v66, v201 offset:8
	v_xor_b32_e32 v72, vcc_hi, v113
	v_and_b32_e32 v196, v70, v74
	v_and_b32_e32 v197, v68, v72
	v_mbcnt_lo_u32_b32 v68, v196, 0
	v_mbcnt_hi_u32_b32 v68, v197, v68
	v_cmp_eq_u32_e32 vcc, 0, v68
	v_cmp_ne_u64_e64 s[90:91], 0, v[196:197]
	s_and_b64 vcc, s[90:91], vcc
	; wave barrier
	s_and_saveexec_b64 s[90:91], vcc
	s_cbranch_execz .LBB56_46
; %bb.45:                               ;   in Loop: Header=BB56_2 Depth=1
	v_bcnt_u32_b32 v70, v196, 0
	v_bcnt_u32_b32 v70, v197, v70
	s_waitcnt lgkmcnt(0)
	v_add_u32_e32 v70, v66, v70
	ds_write_b32 v201, v70 offset:8
.LBB56_46:                              ;   in Loop: Header=BB56_2 Depth=1
	s_or_b64 exec, exec, s[90:91]
	v_readlane_b32 s90, v254, 56
	v_cndmask_b32_e64 v72, 0, 1, s[60:61]
	v_readlane_b32 s91, v254, 57
	v_cmp_ne_u32_e32 vcc, 0, v72
	v_cndmask_b32_e64 v76, 0, 1, s[90:91]
	v_xor_b32_e32 v72, vcc_hi, v243
	v_xor_b32_e32 v74, vcc_lo, v242
	v_cmp_ne_u32_e32 vcc, 0, v76
	v_readlane_b32 s90, v254, 58
	v_and_b32_e32 v72, exec_hi, v72
	v_xor_b32_e32 v76, vcc_hi, v115
	v_readlane_b32 s91, v254, 59
	v_and_b32_e32 v72, v72, v76
	v_cndmask_b32_e64 v76, 0, 1, s[90:91]
	v_xor_b32_e32 v78, vcc_lo, v118
	v_cmp_ne_u32_e32 vcc, 0, v76
	v_readlane_b32 s90, v254, 60
	v_xor_b32_e32 v76, vcc_hi, v117
	v_readlane_b32 s91, v254, 61
	v_and_b32_e32 v74, exec_lo, v74
	v_and_b32_e32 v72, v72, v76
	v_cndmask_b32_e64 v76, 0, 1, s[90:91]
	v_and_b32_e32 v74, v74, v78
	;; [unrolled: 48-line block ×12, first 2 shown]
	v_xor_b32_e32 v212, vcc_lo, v180
	v_cmp_ne_u32_e32 vcc, 0, v197
	v_and_b32_e32 v196, v196, v212
	v_xor_b32_e32 v212, vcc_lo, v182
	; wave barrier
	ds_read_b32 v106, v54 offset:8
	v_xor_b32_e32 v197, vcc_hi, v179
	v_and_b32_e32 v196, v196, v212
	v_and_b32_e32 v197, v108, v197
	v_mbcnt_lo_u32_b32 v108, v196, 0
	v_mbcnt_hi_u32_b32 v108, v197, v108
	v_cmp_eq_u32_e32 vcc, 0, v108
	v_cmp_ne_u64_e64 s[90:91], 0, v[196:197]
	s_and_b64 vcc, s[90:91], vcc
	; wave barrier
	s_and_saveexec_b64 s[90:91], vcc
	s_cbranch_execz .LBB56_68
; %bb.67:                               ;   in Loop: Header=BB56_2 Depth=1
	v_bcnt_u32_b32 v196, v196, 0
	v_bcnt_u32_b32 v196, v197, v196
	s_waitcnt lgkmcnt(0)
	v_add_u32_e32 v196, v106, v196
	ds_write_b32 v54, v196 offset:8
.LBB56_68:                              ;   in Loop: Header=BB56_2 Depth=1
	s_or_b64 exec, exec, s[90:91]
	v_readlane_b32 s90, v255, 58
	v_cndmask_b32_e64 v196, 0, 1, s[82:83]
	v_readlane_b32 s91, v255, 59
	v_cmp_ne_u32_e32 vcc, 0, v196
	v_cndmask_b32_e64 v213, 0, 1, s[90:91]
	v_xor_b32_e32 v196, vcc_hi, v24
	v_xor_b32_e32 v197, vcc_lo, v22
	v_cmp_ne_u32_e32 vcc, 0, v213
	v_readlane_b32 s90, v255, 60
	v_and_b32_e32 v196, exec_hi, v196
	v_xor_b32_e32 v213, vcc_hi, v181
	v_readlane_b32 s91, v255, 61
	v_and_b32_e32 v196, v196, v213
	v_cndmask_b32_e64 v213, 0, 1, s[90:91]
	v_and_b32_e32 v197, exec_lo, v197
	v_xor_b32_e32 v214, vcc_lo, v184
	v_cmp_ne_u32_e32 vcc, 0, v213
	v_readlane_b32 s90, v255, 62
	v_and_b32_e32 v197, v197, v214
	v_xor_b32_e32 v213, vcc_hi, v183
	v_xor_b32_e32 v214, vcc_lo, v186
	v_readlane_b32 s91, v255, 63
	v_and_b32_e32 v196, v196, v213
	v_and_b32_e32 v213, v197, v214
	v_cndmask_b32_e64 v197, 0, 1, s[90:91]
	v_cmp_ne_u32_e32 vcc, 0, v197
	v_xor_b32_e32 v197, vcc_hi, v185
	v_xor_b32_e32 v214, vcc_lo, v188
	; wave barrier
	ds_read_b32 v212, v56 offset:8
	v_and_b32_e32 v197, v196, v197
	v_and_b32_e32 v196, v213, v214
	v_mbcnt_lo_u32_b32 v213, v196, 0
	v_mbcnt_hi_u32_b32 v213, v197, v213
	v_cmp_eq_u32_e32 vcc, 0, v213
	v_cmp_ne_u64_e64 s[90:91], 0, v[196:197]
	s_and_b64 vcc, s[90:91], vcc
	; wave barrier
	s_and_saveexec_b64 s[90:91], vcc
	s_cbranch_execz .LBB56_70
; %bb.69:                               ;   in Loop: Header=BB56_2 Depth=1
	v_bcnt_u32_b32 v196, v196, 0
	v_bcnt_u32_b32 v196, v197, v196
	s_waitcnt lgkmcnt(0)
	v_add_u32_e32 v196, v212, v196
	ds_write_b32 v56, v196 offset:8
.LBB56_70:                              ;   in Loop: Header=BB56_2 Depth=1
	s_or_b64 exec, exec, s[90:91]
	v_cndmask_b32_e64 v196, 0, 1, s[84:85]
	v_cmp_ne_u32_e32 vcc, 0, v196
	v_cndmask_b32_e64 v215, 0, 1, s[92:93]
	v_xor_b32_e32 v196, vcc_hi, v207
	v_xor_b32_e32 v197, vcc_lo, v26
	v_cmp_ne_u32_e32 vcc, 0, v215
	v_and_b32_e32 v196, exec_hi, v196
	v_xor_b32_e32 v215, vcc_hi, v187
	v_and_b32_e32 v196, v196, v215
	v_cndmask_b32_e64 v215, 0, 1, s[94:95]
	v_and_b32_e32 v197, exec_lo, v197
	v_xor_b32_e32 v216, vcc_lo, v190
	v_cmp_ne_u32_e32 vcc, 0, v215
	v_and_b32_e32 v197, v197, v216
	v_xor_b32_e32 v215, vcc_hi, v189
	v_xor_b32_e32 v216, vcc_lo, v192
	v_and_b32_e32 v196, v196, v215
	v_and_b32_e32 v215, v197, v216
	v_cndmask_b32_e64 v197, 0, 1, s[86:87]
	v_cmp_ne_u32_e32 vcc, 0, v197
	v_xor_b32_e32 v197, vcc_hi, v191
	v_xor_b32_e32 v216, vcc_lo, v194
	; wave barrier
	ds_read_b32 v214, v58 offset:8
	v_and_b32_e32 v197, v196, v197
	v_and_b32_e32 v196, v215, v216
	v_mbcnt_lo_u32_b32 v215, v196, 0
	v_mbcnt_hi_u32_b32 v215, v197, v215
	v_cmp_eq_u32_e32 vcc, 0, v215
	v_cmp_ne_u64_e64 s[90:91], 0, v[196:197]
	s_and_b64 vcc, s[90:91], vcc
	; wave barrier
	s_and_saveexec_b64 s[90:91], vcc
	s_cbranch_execz .LBB56_72
; %bb.71:                               ;   in Loop: Header=BB56_2 Depth=1
	v_bcnt_u32_b32 v196, v196, 0
	v_bcnt_u32_b32 v196, v197, v196
	s_waitcnt lgkmcnt(0)
	v_add_u32_e32 v196, v214, v196
	ds_write_b32 v58, v196 offset:8
.LBB56_72:                              ;   in Loop: Header=BB56_2 Depth=1
	s_or_b64 exec, exec, s[90:91]
	; wave barrier
	s_waitcnt lgkmcnt(0)
	s_barrier
	ds_read_b32 v196, v193 offset:8
	s_waitcnt lgkmcnt(0)
	s_nop 0
	v_mov_b32_dpp v197, v196 row_shr:1 row_mask:0xf bank_mask:0xf
	v_cndmask_b32_e64 v197, v197, 0, s[6:7]
	v_add_u32_e32 v196, v197, v196
	s_nop 1
	v_mov_b32_dpp v197, v196 row_shr:2 row_mask:0xf bank_mask:0xf
	v_cndmask_b32_e64 v197, 0, v197, s[8:9]
	v_add_u32_e32 v196, v196, v197
	;; [unrolled: 4-line block ×4, first 2 shown]
	s_nop 1
	v_mov_b32_dpp v197, v196 row_bcast:15 row_mask:0xf bank_mask:0xf
	v_cndmask_b32_e64 v197, v197, 0, s[14:15]
	v_add_u32_e32 v196, v196, v197
	s_nop 1
	v_mov_b32_dpp v197, v196 row_bcast:31 row_mask:0xf bank_mask:0xf
	v_cndmask_b32_e64 v197, 0, v197, s[16:17]
	v_add_u32_e32 v196, v196, v197
	s_and_saveexec_b64 s[90:91], s[0:1]
	s_cbranch_execz .LBB56_74
; %bb.73:                               ;   in Loop: Header=BB56_2 Depth=1
	v_accvgpr_read_b32 v197, a1
	ds_write_b32 v197, v196
.LBB56_74:                              ;   in Loop: Header=BB56_2 Depth=1
	s_or_b64 exec, exec, s[90:91]
	s_waitcnt lgkmcnt(0)
	s_barrier
	s_and_saveexec_b64 s[90:91], s[2:3]
	s_cbranch_execz .LBB56_76
; %bb.75:                               ;   in Loop: Header=BB56_2 Depth=1
	ds_read_b32 v197, v193
	s_waitcnt lgkmcnt(0)
	s_nop 0
	v_mov_b32_dpp v216, v197 row_shr:1 row_mask:0xf bank_mask:0xf
	v_cndmask_b32_e64 v216, v216, 0, s[18:19]
	v_add_u32_e32 v197, v216, v197
	ds_write_b32 v193, v197
.LBB56_76:                              ;   in Loop: Header=BB56_2 Depth=1
	s_or_b64 exec, exec, s[90:91]
	v_mov_b32_e32 v197, 0
	s_waitcnt lgkmcnt(0)
	s_barrier
	s_and_saveexec_b64 s[90:91], s[4:5]
	s_cbranch_execz .LBB56_1
; %bb.77:                               ;   in Loop: Header=BB56_2 Depth=1
	v_accvgpr_read_b32 v197, a3
	ds_read_b32 v197, v197
	s_branch .LBB56_1
.LBB56_78:
	v_accvgpr_read_b32 v1, a31
	ds_read_b32 v4, v58 offset:8
	ds_read_b32 v5, v56 offset:8
	;; [unrolled: 1-line block ×16, first 2 shown]
	v_readlane_b32 s0, v253, 4
	v_readlane_b32 s4, v253, 0
	;; [unrolled: 1-line block ×5, first 2 shown]
	s_lshl_b64 s[0:1], s[0:1], 2
	s_mov_b64 s[2:3], s[6:7]
	s_add_u32 s0, s2, s0
	v_accvgpr_read_b32 v18, a0
	s_addc_u32 s1, s3, s1
	v_lshlrev_b32_e32 v17, 2, v18
	s_waitcnt lgkmcnt(1)
	v_add3_u32 v1, v64, v62, v0
	s_waitcnt lgkmcnt(0)
	v_add_u32_e32 v0, v3, v60
	v_add3_u32 v3, v72, v70, v2
	v_add3_u32 v2, v68, v66, v16
	global_store_dwordx4 v17, v[0:3], s[0:1]
	v_readlane_b32 s5, v253, 1
	v_add3_u32 v1, v76, v211, v14
	v_add3_u32 v0, v210, v74, v15
	;; [unrolled: 1-line block ×4, first 2 shown]
	global_store_dwordx4 v17, v[0:3], s[0:1] offset:16
	s_nop 0
	v_add3_u32 v1, v92, v90, v10
	v_add3_u32 v0, v88, v86, v11
	;; [unrolled: 1-line block ×4, first 2 shown]
	global_store_dwordx4 v17, v[0:3], s[0:1] offset:32
	s_nop 0
	v_add3_u32 v1, v108, v106, v6
	v_add3_u32 v0, v104, v102, v7
	;; [unrolled: 1-line block ×4, first 2 shown]
	global_store_dwordx4 v17, v[0:3], s[0:1] offset:48
	s_endpgm
	.section	.rodata,"a",@progbits
	.p2align	6, 0x0
	.amdhsa_kernel _Z11rank_kernelIhLj4ELb0EL18RadixRankAlgorithm2ELj128ELj16ELj10EEvPKT_Pi
		.amdhsa_group_segment_fixed_size 520
		.amdhsa_private_segment_fixed_size 0
		.amdhsa_kernarg_size 272
		.amdhsa_user_sgpr_count 6
		.amdhsa_user_sgpr_private_segment_buffer 1
		.amdhsa_user_sgpr_dispatch_ptr 0
		.amdhsa_user_sgpr_queue_ptr 0
		.amdhsa_user_sgpr_kernarg_segment_ptr 1
		.amdhsa_user_sgpr_dispatch_id 0
		.amdhsa_user_sgpr_flat_scratch_init 0
		.amdhsa_user_sgpr_kernarg_preload_length 0
		.amdhsa_user_sgpr_kernarg_preload_offset 0
		.amdhsa_user_sgpr_private_segment_size 0
		.amdhsa_uses_dynamic_stack 0
		.amdhsa_system_sgpr_private_segment_wavefront_offset 0
		.amdhsa_system_sgpr_workgroup_id_x 1
		.amdhsa_system_sgpr_workgroup_id_y 0
		.amdhsa_system_sgpr_workgroup_id_z 0
		.amdhsa_system_sgpr_workgroup_info 0
		.amdhsa_system_vgpr_workitem_id 2
		.amdhsa_next_free_vgpr 373
		.amdhsa_next_free_sgpr 96
		.amdhsa_accum_offset 256
		.amdhsa_reserve_vcc 1
		.amdhsa_reserve_flat_scratch 0
		.amdhsa_float_round_mode_32 0
		.amdhsa_float_round_mode_16_64 0
		.amdhsa_float_denorm_mode_32 3
		.amdhsa_float_denorm_mode_16_64 3
		.amdhsa_dx10_clamp 1
		.amdhsa_ieee_mode 1
		.amdhsa_fp16_overflow 0
		.amdhsa_tg_split 0
		.amdhsa_exception_fp_ieee_invalid_op 0
		.amdhsa_exception_fp_denorm_src 0
		.amdhsa_exception_fp_ieee_div_zero 0
		.amdhsa_exception_fp_ieee_overflow 0
		.amdhsa_exception_fp_ieee_underflow 0
		.amdhsa_exception_fp_ieee_inexact 0
		.amdhsa_exception_int_div_zero 0
	.end_amdhsa_kernel
	.section	.text._Z11rank_kernelIhLj4ELb0EL18RadixRankAlgorithm2ELj128ELj16ELj10EEvPKT_Pi,"axG",@progbits,_Z11rank_kernelIhLj4ELb0EL18RadixRankAlgorithm2ELj128ELj16ELj10EEvPKT_Pi,comdat
.Lfunc_end56:
	.size	_Z11rank_kernelIhLj4ELb0EL18RadixRankAlgorithm2ELj128ELj16ELj10EEvPKT_Pi, .Lfunc_end56-_Z11rank_kernelIhLj4ELb0EL18RadixRankAlgorithm2ELj128ELj16ELj10EEvPKT_Pi
                                        ; -- End function
	.section	.AMDGPU.csdata,"",@progbits
; Kernel info:
; codeLenInByte = 16228
; NumSgprs: 100
; NumVgprs: 256
; NumAgprs: 117
; TotalNumVgprs: 373
; ScratchSize: 0
; MemoryBound: 0
; FloatMode: 240
; IeeeMode: 1
; LDSByteSize: 520 bytes/workgroup (compile time only)
; SGPRBlocks: 12
; VGPRBlocks: 46
; NumSGPRsForWavesPerEU: 100
; NumVGPRsForWavesPerEU: 373
; AccumOffset: 256
; Occupancy: 1
; WaveLimiterHint : 0
; COMPUTE_PGM_RSRC2:SCRATCH_EN: 0
; COMPUTE_PGM_RSRC2:USER_SGPR: 6
; COMPUTE_PGM_RSRC2:TRAP_HANDLER: 0
; COMPUTE_PGM_RSRC2:TGID_X_EN: 1
; COMPUTE_PGM_RSRC2:TGID_Y_EN: 0
; COMPUTE_PGM_RSRC2:TGID_Z_EN: 0
; COMPUTE_PGM_RSRC2:TIDIG_COMP_CNT: 2
; COMPUTE_PGM_RSRC3_GFX90A:ACCUM_OFFSET: 63
; COMPUTE_PGM_RSRC3_GFX90A:TG_SPLIT: 0
	.section	.text._Z11rank_kernelIhLj4ELb0EL18RadixRankAlgorithm0ELj128ELj32ELj10EEvPKT_Pi,"axG",@progbits,_Z11rank_kernelIhLj4ELb0EL18RadixRankAlgorithm0ELj128ELj32ELj10EEvPKT_Pi,comdat
	.protected	_Z11rank_kernelIhLj4ELb0EL18RadixRankAlgorithm0ELj128ELj32ELj10EEvPKT_Pi ; -- Begin function _Z11rank_kernelIhLj4ELb0EL18RadixRankAlgorithm0ELj128ELj32ELj10EEvPKT_Pi
	.globl	_Z11rank_kernelIhLj4ELb0EL18RadixRankAlgorithm0ELj128ELj32ELj10EEvPKT_Pi
	.p2align	8
	.type	_Z11rank_kernelIhLj4ELb0EL18RadixRankAlgorithm0ELj128ELj32ELj10EEvPKT_Pi,@function
_Z11rank_kernelIhLj4ELb0EL18RadixRankAlgorithm0ELj128ELj32ELj10EEvPKT_Pi: ; @_Z11rank_kernelIhLj4ELb0EL18RadixRankAlgorithm0ELj128ELj32ELj10EEvPKT_Pi
; %bb.0:
	s_load_dwordx4 s[20:23], s[4:5], 0x0
	s_lshl_b32 s24, s6, 12
	v_lshlrev_b32_e32 v10, 5, v0
	v_mbcnt_lo_u32_b32 v1, -1, 0
	v_mbcnt_hi_u32_b32 v1, -1, v1
	s_waitcnt lgkmcnt(0)
	s_add_u32 s0, s20, s24
	s_addc_u32 s1, s21, 0
	global_load_dwordx4 v[2:5], v10, s[0:1]
	global_load_dwordx4 v[6:9], v10, s[0:1] offset:16
	v_and_b32_e32 v12, 15, v1
	v_cmp_eq_u32_e64 s[0:1], 0, v12
	v_cmp_lt_u32_e64 s[2:3], 1, v12
	v_cmp_lt_u32_e64 s[4:5], 3, v12
	;; [unrolled: 1-line block ×3, first 2 shown]
	v_and_b32_e32 v12, 16, v1
	v_cmp_eq_u32_e64 s[8:9], 0, v12
	v_or_b32_e32 v12, 63, v0
	v_cmp_eq_u32_e64 s[12:13], v12, v0
	v_add_u32_e32 v12, -1, v1
	v_and_b32_e32 v13, 64, v1
	v_cmp_lt_i32_e32 vcc, v12, v13
	v_cndmask_b32_e32 v12, v12, v1, vcc
	s_mov_b32 s25, 0
	v_cmp_lt_u32_e64 s[10:11], 31, v1
	v_lshlrev_b32_e32 v14, 2, v12
	v_cmp_eq_u32_e64 s[18:19], 0, v1
	v_lshrrev_b32_e32 v12, 4, v0
	v_and_b32_e32 v1, 1, v1
	v_mov_b32_e32 v11, 0
	v_cmp_gt_u32_e64 s[14:15], 2, v0
	v_cmp_lt_u32_e64 s[16:17], 63, v0
	v_and_b32_e32 v15, 4, v12
	v_lshlrev_b32_e32 v16, 2, v0
	v_cmp_eq_u32_e64 s[20:21], 0, v1
	v_or_b32_e32 v1, 0x80, v0
	s_movk_i32 s33, 0x380
	s_mov_b32 s36, s25
	s_branch .LBB57_2
.LBB57_1:                               ;   in Loop: Header=BB57_2 Depth=1
	s_add_i32 s36, s36, 1
	s_cmp_eq_u32 s36, 10
	s_cbranch_scc1 .LBB57_16
.LBB57_2:                               ; =>This Loop Header: Depth=1
                                        ;     Child Loop BB57_4 Depth 2
                                        ;       Child Loop BB57_6 Depth 3
	s_mov_b32 s37, 28
	s_mov_b64 s[26:27], -1
	s_branch .LBB57_4
.LBB57_3:                               ;   in Loop: Header=BB57_4 Depth=2
	s_or_b64 exec, exec, s[28:29]
	s_waitcnt lgkmcnt(0)
	v_add_u32_e32 v79, v80, v79
	ds_bpermute_b32 v79, v14, v79
	ds_read_b32 v82, v11 offset:4100
	s_mov_b32 s37, 24
	s_andn2_b64 vcc, exec, s[26:27]
	s_mov_b64 s[26:27], 0
	s_waitcnt lgkmcnt(1)
	v_cndmask_b32_e64 v79, v79, v80, s[18:19]
	ds_read2_b32 v[80:81], v10 offset1:1
	s_waitcnt lgkmcnt(1)
	v_lshl_add_u32 v79, v82, 16, v79
	ds_read2_b32 v[82:83], v10 offset0:2 offset1:3
	ds_read2_b32 v[84:85], v10 offset0:4 offset1:5
	ds_read_b32 v86, v10 offset:24
	s_waitcnt lgkmcnt(3)
	v_add_u32_e32 v80, v79, v80
	ds_write2_b32 v10, v79, v80 offset1:1
	v_add_u32_e32 v79, v81, v80
	s_waitcnt lgkmcnt(3)
	v_add_u32_e32 v80, v82, v79
	ds_write2_b32 v10, v79, v80 offset0:2 offset1:3
	v_add_u32_e32 v79, v83, v80
	s_waitcnt lgkmcnt(3)
	v_add_u32_e32 v80, v84, v79
	ds_write2_b32 v10, v79, v80 offset0:4 offset1:5
	;; [unrolled: 4-line block ×3, first 2 shown]
	s_waitcnt lgkmcnt(0)
	s_barrier
	s_cbranch_vccz .LBB57_1
.LBB57_4:                               ;   Parent Loop BB57_2 Depth=1
                                        ; =>  This Loop Header: Depth=2
                                        ;       Child Loop BB57_6 Depth 3
	s_xor_b64 s[26:27], s[26:27], -1
	s_mov_b32 s38, 0
	s_mov_b64 s[28:29], 0
	v_pk_mov_b32 v[12:13], v[0:1], v[0:1] op_sel:[0,1]
	s_branch .LBB57_6
.LBB57_5:                               ;   in Loop: Header=BB57_6 Depth=3
	s_or_b64 exec, exec, s[34:35]
	s_add_i32 s38, s38, 2
	v_cmp_eq_u32_e64 s[30:31], 8, s38
	v_add_u32_e32 v13, 0x100, v13
	s_or_b64 s[28:29], s[30:31], s[28:29]
	v_add_u32_e32 v12, 0x100, v12
	s_andn2_b64 exec, exec, s[28:29]
	s_cbranch_execz .LBB57_10
.LBB57_6:                               ;   Parent Loop BB57_2 Depth=1
                                        ;     Parent Loop BB57_4 Depth=2
                                        ; =>    This Inner Loop Header: Depth=3
	s_or_b32 s30, s38, 1
	v_cmp_le_u32_e64 s[30:31], s30, 7
	v_cmp_le_u32_e64 s[40:41], s38, 7
	s_and_saveexec_b64 s[34:35], s[40:41]
	s_cbranch_execz .LBB57_8
; %bb.7:                                ;   in Loop: Header=BB57_6 Depth=3
	v_lshlrev_b32_e32 v17, 2, v12
	ds_write_b32 v17, v11
.LBB57_8:                               ;   in Loop: Header=BB57_6 Depth=3
	s_or_b64 exec, exec, s[34:35]
	s_and_saveexec_b64 s[34:35], s[30:31]
	s_cbranch_execz .LBB57_5
; %bb.9:                                ;   in Loop: Header=BB57_6 Depth=3
	v_lshlrev_b32_e32 v17, 2, v13
	ds_write_b32 v17, v11
	s_branch .LBB57_5
.LBB57_10:                              ;   in Loop: Header=BB57_4 Depth=2
	s_or_b64 exec, exec, s[28:29]
	s_waitcnt vmcnt(1)
	v_lshlrev_b32_sdwa v12, s37, v2 dst_sel:DWORD dst_unused:UNUSED_PAD src0_sel:DWORD src1_sel:BYTE_0
	v_lshrrev_b32_e32 v13, 21, v12
	v_and_or_b32 v13, v13, s33, v0
	v_alignbit_b32 v12, v13, v12, 31
	v_lshlrev_b32_e32 v17, 1, v12
	ds_read_u16 v12, v17
	v_lshlrev_b32_sdwa v13, s37, v2 dst_sel:DWORD dst_unused:UNUSED_PAD src0_sel:DWORD src1_sel:BYTE_1
	v_lshrrev_b32_e32 v18, 21, v13
	v_and_or_b32 v18, v18, s33, v0
	v_alignbit_b32 v13, v18, v13, 31
	s_waitcnt lgkmcnt(0)
	v_add_u16_e32 v18, 1, v12
	ds_write_b16 v17, v18
	v_lshlrev_b32_e32 v19, 1, v13
	ds_read_u16 v13, v19
	v_lshlrev_b32_sdwa v18, s37, v2 dst_sel:DWORD dst_unused:UNUSED_PAD src0_sel:DWORD src1_sel:BYTE_2
	v_lshrrev_b32_e32 v20, 21, v18
	v_and_or_b32 v20, v20, s33, v0
	v_alignbit_b32 v18, v20, v18, 31
	s_waitcnt lgkmcnt(0)
	v_add_u16_e32 v21, 1, v13
	ds_write_b16 v19, v21
	v_lshlrev_b32_e32 v21, 1, v18
	ds_read_u16 v18, v21
	v_lshlrev_b32_sdwa v20, s37, v2 dst_sel:DWORD dst_unused:UNUSED_PAD src0_sel:DWORD src1_sel:BYTE_3
	v_lshrrev_b32_e32 v22, 21, v20
	v_and_or_b32 v22, v22, s33, v0
	v_alignbit_b32 v20, v22, v20, 31
	s_waitcnt lgkmcnt(0)
	v_add_u16_e32 v23, 1, v18
	ds_write_b16 v21, v23
	v_lshlrev_b32_e32 v24, 1, v20
	ds_read_u16 v20, v24
	v_lshlrev_b32_sdwa v22, s37, v3 dst_sel:DWORD dst_unused:UNUSED_PAD src0_sel:DWORD src1_sel:BYTE_0
	s_waitcnt lgkmcnt(0)
	v_add_u16_e32 v23, 1, v20
	ds_write_b16 v24, v23
	v_lshrrev_b32_e32 v23, 21, v22
	v_and_or_b32 v23, v23, s33, v0
	v_alignbit_b32 v22, v23, v22, 31
	v_lshlrev_b32_e32 v27, 1, v22
	ds_read_u16 v23, v27
	s_waitcnt lgkmcnt(0)
	v_add_u16_e32 v22, 1, v23
	ds_write_b16 v27, v22
	v_lshlrev_b32_sdwa v22, s37, v3 dst_sel:DWORD dst_unused:UNUSED_PAD src0_sel:DWORD src1_sel:BYTE_1
	v_lshrrev_b32_e32 v25, 21, v22
	v_and_or_b32 v25, v25, s33, v0
	v_alignbit_b32 v22, v25, v22, 31
	v_lshlrev_b32_e32 v31, 1, v22
	ds_read_u16 v26, v31
	s_waitcnt lgkmcnt(0)
	v_add_u16_e32 v22, 1, v26
	ds_write_b16 v31, v22
	v_lshlrev_b32_sdwa v22, s37, v3 dst_sel:DWORD dst_unused:UNUSED_PAD src0_sel:DWORD src1_sel:BYTE_2
	v_lshrrev_b32_e32 v25, 21, v22
	v_and_or_b32 v25, v25, s33, v0
	v_alignbit_b32 v22, v25, v22, 31
	v_lshlrev_b32_e32 v33, 1, v22
	ds_read_u16 v30, v33
	s_waitcnt lgkmcnt(0)
	v_add_u16_e32 v22, 1, v30
	ds_write_b16 v33, v22
	v_lshlrev_b32_sdwa v22, s37, v3 dst_sel:DWORD dst_unused:UNUSED_PAD src0_sel:DWORD src1_sel:BYTE_3
	v_lshrrev_b32_e32 v25, 21, v22
	v_and_or_b32 v25, v25, s33, v0
	v_alignbit_b32 v22, v25, v22, 31
	v_lshlrev_b32_e32 v36, 1, v22
	ds_read_u16 v22, v36
	s_waitcnt lgkmcnt(0)
	v_add_u16_e32 v25, 1, v22
	ds_write_b16 v36, v25
	v_lshlrev_b32_sdwa v25, s37, v4 dst_sel:DWORD dst_unused:UNUSED_PAD src0_sel:DWORD src1_sel:BYTE_0
	v_lshrrev_b32_e32 v28, 21, v25
	v_and_or_b32 v28, v28, s33, v0
	v_alignbit_b32 v25, v28, v25, 31
	v_lshlrev_b32_e32 v29, 1, v25
	ds_read_u16 v25, v29
	s_waitcnt lgkmcnt(0)
	v_add_u16_e32 v28, 1, v25
	ds_write_b16 v29, v28
	v_lshlrev_b32_sdwa v28, s37, v4 dst_sel:DWORD dst_unused:UNUSED_PAD src0_sel:DWORD src1_sel:BYTE_1
	v_lshrrev_b32_e32 v32, 21, v28
	v_and_or_b32 v32, v32, s33, v0
	v_alignbit_b32 v28, v32, v28, 31
	v_lshlrev_b32_e32 v34, 1, v28
	ds_read_u16 v28, v34
	s_waitcnt lgkmcnt(0)
	v_add_u16_e32 v32, 1, v28
	ds_write_b16 v34, v32
	v_lshlrev_b32_sdwa v32, s37, v4 dst_sel:DWORD dst_unused:UNUSED_PAD src0_sel:DWORD src1_sel:BYTE_2
	v_lshrrev_b32_e32 v35, 21, v32
	v_and_or_b32 v35, v35, s33, v0
	v_alignbit_b32 v32, v35, v32, 31
	v_lshlrev_b32_e32 v37, 1, v32
	ds_read_u16 v32, v37
	s_waitcnt lgkmcnt(0)
	v_add_u16_e32 v35, 1, v32
	ds_write_b16 v37, v35
	v_lshlrev_b32_sdwa v35, s37, v4 dst_sel:DWORD dst_unused:UNUSED_PAD src0_sel:DWORD src1_sel:BYTE_3
	v_lshrrev_b32_e32 v38, 21, v35
	v_and_or_b32 v38, v38, s33, v0
	v_alignbit_b32 v35, v38, v35, 31
	v_lshlrev_b32_e32 v40, 1, v35
	ds_read_u16 v35, v40
	s_waitcnt lgkmcnt(0)
	v_add_u16_e32 v38, 1, v35
	ds_write_b16 v40, v38
	v_lshlrev_b32_sdwa v38, s37, v5 dst_sel:DWORD dst_unused:UNUSED_PAD src0_sel:DWORD src1_sel:BYTE_0
	v_lshrrev_b32_e32 v39, 21, v38
	v_and_or_b32 v39, v39, s33, v0
	v_alignbit_b32 v38, v39, v38, 31
	v_lshlrev_b32_e32 v42, 1, v38
	ds_read_u16 v38, v42
	s_waitcnt lgkmcnt(0)
	v_add_u16_e32 v39, 1, v38
	ds_write_b16 v42, v39
	v_lshlrev_b32_sdwa v39, s37, v5 dst_sel:DWORD dst_unused:UNUSED_PAD src0_sel:DWORD src1_sel:BYTE_1
	v_lshrrev_b32_e32 v41, 21, v39
	v_and_or_b32 v41, v41, s33, v0
	v_alignbit_b32 v39, v41, v39, 31
	v_lshlrev_b32_e32 v44, 1, v39
	ds_read_u16 v39, v44
	s_waitcnt lgkmcnt(0)
	v_add_u16_e32 v41, 1, v39
	ds_write_b16 v44, v41
	v_lshlrev_b32_sdwa v41, s37, v5 dst_sel:DWORD dst_unused:UNUSED_PAD src0_sel:DWORD src1_sel:BYTE_2
	v_lshrrev_b32_e32 v43, 21, v41
	v_and_or_b32 v43, v43, s33, v0
	v_alignbit_b32 v41, v43, v41, 31
	v_lshlrev_b32_e32 v46, 1, v41
	ds_read_u16 v41, v46
	s_waitcnt lgkmcnt(0)
	v_add_u16_e32 v43, 1, v41
	ds_write_b16 v46, v43
	v_lshlrev_b32_sdwa v43, s37, v5 dst_sel:DWORD dst_unused:UNUSED_PAD src0_sel:DWORD src1_sel:BYTE_3
	v_lshrrev_b32_e32 v45, 21, v43
	v_and_or_b32 v45, v45, s33, v0
	v_alignbit_b32 v43, v45, v43, 31
	v_lshlrev_b32_e32 v50, 1, v43
	ds_read_u16 v43, v50
	s_waitcnt lgkmcnt(0)
	v_add_u16_e32 v45, 1, v43
	ds_write_b16 v50, v45
	s_waitcnt vmcnt(0)
	v_lshlrev_b32_sdwa v45, s37, v6 dst_sel:DWORD dst_unused:UNUSED_PAD src0_sel:DWORD src1_sel:BYTE_0
	v_lshrrev_b32_e32 v47, 21, v45
	v_and_or_b32 v47, v47, s33, v0
	v_alignbit_b32 v45, v47, v45, 31
	v_lshlrev_b32_e32 v48, 1, v45
	ds_read_u16 v45, v48
	s_waitcnt lgkmcnt(0)
	v_add_u16_e32 v47, 1, v45
	ds_write_b16 v48, v47
	v_lshlrev_b32_sdwa v47, s37, v6 dst_sel:DWORD dst_unused:UNUSED_PAD src0_sel:DWORD src1_sel:BYTE_1
	v_lshrrev_b32_e32 v49, 21, v47
	v_and_or_b32 v49, v49, s33, v0
	v_alignbit_b32 v47, v49, v47, 31
	v_lshlrev_b32_e32 v51, 1, v47
	ds_read_u16 v47, v51
	s_waitcnt lgkmcnt(0)
	v_add_u16_e32 v49, 1, v47
	ds_write_b16 v51, v49
	v_lshlrev_b32_sdwa v49, s37, v6 dst_sel:DWORD dst_unused:UNUSED_PAD src0_sel:DWORD src1_sel:BYTE_2
	v_lshrrev_b32_e32 v52, 21, v49
	v_and_or_b32 v52, v52, s33, v0
	v_alignbit_b32 v49, v52, v49, 31
	v_lshlrev_b32_e32 v53, 1, v49
	ds_read_u16 v49, v53
	s_waitcnt lgkmcnt(0)
	v_add_u16_e32 v52, 1, v49
	ds_write_b16 v53, v52
	v_lshlrev_b32_sdwa v52, s37, v6 dst_sel:DWORD dst_unused:UNUSED_PAD src0_sel:DWORD src1_sel:BYTE_3
	v_lshrrev_b32_e32 v54, 21, v52
	v_and_or_b32 v54, v54, s33, v0
	v_alignbit_b32 v52, v54, v52, 31
	v_lshlrev_b32_e32 v56, 1, v52
	ds_read_u16 v52, v56
	s_waitcnt lgkmcnt(0)
	v_add_u16_e32 v54, 1, v52
	ds_write_b16 v56, v54
	v_lshlrev_b32_sdwa v54, s37, v7 dst_sel:DWORD dst_unused:UNUSED_PAD src0_sel:DWORD src1_sel:BYTE_0
	v_lshrrev_b32_e32 v55, 21, v54
	v_and_or_b32 v55, v55, s33, v0
	v_alignbit_b32 v54, v55, v54, 31
	v_lshlrev_b32_e32 v58, 1, v54
	ds_read_u16 v54, v58
	s_waitcnt lgkmcnt(0)
	v_add_u16_e32 v55, 1, v54
	ds_write_b16 v58, v55
	v_lshlrev_b32_sdwa v55, s37, v7 dst_sel:DWORD dst_unused:UNUSED_PAD src0_sel:DWORD src1_sel:BYTE_1
	v_lshrrev_b32_e32 v57, 21, v55
	v_and_or_b32 v57, v57, s33, v0
	v_alignbit_b32 v55, v57, v55, 31
	v_lshlrev_b32_e32 v60, 1, v55
	ds_read_u16 v55, v60
	s_waitcnt lgkmcnt(0)
	v_add_u16_e32 v57, 1, v55
	ds_write_b16 v60, v57
	v_lshlrev_b32_sdwa v57, s37, v7 dst_sel:DWORD dst_unused:UNUSED_PAD src0_sel:DWORD src1_sel:BYTE_2
	v_lshrrev_b32_e32 v59, 21, v57
	v_and_or_b32 v59, v59, s33, v0
	v_alignbit_b32 v57, v59, v57, 31
	v_lshlrev_b32_e32 v62, 1, v57
	ds_read_u16 v57, v62
	s_waitcnt lgkmcnt(0)
	v_add_u16_e32 v59, 1, v57
	ds_write_b16 v62, v59
	v_lshlrev_b32_sdwa v59, s37, v7 dst_sel:DWORD dst_unused:UNUSED_PAD src0_sel:DWORD src1_sel:BYTE_3
	v_lshrrev_b32_e32 v61, 21, v59
	v_and_or_b32 v61, v61, s33, v0
	v_alignbit_b32 v59, v61, v59, 31
	v_lshlrev_b32_e32 v65, 1, v59
	ds_read_u16 v59, v65
	s_waitcnt lgkmcnt(0)
	v_add_u16_e32 v61, 1, v59
	ds_write_b16 v65, v61
	;; [unrolled: 36-line block ×4, first 2 shown]
	s_waitcnt lgkmcnt(0)
	s_barrier
	ds_read2_b32 v[80:81], v10 offset1:1
	ds_read2_b32 v[82:83], v10 offset0:2 offset1:3
	ds_read2_b32 v[84:85], v10 offset0:4 offset1:5
	;; [unrolled: 1-line block ×3, first 2 shown]
	s_waitcnt lgkmcnt(3)
	v_add_u32_e32 v79, v81, v80
	s_waitcnt lgkmcnt(2)
	v_add3_u32 v79, v79, v82, v83
	s_waitcnt lgkmcnt(1)
	v_add3_u32 v79, v79, v84, v85
	;; [unrolled: 2-line block ×3, first 2 shown]
	s_nop 1
	v_mov_b32_dpp v80, v79 row_shr:1 row_mask:0xf bank_mask:0xf
	v_cndmask_b32_e64 v80, v80, 0, s[0:1]
	v_add_u32_e32 v79, v80, v79
	s_nop 1
	v_mov_b32_dpp v80, v79 row_shr:2 row_mask:0xf bank_mask:0xf
	v_cndmask_b32_e64 v80, 0, v80, s[2:3]
	v_add_u32_e32 v79, v79, v80
	s_nop 1
	v_mov_b32_dpp v80, v79 row_shr:4 row_mask:0xf bank_mask:0xf
	v_cndmask_b32_e64 v80, 0, v80, s[4:5]
	v_add_u32_e32 v79, v79, v80
	s_nop 1
	v_mov_b32_dpp v80, v79 row_shr:8 row_mask:0xf bank_mask:0xf
	v_cndmask_b32_e64 v80, 0, v80, s[6:7]
	v_add_u32_e32 v79, v79, v80
	s_nop 1
	v_mov_b32_dpp v80, v79 row_bcast:15 row_mask:0xf bank_mask:0xf
	v_cndmask_b32_e64 v80, v80, 0, s[8:9]
	v_add_u32_e32 v79, v79, v80
	s_nop 1
	v_mov_b32_dpp v80, v79 row_bcast:31 row_mask:0xf bank_mask:0xf
	v_cndmask_b32_e64 v80, 0, v80, s[10:11]
	v_add_u32_e32 v79, v79, v80
	s_and_saveexec_b64 s[28:29], s[12:13]
	s_cbranch_execz .LBB57_12
; %bb.11:                               ;   in Loop: Header=BB57_4 Depth=2
	ds_write_b32 v15, v79 offset:4096
.LBB57_12:                              ;   in Loop: Header=BB57_4 Depth=2
	s_or_b64 exec, exec, s[28:29]
	s_waitcnt lgkmcnt(0)
	s_barrier
	s_and_saveexec_b64 s[28:29], s[14:15]
	s_cbranch_execz .LBB57_14
; %bb.13:                               ;   in Loop: Header=BB57_4 Depth=2
	ds_read_b32 v80, v16 offset:4096
	s_waitcnt lgkmcnt(0)
	s_nop 0
	v_mov_b32_dpp v81, v80 row_shr:1 row_mask:0xf bank_mask:0xf
	v_cndmask_b32_e64 v81, v81, 0, s[20:21]
	v_add_u32_e32 v80, v81, v80
	ds_write_b32 v16, v80 offset:4096
.LBB57_14:                              ;   in Loop: Header=BB57_4 Depth=2
	s_or_b64 exec, exec, s[28:29]
	v_mov_b32_e32 v80, 0
	s_waitcnt lgkmcnt(0)
	s_barrier
	s_and_saveexec_b64 s[28:29], s[16:17]
	s_cbranch_execz .LBB57_3
; %bb.15:                               ;   in Loop: Header=BB57_4 Depth=2
	ds_read_b32 v80, v15 offset:4092
	s_branch .LBB57_3
.LBB57_16:
	ds_read_u16 v0, v17
	ds_read_u16 v1, v19
	;; [unrolled: 1-line block ×8, first 2 shown]
	s_waitcnt lgkmcnt(7)
	v_add_u32_sdwa v0, v0, v12 dst_sel:DWORD dst_unused:UNUSED_PAD src0_sel:DWORD src1_sel:WORD_0
	s_waitcnt lgkmcnt(6)
	v_add_u32_sdwa v1, v1, v13 dst_sel:DWORD dst_unused:UNUSED_PAD src0_sel:DWORD src1_sel:WORD_0
	;; [unrolled: 2-line block ×7, first 2 shown]
	ds_read_u16 v8, v78
	ds_read_u16 v9, v77
	ds_read_u16 v11, v76
	ds_read_u16 v33, v75
	ds_read_u16 v31, v74
	ds_read_u16 v30, v73
	ds_read_u16 v36, v70
	ds_read_u16 v68, v68
	ds_read_u16 v19, v50
	ds_read_u16 v18, v46
	ds_read_u16 v17, v44
	ds_read_u16 v16, v42
	ds_read_u16 v15, v40
	ds_read_u16 v14, v37
	ds_read_u16 v13, v34
	ds_read_u16 v12, v29
	ds_read_u16 v27, v65
	ds_read_u16 v26, v62
	ds_read_u16 v29, v60
	ds_read_u16 v24, v58
	ds_read_u16 v23, v56
	ds_read_u16 v34, v53
	ds_read_u16 v21, v51
	ds_read_u16 v20, v48
	s_lshl_b64 s[0:1], s[24:25], 2
	s_add_u32 s0, s22, s0
	s_waitcnt lgkmcnt(11)
	v_add_u32_sdwa v15, v15, v35 dst_sel:DWORD dst_unused:UNUSED_PAD src0_sel:DWORD src1_sel:WORD_0
	v_add_u32_sdwa v35, v8, v72 dst_sel:DWORD dst_unused:UNUSED_PAD src0_sel:DWORD src1_sel:WORD_0
	s_addc_u32 s1, s23, s1
	v_lshlrev_b32_e32 v8, 2, v10
	v_add_u32_sdwa v7, v7, v22 dst_sel:DWORD dst_unused:UNUSED_PAD src0_sel:DWORD src1_sel:WORD_0
	s_waitcnt lgkmcnt(8)
	v_add_u32_sdwa v12, v12, v25 dst_sel:DWORD dst_unused:UNUSED_PAD src0_sel:DWORD src1_sel:WORD_0
	v_add_u32_sdwa v13, v13, v28 dst_sel:DWORD dst_unused:UNUSED_PAD src0_sel:DWORD src1_sel:WORD_0
	;; [unrolled: 1-line block ×7, first 2 shown]
	s_waitcnt lgkmcnt(0)
	v_add_u32_sdwa v20, v20, v45 dst_sel:DWORD dst_unused:UNUSED_PAD src0_sel:DWORD src1_sel:WORD_0
	v_add_u32_sdwa v21, v21, v47 dst_sel:DWORD dst_unused:UNUSED_PAD src0_sel:DWORD src1_sel:WORD_0
	;; [unrolled: 1-line block ×15, first 2 shown]
	global_store_dwordx4 v8, v[0:3], s[0:1]
	global_store_dwordx4 v8, v[4:7], s[0:1] offset:16
	global_store_dwordx4 v8, v[12:15], s[0:1] offset:32
	;; [unrolled: 1-line block ×7, first 2 shown]
	s_endpgm
	.section	.rodata,"a",@progbits
	.p2align	6, 0x0
	.amdhsa_kernel _Z11rank_kernelIhLj4ELb0EL18RadixRankAlgorithm0ELj128ELj32ELj10EEvPKT_Pi
		.amdhsa_group_segment_fixed_size 4104
		.amdhsa_private_segment_fixed_size 0
		.amdhsa_kernarg_size 16
		.amdhsa_user_sgpr_count 6
		.amdhsa_user_sgpr_private_segment_buffer 1
		.amdhsa_user_sgpr_dispatch_ptr 0
		.amdhsa_user_sgpr_queue_ptr 0
		.amdhsa_user_sgpr_kernarg_segment_ptr 1
		.amdhsa_user_sgpr_dispatch_id 0
		.amdhsa_user_sgpr_flat_scratch_init 0
		.amdhsa_user_sgpr_kernarg_preload_length 0
		.amdhsa_user_sgpr_kernarg_preload_offset 0
		.amdhsa_user_sgpr_private_segment_size 0
		.amdhsa_uses_dynamic_stack 0
		.amdhsa_system_sgpr_private_segment_wavefront_offset 0
		.amdhsa_system_sgpr_workgroup_id_x 1
		.amdhsa_system_sgpr_workgroup_id_y 0
		.amdhsa_system_sgpr_workgroup_id_z 0
		.amdhsa_system_sgpr_workgroup_info 0
		.amdhsa_system_vgpr_workitem_id 0
		.amdhsa_next_free_vgpr 88
		.amdhsa_next_free_sgpr 42
		.amdhsa_accum_offset 88
		.amdhsa_reserve_vcc 1
		.amdhsa_reserve_flat_scratch 0
		.amdhsa_float_round_mode_32 0
		.amdhsa_float_round_mode_16_64 0
		.amdhsa_float_denorm_mode_32 3
		.amdhsa_float_denorm_mode_16_64 3
		.amdhsa_dx10_clamp 1
		.amdhsa_ieee_mode 1
		.amdhsa_fp16_overflow 0
		.amdhsa_tg_split 0
		.amdhsa_exception_fp_ieee_invalid_op 0
		.amdhsa_exception_fp_denorm_src 0
		.amdhsa_exception_fp_ieee_div_zero 0
		.amdhsa_exception_fp_ieee_overflow 0
		.amdhsa_exception_fp_ieee_underflow 0
		.amdhsa_exception_fp_ieee_inexact 0
		.amdhsa_exception_int_div_zero 0
	.end_amdhsa_kernel
	.section	.text._Z11rank_kernelIhLj4ELb0EL18RadixRankAlgorithm0ELj128ELj32ELj10EEvPKT_Pi,"axG",@progbits,_Z11rank_kernelIhLj4ELb0EL18RadixRankAlgorithm0ELj128ELj32ELj10EEvPKT_Pi,comdat
.Lfunc_end57:
	.size	_Z11rank_kernelIhLj4ELb0EL18RadixRankAlgorithm0ELj128ELj32ELj10EEvPKT_Pi, .Lfunc_end57-_Z11rank_kernelIhLj4ELb0EL18RadixRankAlgorithm0ELj128ELj32ELj10EEvPKT_Pi
                                        ; -- End function
	.section	.AMDGPU.csdata,"",@progbits
; Kernel info:
; codeLenInByte = 3352
; NumSgprs: 46
; NumVgprs: 88
; NumAgprs: 0
; TotalNumVgprs: 88
; ScratchSize: 0
; MemoryBound: 0
; FloatMode: 240
; IeeeMode: 1
; LDSByteSize: 4104 bytes/workgroup (compile time only)
; SGPRBlocks: 5
; VGPRBlocks: 10
; NumSGPRsForWavesPerEU: 46
; NumVGPRsForWavesPerEU: 88
; AccumOffset: 88
; Occupancy: 5
; WaveLimiterHint : 0
; COMPUTE_PGM_RSRC2:SCRATCH_EN: 0
; COMPUTE_PGM_RSRC2:USER_SGPR: 6
; COMPUTE_PGM_RSRC2:TRAP_HANDLER: 0
; COMPUTE_PGM_RSRC2:TGID_X_EN: 1
; COMPUTE_PGM_RSRC2:TGID_Y_EN: 0
; COMPUTE_PGM_RSRC2:TGID_Z_EN: 0
; COMPUTE_PGM_RSRC2:TIDIG_COMP_CNT: 0
; COMPUTE_PGM_RSRC3_GFX90A:ACCUM_OFFSET: 21
; COMPUTE_PGM_RSRC3_GFX90A:TG_SPLIT: 0
	.section	.text._Z11rank_kernelIhLj4ELb0EL18RadixRankAlgorithm1ELj128ELj32ELj10EEvPKT_Pi,"axG",@progbits,_Z11rank_kernelIhLj4ELb0EL18RadixRankAlgorithm1ELj128ELj32ELj10EEvPKT_Pi,comdat
	.protected	_Z11rank_kernelIhLj4ELb0EL18RadixRankAlgorithm1ELj128ELj32ELj10EEvPKT_Pi ; -- Begin function _Z11rank_kernelIhLj4ELb0EL18RadixRankAlgorithm1ELj128ELj32ELj10EEvPKT_Pi
	.globl	_Z11rank_kernelIhLj4ELb0EL18RadixRankAlgorithm1ELj128ELj32ELj10EEvPKT_Pi
	.p2align	8
	.type	_Z11rank_kernelIhLj4ELb0EL18RadixRankAlgorithm1ELj128ELj32ELj10EEvPKT_Pi,@function
_Z11rank_kernelIhLj4ELb0EL18RadixRankAlgorithm1ELj128ELj32ELj10EEvPKT_Pi: ; @_Z11rank_kernelIhLj4ELb0EL18RadixRankAlgorithm1ELj128ELj32ELj10EEvPKT_Pi
; %bb.0:
	s_load_dwordx4 s[20:23], s[4:5], 0x0
	s_lshl_b32 s24, s6, 12
	v_lshlrev_b32_e32 v10, 5, v0
	v_mbcnt_lo_u32_b32 v1, -1, 0
	v_mbcnt_hi_u32_b32 v1, -1, v1
	s_waitcnt lgkmcnt(0)
	s_add_u32 s0, s20, s24
	s_addc_u32 s1, s21, 0
	global_load_dwordx4 v[2:5], v10, s[0:1]
	global_load_dwordx4 v[6:9], v10, s[0:1] offset:16
	v_and_b32_e32 v12, 15, v1
	v_cmp_eq_u32_e64 s[0:1], 0, v12
	v_cmp_lt_u32_e64 s[2:3], 1, v12
	v_cmp_lt_u32_e64 s[4:5], 3, v12
	;; [unrolled: 1-line block ×3, first 2 shown]
	v_and_b32_e32 v12, 16, v1
	v_cmp_eq_u32_e64 s[8:9], 0, v12
	v_or_b32_e32 v12, 63, v0
	v_cmp_eq_u32_e64 s[12:13], v12, v0
	v_add_u32_e32 v12, -1, v1
	v_and_b32_e32 v13, 64, v1
	v_cmp_lt_i32_e32 vcc, v12, v13
	v_cndmask_b32_e32 v12, v12, v1, vcc
	s_mov_b32 s25, 0
	v_cmp_lt_u32_e64 s[10:11], 31, v1
	v_lshlrev_b32_e32 v20, 2, v12
	v_cmp_eq_u32_e64 s[18:19], 0, v1
	v_lshrrev_b32_e32 v12, 4, v0
	v_and_b32_e32 v1, 1, v1
	v_mov_b32_e32 v11, 0
	v_cmp_gt_u32_e64 s[14:15], 2, v0
	v_cmp_lt_u32_e64 s[16:17], 63, v0
	v_and_b32_e32 v21, 4, v12
	v_lshlrev_b32_e32 v22, 2, v0
	v_cmp_eq_u32_e64 s[20:21], 0, v1
	v_or_b32_e32 v1, 0x80, v0
	s_movk_i32 s33, 0x380
	s_mov_b32 s36, s25
	s_branch .LBB58_2
.LBB58_1:                               ;   in Loop: Header=BB58_2 Depth=1
	s_add_i32 s36, s36, 1
	s_cmp_eq_u32 s36, 10
	s_cbranch_scc1 .LBB58_16
.LBB58_2:                               ; =>This Loop Header: Depth=1
                                        ;     Child Loop BB58_4 Depth 2
                                        ;       Child Loop BB58_6 Depth 3
	s_mov_b32 s37, 28
	s_mov_b64 s[26:27], -1
	s_branch .LBB58_4
.LBB58_3:                               ;   in Loop: Header=BB58_4 Depth=2
	s_or_b64 exec, exec, s[28:29]
	s_waitcnt lgkmcnt(0)
	v_add_u32_e32 v15, v87, v15
	ds_bpermute_b32 v15, v20, v15
	ds_read_b32 v88, v11 offset:4100
	s_mov_b32 s37, 24
	s_andn2_b64 vcc, exec, s[26:27]
	s_mov_b64 s[26:27], 0
	s_waitcnt lgkmcnt(1)
	v_cndmask_b32_e64 v15, v15, v87, s[18:19]
	s_waitcnt lgkmcnt(0)
	v_lshl_add_u32 v15, v88, 16, v15
	v_add_u32_e32 v18, v15, v18
	v_add_u32_e32 v19, v18, v19
	ds_write2_b32 v10, v15, v18 offset1:1
	v_add_u32_e32 v15, v19, v16
	v_add_u32_e32 v16, v15, v17
	;; [unrolled: 1-line block ×4, first 2 shown]
	ds_write2_b32 v10, v16, v12 offset0:4 offset1:5
	v_add_u32_e32 v12, v13, v14
	ds_write2_b32 v10, v19, v15 offset0:2 offset1:3
	ds_write2_b32 v10, v13, v12 offset0:6 offset1:7
	s_waitcnt lgkmcnt(0)
	s_barrier
	s_cbranch_vccz .LBB58_1
.LBB58_4:                               ;   Parent Loop BB58_2 Depth=1
                                        ; =>  This Loop Header: Depth=2
                                        ;       Child Loop BB58_6 Depth 3
	s_xor_b64 s[26:27], s[26:27], -1
	s_mov_b32 s38, 0
	s_mov_b64 s[28:29], 0
	v_pk_mov_b32 v[12:13], v[0:1], v[0:1] op_sel:[0,1]
	s_branch .LBB58_6
.LBB58_5:                               ;   in Loop: Header=BB58_6 Depth=3
	s_or_b64 exec, exec, s[34:35]
	s_add_i32 s38, s38, 2
	v_cmp_eq_u32_e64 s[30:31], 8, s38
	v_add_u32_e32 v13, 0x100, v13
	s_or_b64 s[28:29], s[30:31], s[28:29]
	v_add_u32_e32 v12, 0x100, v12
	s_andn2_b64 exec, exec, s[28:29]
	s_cbranch_execz .LBB58_10
.LBB58_6:                               ;   Parent Loop BB58_2 Depth=1
                                        ;     Parent Loop BB58_4 Depth=2
                                        ; =>    This Inner Loop Header: Depth=3
	s_or_b32 s30, s38, 1
	v_cmp_le_u32_e64 s[30:31], s30, 7
	v_cmp_le_u32_e64 s[40:41], s38, 7
	s_and_saveexec_b64 s[34:35], s[40:41]
	s_cbranch_execz .LBB58_8
; %bb.7:                                ;   in Loop: Header=BB58_6 Depth=3
	v_lshlrev_b32_e32 v14, 2, v12
	ds_write_b32 v14, v11
.LBB58_8:                               ;   in Loop: Header=BB58_6 Depth=3
	s_or_b64 exec, exec, s[34:35]
	s_and_saveexec_b64 s[34:35], s[30:31]
	s_cbranch_execz .LBB58_5
; %bb.9:                                ;   in Loop: Header=BB58_6 Depth=3
	v_lshlrev_b32_e32 v14, 2, v13
	ds_write_b32 v14, v11
	s_branch .LBB58_5
.LBB58_10:                              ;   in Loop: Header=BB58_4 Depth=2
	s_or_b64 exec, exec, s[28:29]
	s_waitcnt vmcnt(1)
	v_lshlrev_b32_sdwa v12, s37, v2 dst_sel:DWORD dst_unused:UNUSED_PAD src0_sel:DWORD src1_sel:BYTE_0
	v_lshrrev_b32_e32 v13, 21, v12
	v_and_or_b32 v13, v13, s33, v0
	v_alignbit_b32 v12, v13, v12, 31
	v_lshlrev_b32_e32 v25, 1, v12
	ds_read_u16 v23, v25
	v_lshlrev_b32_sdwa v12, s37, v2 dst_sel:DWORD dst_unused:UNUSED_PAD src0_sel:DWORD src1_sel:BYTE_1
	v_lshrrev_b32_e32 v13, 21, v12
	v_and_or_b32 v13, v13, s33, v0
	v_alignbit_b32 v12, v13, v12, 31
	s_waitcnt lgkmcnt(0)
	v_add_u16_e32 v13, 1, v23
	ds_write_b16 v25, v13
	v_lshlrev_b32_e32 v27, 1, v12
	ds_read_u16 v24, v27
	v_lshlrev_b32_sdwa v12, s37, v2 dst_sel:DWORD dst_unused:UNUSED_PAD src0_sel:DWORD src1_sel:BYTE_2
	v_lshrrev_b32_e32 v13, 21, v12
	v_and_or_b32 v13, v13, s33, v0
	v_alignbit_b32 v12, v13, v12, 31
	s_waitcnt lgkmcnt(0)
	v_add_u16_e32 v14, 1, v24
	ds_write_b16 v27, v14
	v_lshlrev_b32_e32 v29, 1, v12
	ds_read_u16 v26, v29
	v_lshlrev_b32_sdwa v12, s37, v2 dst_sel:DWORD dst_unused:UNUSED_PAD src0_sel:DWORD src1_sel:BYTE_3
	v_lshrrev_b32_e32 v13, 21, v12
	v_and_or_b32 v13, v13, s33, v0
	v_alignbit_b32 v12, v13, v12, 31
	s_waitcnt lgkmcnt(0)
	v_add_u16_e32 v14, 1, v26
	ds_write_b16 v29, v14
	v_lshlrev_b32_e32 v32, 1, v12
	ds_read_u16 v28, v32
	v_lshlrev_b32_sdwa v12, s37, v3 dst_sel:DWORD dst_unused:UNUSED_PAD src0_sel:DWORD src1_sel:BYTE_0
	s_waitcnt lgkmcnt(0)
	v_add_u16_e32 v13, 1, v28
	ds_write_b16 v32, v13
	v_lshrrev_b32_e32 v13, 21, v12
	v_and_or_b32 v13, v13, s33, v0
	v_alignbit_b32 v12, v13, v12, 31
	v_lshlrev_b32_e32 v35, 1, v12
	ds_read_u16 v31, v35
	s_waitcnt lgkmcnt(0)
	v_add_u16_e32 v12, 1, v31
	ds_write_b16 v35, v12
	v_lshlrev_b32_sdwa v12, s37, v3 dst_sel:DWORD dst_unused:UNUSED_PAD src0_sel:DWORD src1_sel:BYTE_1
	v_lshrrev_b32_e32 v13, 21, v12
	v_and_or_b32 v13, v13, s33, v0
	v_alignbit_b32 v12, v13, v12, 31
	v_lshlrev_b32_e32 v39, 1, v12
	ds_read_u16 v34, v39
	s_waitcnt lgkmcnt(0)
	v_add_u16_e32 v12, 1, v34
	ds_write_b16 v39, v12
	v_lshlrev_b32_sdwa v12, s37, v3 dst_sel:DWORD dst_unused:UNUSED_PAD src0_sel:DWORD src1_sel:BYTE_2
	v_lshrrev_b32_e32 v13, 21, v12
	v_and_or_b32 v13, v13, s33, v0
	v_alignbit_b32 v12, v13, v12, 31
	v_lshlrev_b32_e32 v41, 1, v12
	ds_read_u16 v38, v41
	s_waitcnt lgkmcnt(0)
	v_add_u16_e32 v12, 1, v38
	ds_write_b16 v41, v12
	v_lshlrev_b32_sdwa v12, s37, v3 dst_sel:DWORD dst_unused:UNUSED_PAD src0_sel:DWORD src1_sel:BYTE_3
	v_lshrrev_b32_e32 v13, 21, v12
	v_and_or_b32 v13, v13, s33, v0
	v_alignbit_b32 v12, v13, v12, 31
	v_lshlrev_b32_e32 v44, 1, v12
	ds_read_u16 v30, v44
	s_waitcnt lgkmcnt(0)
	v_add_u16_e32 v12, 1, v30
	ds_write_b16 v44, v12
	v_lshlrev_b32_sdwa v12, s37, v4 dst_sel:DWORD dst_unused:UNUSED_PAD src0_sel:DWORD src1_sel:BYTE_0
	v_lshrrev_b32_e32 v13, 21, v12
	v_and_or_b32 v13, v13, s33, v0
	v_alignbit_b32 v12, v13, v12, 31
	v_lshlrev_b32_e32 v37, 1, v12
	ds_read_u16 v33, v37
	s_waitcnt lgkmcnt(0)
	v_add_u16_e32 v12, 1, v33
	ds_write_b16 v37, v12
	v_lshlrev_b32_sdwa v12, s37, v4 dst_sel:DWORD dst_unused:UNUSED_PAD src0_sel:DWORD src1_sel:BYTE_1
	v_lshrrev_b32_e32 v13, 21, v12
	v_and_or_b32 v13, v13, s33, v0
	v_alignbit_b32 v12, v13, v12, 31
	v_lshlrev_b32_e32 v42, 1, v12
	ds_read_u16 v36, v42
	s_waitcnt lgkmcnt(0)
	v_add_u16_e32 v12, 1, v36
	ds_write_b16 v42, v12
	v_lshlrev_b32_sdwa v12, s37, v4 dst_sel:DWORD dst_unused:UNUSED_PAD src0_sel:DWORD src1_sel:BYTE_2
	v_lshrrev_b32_e32 v13, 21, v12
	v_and_or_b32 v13, v13, s33, v0
	v_alignbit_b32 v12, v13, v12, 31
	v_lshlrev_b32_e32 v45, 1, v12
	ds_read_u16 v40, v45
	s_waitcnt lgkmcnt(0)
	v_add_u16_e32 v12, 1, v40
	ds_write_b16 v45, v12
	v_lshlrev_b32_sdwa v12, s37, v4 dst_sel:DWORD dst_unused:UNUSED_PAD src0_sel:DWORD src1_sel:BYTE_3
	v_lshrrev_b32_e32 v13, 21, v12
	v_and_or_b32 v13, v13, s33, v0
	v_alignbit_b32 v12, v13, v12, 31
	v_lshlrev_b32_e32 v48, 1, v12
	ds_read_u16 v43, v48
	s_waitcnt lgkmcnt(0)
	v_add_u16_e32 v12, 1, v43
	ds_write_b16 v48, v12
	v_lshlrev_b32_sdwa v12, s37, v5 dst_sel:DWORD dst_unused:UNUSED_PAD src0_sel:DWORD src1_sel:BYTE_0
	v_lshrrev_b32_e32 v13, 21, v12
	v_and_or_b32 v13, v13, s33, v0
	v_alignbit_b32 v12, v13, v12, 31
	v_lshlrev_b32_e32 v50, 1, v12
	ds_read_u16 v46, v50
	s_waitcnt lgkmcnt(0)
	v_add_u16_e32 v12, 1, v46
	ds_write_b16 v50, v12
	v_lshlrev_b32_sdwa v12, s37, v5 dst_sel:DWORD dst_unused:UNUSED_PAD src0_sel:DWORD src1_sel:BYTE_1
	v_lshrrev_b32_e32 v13, 21, v12
	v_and_or_b32 v13, v13, s33, v0
	v_alignbit_b32 v12, v13, v12, 31
	v_lshlrev_b32_e32 v52, 1, v12
	ds_read_u16 v47, v52
	s_waitcnt lgkmcnt(0)
	v_add_u16_e32 v12, 1, v47
	ds_write_b16 v52, v12
	v_lshlrev_b32_sdwa v12, s37, v5 dst_sel:DWORD dst_unused:UNUSED_PAD src0_sel:DWORD src1_sel:BYTE_2
	v_lshrrev_b32_e32 v13, 21, v12
	v_and_or_b32 v13, v13, s33, v0
	v_alignbit_b32 v12, v13, v12, 31
	v_lshlrev_b32_e32 v54, 1, v12
	ds_read_u16 v49, v54
	s_waitcnt lgkmcnt(0)
	v_add_u16_e32 v12, 1, v49
	ds_write_b16 v54, v12
	v_lshlrev_b32_sdwa v12, s37, v5 dst_sel:DWORD dst_unused:UNUSED_PAD src0_sel:DWORD src1_sel:BYTE_3
	v_lshrrev_b32_e32 v13, 21, v12
	v_and_or_b32 v13, v13, s33, v0
	v_alignbit_b32 v12, v13, v12, 31
	v_lshlrev_b32_e32 v58, 1, v12
	ds_read_u16 v51, v58
	s_waitcnt lgkmcnt(0)
	v_add_u16_e32 v12, 1, v51
	ds_write_b16 v58, v12
	s_waitcnt vmcnt(0)
	v_lshlrev_b32_sdwa v12, s37, v6 dst_sel:DWORD dst_unused:UNUSED_PAD src0_sel:DWORD src1_sel:BYTE_0
	v_lshrrev_b32_e32 v13, 21, v12
	v_and_or_b32 v13, v13, s33, v0
	v_alignbit_b32 v12, v13, v12, 31
	v_lshlrev_b32_e32 v56, 1, v12
	ds_read_u16 v53, v56
	s_waitcnt lgkmcnt(0)
	v_add_u16_e32 v12, 1, v53
	ds_write_b16 v56, v12
	v_lshlrev_b32_sdwa v12, s37, v6 dst_sel:DWORD dst_unused:UNUSED_PAD src0_sel:DWORD src1_sel:BYTE_1
	v_lshrrev_b32_e32 v13, 21, v12
	v_and_or_b32 v13, v13, s33, v0
	v_alignbit_b32 v12, v13, v12, 31
	v_lshlrev_b32_e32 v59, 1, v12
	ds_read_u16 v55, v59
	s_waitcnt lgkmcnt(0)
	v_add_u16_e32 v12, 1, v55
	ds_write_b16 v59, v12
	v_lshlrev_b32_sdwa v12, s37, v6 dst_sel:DWORD dst_unused:UNUSED_PAD src0_sel:DWORD src1_sel:BYTE_2
	v_lshrrev_b32_e32 v13, 21, v12
	v_and_or_b32 v13, v13, s33, v0
	v_alignbit_b32 v12, v13, v12, 31
	v_lshlrev_b32_e32 v61, 1, v12
	ds_read_u16 v57, v61
	s_waitcnt lgkmcnt(0)
	v_add_u16_e32 v12, 1, v57
	ds_write_b16 v61, v12
	v_lshlrev_b32_sdwa v12, s37, v6 dst_sel:DWORD dst_unused:UNUSED_PAD src0_sel:DWORD src1_sel:BYTE_3
	v_lshrrev_b32_e32 v13, 21, v12
	v_and_or_b32 v13, v13, s33, v0
	v_alignbit_b32 v12, v13, v12, 31
	v_lshlrev_b32_e32 v64, 1, v12
	ds_read_u16 v60, v64
	s_waitcnt lgkmcnt(0)
	v_add_u16_e32 v12, 1, v60
	ds_write_b16 v64, v12
	v_lshlrev_b32_sdwa v12, s37, v7 dst_sel:DWORD dst_unused:UNUSED_PAD src0_sel:DWORD src1_sel:BYTE_0
	v_lshrrev_b32_e32 v13, 21, v12
	v_and_or_b32 v13, v13, s33, v0
	v_alignbit_b32 v12, v13, v12, 31
	v_lshlrev_b32_e32 v66, 1, v12
	ds_read_u16 v62, v66
	s_waitcnt lgkmcnt(0)
	v_add_u16_e32 v12, 1, v62
	ds_write_b16 v66, v12
	v_lshlrev_b32_sdwa v12, s37, v7 dst_sel:DWORD dst_unused:UNUSED_PAD src0_sel:DWORD src1_sel:BYTE_1
	v_lshrrev_b32_e32 v13, 21, v12
	v_and_or_b32 v13, v13, s33, v0
	v_alignbit_b32 v12, v13, v12, 31
	v_lshlrev_b32_e32 v68, 1, v12
	ds_read_u16 v63, v68
	s_waitcnt lgkmcnt(0)
	v_add_u16_e32 v12, 1, v63
	ds_write_b16 v68, v12
	v_lshlrev_b32_sdwa v12, s37, v7 dst_sel:DWORD dst_unused:UNUSED_PAD src0_sel:DWORD src1_sel:BYTE_2
	v_lshrrev_b32_e32 v13, 21, v12
	v_and_or_b32 v13, v13, s33, v0
	v_alignbit_b32 v12, v13, v12, 31
	v_lshlrev_b32_e32 v70, 1, v12
	ds_read_u16 v65, v70
	s_waitcnt lgkmcnt(0)
	v_add_u16_e32 v12, 1, v65
	ds_write_b16 v70, v12
	v_lshlrev_b32_sdwa v12, s37, v7 dst_sel:DWORD dst_unused:UNUSED_PAD src0_sel:DWORD src1_sel:BYTE_3
	v_lshrrev_b32_e32 v13, 21, v12
	v_and_or_b32 v13, v13, s33, v0
	v_alignbit_b32 v12, v13, v12, 31
	v_lshlrev_b32_e32 v73, 1, v12
	ds_read_u16 v67, v73
	s_waitcnt lgkmcnt(0)
	v_add_u16_e32 v12, 1, v67
	ds_write_b16 v73, v12
	;; [unrolled: 36-line block ×4, first 2 shown]
	s_waitcnt lgkmcnt(0)
	s_barrier
	ds_read2_b32 v[18:19], v10 offset1:1
	ds_read2_b32 v[16:17], v10 offset0:2 offset1:3
	ds_read2_b32 v[12:13], v10 offset0:4 offset1:5
	;; [unrolled: 1-line block ×3, first 2 shown]
	s_waitcnt lgkmcnt(3)
	v_add_u32_e32 v87, v19, v18
	s_waitcnt lgkmcnt(2)
	v_add3_u32 v87, v87, v16, v17
	s_waitcnt lgkmcnt(1)
	v_add3_u32 v87, v87, v12, v13
	;; [unrolled: 2-line block ×3, first 2 shown]
	s_nop 1
	v_mov_b32_dpp v87, v15 row_shr:1 row_mask:0xf bank_mask:0xf
	v_cndmask_b32_e64 v87, v87, 0, s[0:1]
	v_add_u32_e32 v15, v87, v15
	s_nop 1
	v_mov_b32_dpp v87, v15 row_shr:2 row_mask:0xf bank_mask:0xf
	v_cndmask_b32_e64 v87, 0, v87, s[2:3]
	v_add_u32_e32 v15, v15, v87
	;; [unrolled: 4-line block ×4, first 2 shown]
	s_nop 1
	v_mov_b32_dpp v87, v15 row_bcast:15 row_mask:0xf bank_mask:0xf
	v_cndmask_b32_e64 v87, v87, 0, s[8:9]
	v_add_u32_e32 v15, v15, v87
	s_nop 1
	v_mov_b32_dpp v87, v15 row_bcast:31 row_mask:0xf bank_mask:0xf
	v_cndmask_b32_e64 v87, 0, v87, s[10:11]
	v_add_u32_e32 v15, v15, v87
	s_and_saveexec_b64 s[28:29], s[12:13]
	s_cbranch_execz .LBB58_12
; %bb.11:                               ;   in Loop: Header=BB58_4 Depth=2
	ds_write_b32 v21, v15 offset:4096
.LBB58_12:                              ;   in Loop: Header=BB58_4 Depth=2
	s_or_b64 exec, exec, s[28:29]
	s_waitcnt lgkmcnt(0)
	s_barrier
	s_and_saveexec_b64 s[28:29], s[14:15]
	s_cbranch_execz .LBB58_14
; %bb.13:                               ;   in Loop: Header=BB58_4 Depth=2
	ds_read_b32 v87, v22 offset:4096
	s_waitcnt lgkmcnt(0)
	s_nop 0
	v_mov_b32_dpp v88, v87 row_shr:1 row_mask:0xf bank_mask:0xf
	v_cndmask_b32_e64 v88, v88, 0, s[20:21]
	v_add_u32_e32 v87, v88, v87
	ds_write_b32 v22, v87 offset:4096
.LBB58_14:                              ;   in Loop: Header=BB58_4 Depth=2
	s_or_b64 exec, exec, s[28:29]
	v_mov_b32_e32 v87, 0
	s_waitcnt lgkmcnt(0)
	s_barrier
	s_and_saveexec_b64 s[28:29], s[16:17]
	s_cbranch_execz .LBB58_3
; %bb.15:                               ;   in Loop: Header=BB58_4 Depth=2
	ds_read_b32 v87, v21 offset:4092
	s_branch .LBB58_3
.LBB58_16:
	ds_read_u16 v0, v25
	ds_read_u16 v1, v27
	;; [unrolled: 1-line block ×8, first 2 shown]
	s_waitcnt lgkmcnt(7)
	v_add_u32_sdwa v0, v0, v23 dst_sel:DWORD dst_unused:UNUSED_PAD src0_sel:DWORD src1_sel:WORD_0
	s_waitcnt lgkmcnt(6)
	v_add_u32_sdwa v1, v1, v24 dst_sel:DWORD dst_unused:UNUSED_PAD src0_sel:DWORD src1_sel:WORD_0
	;; [unrolled: 2-line block ×6, first 2 shown]
	ds_read_u16 v8, v86
	ds_read_u16 v9, v85
	;; [unrolled: 1-line block ×24, first 2 shown]
	s_lshl_b64 s[0:1], s[24:25], 2
	s_add_u32 s0, s22, s0
	s_waitcnt lgkmcnt(14)
	v_add_u32_sdwa v35, v8, v80 dst_sel:DWORD dst_unused:UNUSED_PAD src0_sel:DWORD src1_sel:WORD_0
	s_addc_u32 s1, s23, s1
	v_lshlrev_b32_e32 v8, 2, v10
	v_add_u32_sdwa v6, v6, v38 dst_sel:DWORD dst_unused:UNUSED_PAD src0_sel:DWORD src1_sel:WORD_0
	v_add_u32_sdwa v7, v7, v30 dst_sel:DWORD dst_unused:UNUSED_PAD src0_sel:DWORD src1_sel:WORD_0
	s_waitcnt lgkmcnt(8)
	v_add_u32_sdwa v12, v12, v33 dst_sel:DWORD dst_unused:UNUSED_PAD src0_sel:DWORD src1_sel:WORD_0
	v_add_u32_sdwa v13, v13, v36 dst_sel:DWORD dst_unused:UNUSED_PAD src0_sel:DWORD src1_sel:WORD_0
	;; [unrolled: 1-line block ×8, first 2 shown]
	s_waitcnt lgkmcnt(0)
	v_add_u32_sdwa v20, v20, v53 dst_sel:DWORD dst_unused:UNUSED_PAD src0_sel:DWORD src1_sel:WORD_0
	v_add_u32_sdwa v21, v21, v55 dst_sel:DWORD dst_unused:UNUSED_PAD src0_sel:DWORD src1_sel:WORD_0
	;; [unrolled: 1-line block ×15, first 2 shown]
	global_store_dwordx4 v8, v[0:3], s[0:1]
	global_store_dwordx4 v8, v[4:7], s[0:1] offset:16
	global_store_dwordx4 v8, v[12:15], s[0:1] offset:32
	;; [unrolled: 1-line block ×7, first 2 shown]
	s_endpgm
	.section	.rodata,"a",@progbits
	.p2align	6, 0x0
	.amdhsa_kernel _Z11rank_kernelIhLj4ELb0EL18RadixRankAlgorithm1ELj128ELj32ELj10EEvPKT_Pi
		.amdhsa_group_segment_fixed_size 4104
		.amdhsa_private_segment_fixed_size 0
		.amdhsa_kernarg_size 16
		.amdhsa_user_sgpr_count 6
		.amdhsa_user_sgpr_private_segment_buffer 1
		.amdhsa_user_sgpr_dispatch_ptr 0
		.amdhsa_user_sgpr_queue_ptr 0
		.amdhsa_user_sgpr_kernarg_segment_ptr 1
		.amdhsa_user_sgpr_dispatch_id 0
		.amdhsa_user_sgpr_flat_scratch_init 0
		.amdhsa_user_sgpr_kernarg_preload_length 0
		.amdhsa_user_sgpr_kernarg_preload_offset 0
		.amdhsa_user_sgpr_private_segment_size 0
		.amdhsa_uses_dynamic_stack 0
		.amdhsa_system_sgpr_private_segment_wavefront_offset 0
		.amdhsa_system_sgpr_workgroup_id_x 1
		.amdhsa_system_sgpr_workgroup_id_y 0
		.amdhsa_system_sgpr_workgroup_id_z 0
		.amdhsa_system_sgpr_workgroup_info 0
		.amdhsa_system_vgpr_workitem_id 0
		.amdhsa_next_free_vgpr 89
		.amdhsa_next_free_sgpr 42
		.amdhsa_accum_offset 92
		.amdhsa_reserve_vcc 1
		.amdhsa_reserve_flat_scratch 0
		.amdhsa_float_round_mode_32 0
		.amdhsa_float_round_mode_16_64 0
		.amdhsa_float_denorm_mode_32 3
		.amdhsa_float_denorm_mode_16_64 3
		.amdhsa_dx10_clamp 1
		.amdhsa_ieee_mode 1
		.amdhsa_fp16_overflow 0
		.amdhsa_tg_split 0
		.amdhsa_exception_fp_ieee_invalid_op 0
		.amdhsa_exception_fp_denorm_src 0
		.amdhsa_exception_fp_ieee_div_zero 0
		.amdhsa_exception_fp_ieee_overflow 0
		.amdhsa_exception_fp_ieee_underflow 0
		.amdhsa_exception_fp_ieee_inexact 0
		.amdhsa_exception_int_div_zero 0
	.end_amdhsa_kernel
	.section	.text._Z11rank_kernelIhLj4ELb0EL18RadixRankAlgorithm1ELj128ELj32ELj10EEvPKT_Pi,"axG",@progbits,_Z11rank_kernelIhLj4ELb0EL18RadixRankAlgorithm1ELj128ELj32ELj10EEvPKT_Pi,comdat
.Lfunc_end58:
	.size	_Z11rank_kernelIhLj4ELb0EL18RadixRankAlgorithm1ELj128ELj32ELj10EEvPKT_Pi, .Lfunc_end58-_Z11rank_kernelIhLj4ELb0EL18RadixRankAlgorithm1ELj128ELj32ELj10EEvPKT_Pi
                                        ; -- End function
	.section	.AMDGPU.csdata,"",@progbits
; Kernel info:
; codeLenInByte = 3300
; NumSgprs: 46
; NumVgprs: 89
; NumAgprs: 0
; TotalNumVgprs: 89
; ScratchSize: 0
; MemoryBound: 0
; FloatMode: 240
; IeeeMode: 1
; LDSByteSize: 4104 bytes/workgroup (compile time only)
; SGPRBlocks: 5
; VGPRBlocks: 11
; NumSGPRsForWavesPerEU: 46
; NumVGPRsForWavesPerEU: 89
; AccumOffset: 92
; Occupancy: 5
; WaveLimiterHint : 0
; COMPUTE_PGM_RSRC2:SCRATCH_EN: 0
; COMPUTE_PGM_RSRC2:USER_SGPR: 6
; COMPUTE_PGM_RSRC2:TRAP_HANDLER: 0
; COMPUTE_PGM_RSRC2:TGID_X_EN: 1
; COMPUTE_PGM_RSRC2:TGID_Y_EN: 0
; COMPUTE_PGM_RSRC2:TGID_Z_EN: 0
; COMPUTE_PGM_RSRC2:TIDIG_COMP_CNT: 0
; COMPUTE_PGM_RSRC3_GFX90A:ACCUM_OFFSET: 22
; COMPUTE_PGM_RSRC3_GFX90A:TG_SPLIT: 0
	.section	.text._Z11rank_kernelIhLj4ELb0EL18RadixRankAlgorithm2ELj128ELj32ELj10EEvPKT_Pi,"axG",@progbits,_Z11rank_kernelIhLj4ELb0EL18RadixRankAlgorithm2ELj128ELj32ELj10EEvPKT_Pi,comdat
	.protected	_Z11rank_kernelIhLj4ELb0EL18RadixRankAlgorithm2ELj128ELj32ELj10EEvPKT_Pi ; -- Begin function _Z11rank_kernelIhLj4ELb0EL18RadixRankAlgorithm2ELj128ELj32ELj10EEvPKT_Pi
	.globl	_Z11rank_kernelIhLj4ELb0EL18RadixRankAlgorithm2ELj128ELj32ELj10EEvPKT_Pi
	.p2align	8
	.type	_Z11rank_kernelIhLj4ELb0EL18RadixRankAlgorithm2ELj128ELj32ELj10EEvPKT_Pi,@function
_Z11rank_kernelIhLj4ELb0EL18RadixRankAlgorithm2ELj128ELj32ELj10EEvPKT_Pi: ; @_Z11rank_kernelIhLj4ELb0EL18RadixRankAlgorithm2ELj128ELj32ELj10EEvPKT_Pi
; %bb.0:
	s_load_dwordx4 s[24:27], s[4:5], 0x0
	s_load_dword s2, s[4:5], 0x1c
	s_lshl_b32 s28, s6, 12
	v_and_b32_e32 v16, 0x3ff, v0
	v_lshlrev_b32_e32 v10, 5, v16
	s_waitcnt lgkmcnt(0)
	s_add_u32 s0, s24, s28
	s_addc_u32 s1, s25, 0
	global_load_dwordx4 v[2:5], v10, s[0:1]
	global_load_dwordx4 v[6:9], v10, s[0:1] offset:16
	s_lshr_b32 s0, s2, 16
	v_bfe_u32 v1, v0, 10, 10
	v_bfe_u32 v0, v0, 20, 10
	s_and_b32 s1, s2, 0xffff
	v_mad_u32_u24 v0, v0, s0, v1
	v_mad_u64_u32 v[0:1], s[0:1], v0, s1, v[16:17]
	v_lshrrev_b32_e32 v14, 6, v0
	v_mbcnt_lo_u32_b32 v0, -1, 0
	v_mbcnt_hi_u32_b32 v0, -1, v0
	v_and_b32_e32 v1, 15, v0
	v_cmp_eq_u32_e64 s[0:1], 0, v1
	v_cmp_lt_u32_e64 s[2:3], 1, v1
	v_cmp_lt_u32_e64 s[4:5], 3, v1
	;; [unrolled: 1-line block ×3, first 2 shown]
	v_and_b32_e32 v1, 16, v0
	v_cmp_eq_u32_e64 s[8:9], 0, v1
	v_or_b32_e32 v1, 63, v16
	v_cmp_eq_u32_e64 s[12:13], v1, v16
	v_add_u32_e32 v1, -1, v0
	v_and_b32_e32 v11, 64, v0
	v_cmp_lt_i32_e32 vcc, v1, v11
	v_cndmask_b32_e32 v1, v1, v0, vcc
	v_lshlrev_b32_e32 v17, 2, v1
	v_lshrrev_b32_e32 v1, 4, v16
	s_mov_b32 s29, 0
	v_cmp_lt_u32_e64 s[10:11], 31, v0
	v_cmp_eq_u32_e64 s[18:19], 0, v0
	v_and_b32_e32 v18, 4, v1
	v_and_b32_e32 v0, 1, v0
	v_mov_b32_e32 v12, 0
	v_lshlrev_b32_e32 v15, 2, v16
	v_cmp_gt_u32_e64 s[14:15], 2, v16
	v_cmp_lt_u32_e64 s[16:17], 63, v16
	v_cmp_eq_u32_e64 s[20:21], 0, v0
	v_add_u32_e32 v19, -4, v18
	s_mov_b32 s30, s29
	s_branch .LBB59_2
.LBB59_1:                               ;   in Loop: Header=BB59_2 Depth=1
	s_add_i32 s30, s30, 1
	s_cmp_eq_u32 s30, 10
	s_cbranch_scc1 .LBB59_74
.LBB59_2:                               ; =>This Loop Header: Depth=1
                                        ;     Child Loop BB59_4 Depth 2
	s_mov_b64 s[24:25], -1
	s_mov_b32 s31, 28
	s_branch .LBB59_4
.LBB59_3:                               ;   in Loop: Header=BB59_4 Depth=2
	s_or_b64 exec, exec, s[22:23]
	s_waitcnt lgkmcnt(0)
	v_add_u32_e32 v0, v1, v0
	ds_bpermute_b32 v0, v17, v0
	s_xor_b64 s[22:23], s[24:25], -1
	s_mov_b32 s31, 24
	s_andn2_b64 vcc, exec, s[22:23]
	s_mov_b64 s[24:25], 0
	s_waitcnt lgkmcnt(0)
	v_cndmask_b32_e64 v0, v0, v1, s[18:19]
	ds_write_b32 v15, v0 offset:8
	s_waitcnt lgkmcnt(0)
	s_barrier
	s_cbranch_vccz .LBB59_1
.LBB59_4:                               ;   Parent Loop BB59_2 Depth=1
                                        ; =>  This Inner Loop Header: Depth=2
	s_waitcnt vmcnt(1)
	v_lshlrev_b32_sdwa v0, s31, v2 dst_sel:DWORD dst_unused:UNUSED_PAD src0_sel:DWORD src1_sel:BYTE_0
	v_bfe_u32 v13, v0, 28, 1
	v_add_co_u32_e32 v16, vcc, -1, v13
	v_addc_co_u32_e64 v20, s[22:23], 0, -1, vcc
	v_cmp_ne_u32_e32 vcc, 0, v13
	v_lshrrev_b32_e32 v1, 28, v0
	v_xor_b32_e32 v13, vcc_hi, v20
	v_and_b32_e32 v20, exec_hi, v13
	v_lshlrev_b32_e32 v13, 30, v1
	v_xor_b32_e32 v16, vcc_lo, v16
	v_cmp_gt_i64_e32 vcc, 0, v[12:13]
	v_not_b32_e32 v13, v13
	v_ashrrev_i32_e32 v13, 31, v13
	v_and_b32_e32 v16, exec_lo, v16
	v_xor_b32_e32 v21, vcc_hi, v13
	v_xor_b32_e32 v13, vcc_lo, v13
	v_and_b32_e32 v16, v16, v13
	v_lshlrev_b32_e32 v13, 29, v1
	v_mad_u32_u24 v11, v1, 3, v14
	v_not_b32_e32 v1, v13
	v_cmp_gt_i64_e32 vcc, 0, v[12:13]
	v_ashrrev_i32_e32 v1, 31, v1
	v_and_b32_e32 v20, v20, v21
	v_xor_b32_e32 v13, vcc_hi, v1
	v_and_b32_e32 v20, v20, v13
	v_and_b32_e32 v13, 0xf0000000, v0
	v_not_b32_e32 v0, v13
	v_xor_b32_e32 v1, vcc_lo, v1
	v_cmp_gt_i64_e32 vcc, 0, v[12:13]
	v_ashrrev_i32_e32 v0, 31, v0
	v_and_b32_e32 v16, v16, v1
	v_xor_b32_e32 v1, vcc_hi, v0
	v_xor_b32_e32 v0, vcc_lo, v0
	v_and_b32_e32 v0, v16, v0
	v_and_b32_e32 v1, v20, v1
	v_mbcnt_lo_u32_b32 v13, v0, 0
	v_mbcnt_hi_u32_b32 v16, v1, v13
	v_cmp_eq_u32_e32 vcc, 0, v16
	v_cmp_ne_u64_e64 s[22:23], 0, v[0:1]
	v_lshl_add_u32 v11, v11, 2, 8
	s_and_b64 s[34:35], vcc, s[22:23]
	ds_write_b32 v15, v12 offset:8
	s_waitcnt lgkmcnt(0)
	s_barrier
	s_waitcnt lgkmcnt(0)
	; wave barrier
	s_and_saveexec_b64 s[22:23], s[34:35]
	s_cbranch_execz .LBB59_6
; %bb.5:                                ;   in Loop: Header=BB59_4 Depth=2
	v_bcnt_u32_b32 v0, v0, 0
	v_bcnt_u32_b32 v0, v1, v0
	ds_write_b32 v11, v0
.LBB59_6:                               ;   in Loop: Header=BB59_4 Depth=2
	s_or_b64 exec, exec, s[22:23]
	v_lshlrev_b32_sdwa v0, s31, v2 dst_sel:DWORD dst_unused:UNUSED_PAD src0_sel:DWORD src1_sel:BYTE_1
	v_lshrrev_b32_e32 v1, 28, v0
	v_mul_u32_u24_e32 v13, 3, v1
	v_add_lshl_u32 v13, v13, v14, 2
	; wave barrier
	v_add_u32_e32 v21, 8, v13
	ds_read_b32 v20, v13 offset:8
	v_bfe_u32 v13, v0, 28, 1
	v_add_co_u32_e32 v22, vcc, -1, v13
	v_addc_co_u32_e64 v23, s[22:23], 0, -1, vcc
	v_cmp_ne_u32_e32 vcc, 0, v13
	v_xor_b32_e32 v13, vcc_hi, v23
	v_and_b32_e32 v23, exec_hi, v13
	v_lshlrev_b32_e32 v13, 30, v1
	v_xor_b32_e32 v22, vcc_lo, v22
	v_cmp_gt_i64_e32 vcc, 0, v[12:13]
	v_not_b32_e32 v13, v13
	v_ashrrev_i32_e32 v13, 31, v13
	v_and_b32_e32 v22, exec_lo, v22
	v_xor_b32_e32 v24, vcc_hi, v13
	v_xor_b32_e32 v13, vcc_lo, v13
	v_and_b32_e32 v22, v22, v13
	v_lshlrev_b32_e32 v13, 29, v1
	v_not_b32_e32 v1, v13
	v_cmp_gt_i64_e32 vcc, 0, v[12:13]
	v_ashrrev_i32_e32 v1, 31, v1
	v_and_b32_e32 v23, v23, v24
	v_xor_b32_e32 v13, vcc_hi, v1
	v_and_b32_e32 v23, v23, v13
	v_and_b32_e32 v13, 0xf0000000, v0
	v_not_b32_e32 v0, v13
	v_xor_b32_e32 v1, vcc_lo, v1
	v_cmp_gt_i64_e32 vcc, 0, v[12:13]
	v_ashrrev_i32_e32 v0, 31, v0
	v_and_b32_e32 v22, v22, v1
	v_xor_b32_e32 v1, vcc_hi, v0
	v_xor_b32_e32 v0, vcc_lo, v0
	v_and_b32_e32 v0, v22, v0
	v_and_b32_e32 v1, v23, v1
	v_mbcnt_lo_u32_b32 v13, v0, 0
	v_mbcnt_hi_u32_b32 v22, v1, v13
	v_cmp_eq_u32_e32 vcc, 0, v22
	v_cmp_ne_u64_e64 s[22:23], 0, v[0:1]
	s_and_b64 s[34:35], vcc, s[22:23]
	; wave barrier
	s_and_saveexec_b64 s[22:23], s[34:35]
	s_cbranch_execz .LBB59_8
; %bb.7:                                ;   in Loop: Header=BB59_4 Depth=2
	v_bcnt_u32_b32 v0, v0, 0
	v_bcnt_u32_b32 v0, v1, v0
	s_waitcnt lgkmcnt(0)
	v_add_u32_e32 v0, v20, v0
	ds_write_b32 v21, v0
.LBB59_8:                               ;   in Loop: Header=BB59_4 Depth=2
	s_or_b64 exec, exec, s[22:23]
	v_lshlrev_b32_sdwa v0, s31, v2 dst_sel:DWORD dst_unused:UNUSED_PAD src0_sel:DWORD src1_sel:BYTE_2
	v_lshrrev_b32_e32 v1, 28, v0
	v_mul_u32_u24_e32 v13, 3, v1
	v_add_lshl_u32 v13, v13, v14, 2
	; wave barrier
	v_add_u32_e32 v24, 8, v13
	ds_read_b32 v23, v13 offset:8
	v_bfe_u32 v13, v0, 28, 1
	v_add_co_u32_e32 v25, vcc, -1, v13
	v_addc_co_u32_e64 v26, s[22:23], 0, -1, vcc
	v_cmp_ne_u32_e32 vcc, 0, v13
	v_xor_b32_e32 v13, vcc_hi, v26
	v_and_b32_e32 v26, exec_hi, v13
	v_lshlrev_b32_e32 v13, 30, v1
	v_xor_b32_e32 v25, vcc_lo, v25
	v_cmp_gt_i64_e32 vcc, 0, v[12:13]
	v_not_b32_e32 v13, v13
	v_ashrrev_i32_e32 v13, 31, v13
	v_and_b32_e32 v25, exec_lo, v25
	v_xor_b32_e32 v27, vcc_hi, v13
	v_xor_b32_e32 v13, vcc_lo, v13
	v_and_b32_e32 v25, v25, v13
	v_lshlrev_b32_e32 v13, 29, v1
	v_not_b32_e32 v1, v13
	v_cmp_gt_i64_e32 vcc, 0, v[12:13]
	v_ashrrev_i32_e32 v1, 31, v1
	v_and_b32_e32 v26, v26, v27
	v_xor_b32_e32 v13, vcc_hi, v1
	v_and_b32_e32 v26, v26, v13
	v_and_b32_e32 v13, 0xf0000000, v0
	v_not_b32_e32 v0, v13
	v_xor_b32_e32 v1, vcc_lo, v1
	v_cmp_gt_i64_e32 vcc, 0, v[12:13]
	v_ashrrev_i32_e32 v0, 31, v0
	v_and_b32_e32 v25, v25, v1
	v_xor_b32_e32 v1, vcc_hi, v0
	v_xor_b32_e32 v0, vcc_lo, v0
	v_and_b32_e32 v0, v25, v0
	v_and_b32_e32 v1, v26, v1
	v_mbcnt_lo_u32_b32 v13, v0, 0
	v_mbcnt_hi_u32_b32 v25, v1, v13
	v_cmp_eq_u32_e32 vcc, 0, v25
	v_cmp_ne_u64_e64 s[22:23], 0, v[0:1]
	s_and_b64 s[34:35], vcc, s[22:23]
	; wave barrier
	s_and_saveexec_b64 s[22:23], s[34:35]
	s_cbranch_execz .LBB59_10
; %bb.9:                                ;   in Loop: Header=BB59_4 Depth=2
	v_bcnt_u32_b32 v0, v0, 0
	v_bcnt_u32_b32 v0, v1, v0
	s_waitcnt lgkmcnt(0)
	v_add_u32_e32 v0, v23, v0
	ds_write_b32 v24, v0
.LBB59_10:                              ;   in Loop: Header=BB59_4 Depth=2
	s_or_b64 exec, exec, s[22:23]
	v_lshlrev_b32_sdwa v0, s31, v2 dst_sel:DWORD dst_unused:UNUSED_PAD src0_sel:DWORD src1_sel:BYTE_3
	v_lshrrev_b32_e32 v1, 28, v0
	v_mul_u32_u24_e32 v13, 3, v1
	v_add_lshl_u32 v13, v13, v14, 2
	; wave barrier
	v_add_u32_e32 v27, 8, v13
	ds_read_b32 v26, v13 offset:8
	v_bfe_u32 v13, v0, 28, 1
	v_add_co_u32_e32 v28, vcc, -1, v13
	v_addc_co_u32_e64 v29, s[22:23], 0, -1, vcc
	v_cmp_ne_u32_e32 vcc, 0, v13
	v_xor_b32_e32 v13, vcc_hi, v29
	v_and_b32_e32 v29, exec_hi, v13
	v_lshlrev_b32_e32 v13, 30, v1
	v_xor_b32_e32 v28, vcc_lo, v28
	v_cmp_gt_i64_e32 vcc, 0, v[12:13]
	v_not_b32_e32 v13, v13
	v_ashrrev_i32_e32 v13, 31, v13
	v_and_b32_e32 v28, exec_lo, v28
	v_xor_b32_e32 v30, vcc_hi, v13
	v_xor_b32_e32 v13, vcc_lo, v13
	v_and_b32_e32 v28, v28, v13
	v_lshlrev_b32_e32 v13, 29, v1
	v_not_b32_e32 v1, v13
	v_cmp_gt_i64_e32 vcc, 0, v[12:13]
	v_ashrrev_i32_e32 v1, 31, v1
	v_and_b32_e32 v29, v29, v30
	v_xor_b32_e32 v13, vcc_hi, v1
	v_and_b32_e32 v29, v29, v13
	v_and_b32_e32 v13, 0xf0000000, v0
	v_not_b32_e32 v0, v13
	v_xor_b32_e32 v1, vcc_lo, v1
	v_cmp_gt_i64_e32 vcc, 0, v[12:13]
	v_ashrrev_i32_e32 v0, 31, v0
	v_and_b32_e32 v28, v28, v1
	v_xor_b32_e32 v1, vcc_hi, v0
	v_xor_b32_e32 v0, vcc_lo, v0
	v_and_b32_e32 v0, v28, v0
	v_and_b32_e32 v1, v29, v1
	v_mbcnt_lo_u32_b32 v13, v0, 0
	v_mbcnt_hi_u32_b32 v28, v1, v13
	v_cmp_eq_u32_e32 vcc, 0, v28
	v_cmp_ne_u64_e64 s[22:23], 0, v[0:1]
	s_and_b64 s[34:35], vcc, s[22:23]
	; wave barrier
	s_and_saveexec_b64 s[22:23], s[34:35]
	s_cbranch_execz .LBB59_12
; %bb.11:                               ;   in Loop: Header=BB59_4 Depth=2
	v_bcnt_u32_b32 v0, v0, 0
	v_bcnt_u32_b32 v0, v1, v0
	s_waitcnt lgkmcnt(0)
	v_add_u32_e32 v0, v26, v0
	ds_write_b32 v27, v0
.LBB59_12:                              ;   in Loop: Header=BB59_4 Depth=2
	s_or_b64 exec, exec, s[22:23]
	v_lshlrev_b32_sdwa v0, s31, v3 dst_sel:DWORD dst_unused:UNUSED_PAD src0_sel:DWORD src1_sel:BYTE_0
	v_lshrrev_b32_e32 v1, 28, v0
	v_mul_u32_u24_e32 v13, 3, v1
	v_add_lshl_u32 v13, v13, v14, 2
	; wave barrier
	v_add_u32_e32 v30, 8, v13
	ds_read_b32 v29, v13 offset:8
	v_bfe_u32 v13, v0, 28, 1
	v_add_co_u32_e32 v31, vcc, -1, v13
	v_addc_co_u32_e64 v32, s[22:23], 0, -1, vcc
	v_cmp_ne_u32_e32 vcc, 0, v13
	v_xor_b32_e32 v13, vcc_hi, v32
	v_and_b32_e32 v32, exec_hi, v13
	v_lshlrev_b32_e32 v13, 30, v1
	v_xor_b32_e32 v31, vcc_lo, v31
	v_cmp_gt_i64_e32 vcc, 0, v[12:13]
	v_not_b32_e32 v13, v13
	v_ashrrev_i32_e32 v13, 31, v13
	v_and_b32_e32 v31, exec_lo, v31
	v_xor_b32_e32 v33, vcc_hi, v13
	v_xor_b32_e32 v13, vcc_lo, v13
	v_and_b32_e32 v31, v31, v13
	v_lshlrev_b32_e32 v13, 29, v1
	v_not_b32_e32 v1, v13
	v_cmp_gt_i64_e32 vcc, 0, v[12:13]
	v_ashrrev_i32_e32 v1, 31, v1
	v_and_b32_e32 v32, v32, v33
	v_xor_b32_e32 v13, vcc_hi, v1
	v_and_b32_e32 v32, v32, v13
	v_and_b32_e32 v13, 0xf0000000, v0
	v_not_b32_e32 v0, v13
	v_xor_b32_e32 v1, vcc_lo, v1
	v_cmp_gt_i64_e32 vcc, 0, v[12:13]
	v_ashrrev_i32_e32 v0, 31, v0
	v_and_b32_e32 v31, v31, v1
	v_xor_b32_e32 v1, vcc_hi, v0
	v_xor_b32_e32 v0, vcc_lo, v0
	v_and_b32_e32 v0, v31, v0
	v_and_b32_e32 v1, v32, v1
	v_mbcnt_lo_u32_b32 v13, v0, 0
	v_mbcnt_hi_u32_b32 v31, v1, v13
	v_cmp_eq_u32_e32 vcc, 0, v31
	v_cmp_ne_u64_e64 s[22:23], 0, v[0:1]
	s_and_b64 s[34:35], vcc, s[22:23]
	; wave barrier
	s_and_saveexec_b64 s[22:23], s[34:35]
	s_cbranch_execz .LBB59_14
; %bb.13:                               ;   in Loop: Header=BB59_4 Depth=2
	v_bcnt_u32_b32 v0, v0, 0
	v_bcnt_u32_b32 v0, v1, v0
	s_waitcnt lgkmcnt(0)
	v_add_u32_e32 v0, v29, v0
	ds_write_b32 v30, v0
.LBB59_14:                              ;   in Loop: Header=BB59_4 Depth=2
	s_or_b64 exec, exec, s[22:23]
	v_lshlrev_b32_sdwa v0, s31, v3 dst_sel:DWORD dst_unused:UNUSED_PAD src0_sel:DWORD src1_sel:BYTE_1
	v_lshrrev_b32_e32 v1, 28, v0
	v_mul_u32_u24_e32 v13, 3, v1
	v_add_lshl_u32 v13, v13, v14, 2
	; wave barrier
	v_add_u32_e32 v33, 8, v13
	ds_read_b32 v32, v13 offset:8
	v_bfe_u32 v13, v0, 28, 1
	v_add_co_u32_e32 v34, vcc, -1, v13
	v_addc_co_u32_e64 v35, s[22:23], 0, -1, vcc
	v_cmp_ne_u32_e32 vcc, 0, v13
	v_xor_b32_e32 v13, vcc_hi, v35
	v_and_b32_e32 v35, exec_hi, v13
	v_lshlrev_b32_e32 v13, 30, v1
	v_xor_b32_e32 v34, vcc_lo, v34
	v_cmp_gt_i64_e32 vcc, 0, v[12:13]
	v_not_b32_e32 v13, v13
	v_ashrrev_i32_e32 v13, 31, v13
	v_and_b32_e32 v34, exec_lo, v34
	v_xor_b32_e32 v36, vcc_hi, v13
	v_xor_b32_e32 v13, vcc_lo, v13
	v_and_b32_e32 v34, v34, v13
	v_lshlrev_b32_e32 v13, 29, v1
	v_not_b32_e32 v1, v13
	v_cmp_gt_i64_e32 vcc, 0, v[12:13]
	v_ashrrev_i32_e32 v1, 31, v1
	v_and_b32_e32 v35, v35, v36
	v_xor_b32_e32 v13, vcc_hi, v1
	v_and_b32_e32 v35, v35, v13
	v_and_b32_e32 v13, 0xf0000000, v0
	v_not_b32_e32 v0, v13
	v_xor_b32_e32 v1, vcc_lo, v1
	v_cmp_gt_i64_e32 vcc, 0, v[12:13]
	v_ashrrev_i32_e32 v0, 31, v0
	v_and_b32_e32 v34, v34, v1
	v_xor_b32_e32 v1, vcc_hi, v0
	v_xor_b32_e32 v0, vcc_lo, v0
	v_and_b32_e32 v0, v34, v0
	v_and_b32_e32 v1, v35, v1
	v_mbcnt_lo_u32_b32 v13, v0, 0
	v_mbcnt_hi_u32_b32 v35, v1, v13
	v_cmp_eq_u32_e32 vcc, 0, v35
	v_cmp_ne_u64_e64 s[22:23], 0, v[0:1]
	s_and_b64 s[34:35], vcc, s[22:23]
	; wave barrier
	s_and_saveexec_b64 s[22:23], s[34:35]
	s_cbranch_execz .LBB59_16
; %bb.15:                               ;   in Loop: Header=BB59_4 Depth=2
	v_bcnt_u32_b32 v0, v0, 0
	v_bcnt_u32_b32 v0, v1, v0
	s_waitcnt lgkmcnt(0)
	v_add_u32_e32 v0, v32, v0
	ds_write_b32 v33, v0
.LBB59_16:                              ;   in Loop: Header=BB59_4 Depth=2
	s_or_b64 exec, exec, s[22:23]
	v_lshlrev_b32_sdwa v0, s31, v3 dst_sel:DWORD dst_unused:UNUSED_PAD src0_sel:DWORD src1_sel:BYTE_2
	v_lshrrev_b32_e32 v1, 28, v0
	v_mul_u32_u24_e32 v13, 3, v1
	v_add_lshl_u32 v13, v13, v14, 2
	; wave barrier
	v_add_u32_e32 v37, 8, v13
	ds_read_b32 v34, v13 offset:8
	v_bfe_u32 v13, v0, 28, 1
	v_add_co_u32_e32 v36, vcc, -1, v13
	v_addc_co_u32_e64 v38, s[22:23], 0, -1, vcc
	v_cmp_ne_u32_e32 vcc, 0, v13
	v_xor_b32_e32 v13, vcc_hi, v38
	v_and_b32_e32 v38, exec_hi, v13
	v_lshlrev_b32_e32 v13, 30, v1
	v_xor_b32_e32 v36, vcc_lo, v36
	v_cmp_gt_i64_e32 vcc, 0, v[12:13]
	v_not_b32_e32 v13, v13
	v_ashrrev_i32_e32 v13, 31, v13
	v_and_b32_e32 v36, exec_lo, v36
	v_xor_b32_e32 v39, vcc_hi, v13
	v_xor_b32_e32 v13, vcc_lo, v13
	v_and_b32_e32 v36, v36, v13
	v_lshlrev_b32_e32 v13, 29, v1
	v_not_b32_e32 v1, v13
	v_cmp_gt_i64_e32 vcc, 0, v[12:13]
	v_ashrrev_i32_e32 v1, 31, v1
	v_and_b32_e32 v38, v38, v39
	v_xor_b32_e32 v13, vcc_hi, v1
	v_and_b32_e32 v38, v38, v13
	v_and_b32_e32 v13, 0xf0000000, v0
	v_not_b32_e32 v0, v13
	v_xor_b32_e32 v1, vcc_lo, v1
	v_cmp_gt_i64_e32 vcc, 0, v[12:13]
	v_ashrrev_i32_e32 v0, 31, v0
	v_and_b32_e32 v36, v36, v1
	v_xor_b32_e32 v1, vcc_hi, v0
	v_xor_b32_e32 v0, vcc_lo, v0
	v_and_b32_e32 v0, v36, v0
	v_and_b32_e32 v1, v38, v1
	v_mbcnt_lo_u32_b32 v13, v0, 0
	v_mbcnt_hi_u32_b32 v36, v1, v13
	v_cmp_eq_u32_e32 vcc, 0, v36
	v_cmp_ne_u64_e64 s[22:23], 0, v[0:1]
	s_and_b64 s[34:35], vcc, s[22:23]
	; wave barrier
	s_and_saveexec_b64 s[22:23], s[34:35]
	s_cbranch_execz .LBB59_18
; %bb.17:                               ;   in Loop: Header=BB59_4 Depth=2
	v_bcnt_u32_b32 v0, v0, 0
	v_bcnt_u32_b32 v0, v1, v0
	s_waitcnt lgkmcnt(0)
	v_add_u32_e32 v0, v34, v0
	ds_write_b32 v37, v0
.LBB59_18:                              ;   in Loop: Header=BB59_4 Depth=2
	s_or_b64 exec, exec, s[22:23]
	v_lshlrev_b32_sdwa v0, s31, v3 dst_sel:DWORD dst_unused:UNUSED_PAD src0_sel:DWORD src1_sel:BYTE_3
	v_lshrrev_b32_e32 v1, 28, v0
	v_mul_u32_u24_e32 v13, 3, v1
	v_add_lshl_u32 v13, v13, v14, 2
	; wave barrier
	v_add_u32_e32 v40, 8, v13
	ds_read_b32 v38, v13 offset:8
	v_bfe_u32 v13, v0, 28, 1
	v_add_co_u32_e32 v39, vcc, -1, v13
	v_addc_co_u32_e64 v41, s[22:23], 0, -1, vcc
	v_cmp_ne_u32_e32 vcc, 0, v13
	v_xor_b32_e32 v13, vcc_hi, v41
	v_and_b32_e32 v41, exec_hi, v13
	v_lshlrev_b32_e32 v13, 30, v1
	v_xor_b32_e32 v39, vcc_lo, v39
	v_cmp_gt_i64_e32 vcc, 0, v[12:13]
	v_not_b32_e32 v13, v13
	v_ashrrev_i32_e32 v13, 31, v13
	v_and_b32_e32 v39, exec_lo, v39
	v_xor_b32_e32 v42, vcc_hi, v13
	v_xor_b32_e32 v13, vcc_lo, v13
	v_and_b32_e32 v39, v39, v13
	v_lshlrev_b32_e32 v13, 29, v1
	v_not_b32_e32 v1, v13
	v_cmp_gt_i64_e32 vcc, 0, v[12:13]
	v_ashrrev_i32_e32 v1, 31, v1
	v_and_b32_e32 v41, v41, v42
	v_xor_b32_e32 v13, vcc_hi, v1
	v_and_b32_e32 v41, v41, v13
	v_and_b32_e32 v13, 0xf0000000, v0
	v_not_b32_e32 v0, v13
	v_xor_b32_e32 v1, vcc_lo, v1
	v_cmp_gt_i64_e32 vcc, 0, v[12:13]
	v_ashrrev_i32_e32 v0, 31, v0
	v_and_b32_e32 v39, v39, v1
	v_xor_b32_e32 v1, vcc_hi, v0
	v_xor_b32_e32 v0, vcc_lo, v0
	v_and_b32_e32 v0, v39, v0
	v_and_b32_e32 v1, v41, v1
	v_mbcnt_lo_u32_b32 v13, v0, 0
	v_mbcnt_hi_u32_b32 v39, v1, v13
	v_cmp_eq_u32_e32 vcc, 0, v39
	v_cmp_ne_u64_e64 s[22:23], 0, v[0:1]
	s_and_b64 s[34:35], vcc, s[22:23]
	; wave barrier
	s_and_saveexec_b64 s[22:23], s[34:35]
	s_cbranch_execz .LBB59_20
; %bb.19:                               ;   in Loop: Header=BB59_4 Depth=2
	v_bcnt_u32_b32 v0, v0, 0
	v_bcnt_u32_b32 v0, v1, v0
	s_waitcnt lgkmcnt(0)
	v_add_u32_e32 v0, v38, v0
	ds_write_b32 v40, v0
.LBB59_20:                              ;   in Loop: Header=BB59_4 Depth=2
	s_or_b64 exec, exec, s[22:23]
	v_lshlrev_b32_sdwa v0, s31, v4 dst_sel:DWORD dst_unused:UNUSED_PAD src0_sel:DWORD src1_sel:BYTE_0
	v_lshrrev_b32_e32 v1, 28, v0
	v_mul_u32_u24_e32 v13, 3, v1
	v_add_lshl_u32 v13, v13, v14, 2
	; wave barrier
	v_add_u32_e32 v42, 8, v13
	ds_read_b32 v41, v13 offset:8
	v_bfe_u32 v13, v0, 28, 1
	v_add_co_u32_e32 v43, vcc, -1, v13
	v_addc_co_u32_e64 v44, s[22:23], 0, -1, vcc
	v_cmp_ne_u32_e32 vcc, 0, v13
	v_xor_b32_e32 v13, vcc_hi, v44
	v_and_b32_e32 v44, exec_hi, v13
	v_lshlrev_b32_e32 v13, 30, v1
	v_xor_b32_e32 v43, vcc_lo, v43
	v_cmp_gt_i64_e32 vcc, 0, v[12:13]
	v_not_b32_e32 v13, v13
	v_ashrrev_i32_e32 v13, 31, v13
	v_and_b32_e32 v43, exec_lo, v43
	v_xor_b32_e32 v45, vcc_hi, v13
	v_xor_b32_e32 v13, vcc_lo, v13
	v_and_b32_e32 v43, v43, v13
	v_lshlrev_b32_e32 v13, 29, v1
	v_not_b32_e32 v1, v13
	v_cmp_gt_i64_e32 vcc, 0, v[12:13]
	v_ashrrev_i32_e32 v1, 31, v1
	v_and_b32_e32 v44, v44, v45
	v_xor_b32_e32 v13, vcc_hi, v1
	v_and_b32_e32 v44, v44, v13
	v_and_b32_e32 v13, 0xf0000000, v0
	v_not_b32_e32 v0, v13
	v_xor_b32_e32 v1, vcc_lo, v1
	v_cmp_gt_i64_e32 vcc, 0, v[12:13]
	v_ashrrev_i32_e32 v0, 31, v0
	v_and_b32_e32 v43, v43, v1
	v_xor_b32_e32 v1, vcc_hi, v0
	v_xor_b32_e32 v0, vcc_lo, v0
	v_and_b32_e32 v0, v43, v0
	v_and_b32_e32 v1, v44, v1
	v_mbcnt_lo_u32_b32 v13, v0, 0
	v_mbcnt_hi_u32_b32 v43, v1, v13
	v_cmp_eq_u32_e32 vcc, 0, v43
	v_cmp_ne_u64_e64 s[22:23], 0, v[0:1]
	s_and_b64 s[34:35], vcc, s[22:23]
	; wave barrier
	s_and_saveexec_b64 s[22:23], s[34:35]
	s_cbranch_execz .LBB59_22
; %bb.21:                               ;   in Loop: Header=BB59_4 Depth=2
	v_bcnt_u32_b32 v0, v0, 0
	v_bcnt_u32_b32 v0, v1, v0
	s_waitcnt lgkmcnt(0)
	v_add_u32_e32 v0, v41, v0
	ds_write_b32 v42, v0
.LBB59_22:                              ;   in Loop: Header=BB59_4 Depth=2
	s_or_b64 exec, exec, s[22:23]
	v_lshlrev_b32_sdwa v0, s31, v4 dst_sel:DWORD dst_unused:UNUSED_PAD src0_sel:DWORD src1_sel:BYTE_1
	v_lshrrev_b32_e32 v1, 28, v0
	v_mul_u32_u24_e32 v13, 3, v1
	v_add_lshl_u32 v13, v13, v14, 2
	; wave barrier
	v_add_u32_e32 v45, 8, v13
	ds_read_b32 v44, v13 offset:8
	v_bfe_u32 v13, v0, 28, 1
	v_add_co_u32_e32 v46, vcc, -1, v13
	v_addc_co_u32_e64 v47, s[22:23], 0, -1, vcc
	v_cmp_ne_u32_e32 vcc, 0, v13
	v_xor_b32_e32 v13, vcc_hi, v47
	v_and_b32_e32 v47, exec_hi, v13
	v_lshlrev_b32_e32 v13, 30, v1
	v_xor_b32_e32 v46, vcc_lo, v46
	v_cmp_gt_i64_e32 vcc, 0, v[12:13]
	v_not_b32_e32 v13, v13
	v_ashrrev_i32_e32 v13, 31, v13
	v_and_b32_e32 v46, exec_lo, v46
	v_xor_b32_e32 v48, vcc_hi, v13
	v_xor_b32_e32 v13, vcc_lo, v13
	v_and_b32_e32 v46, v46, v13
	v_lshlrev_b32_e32 v13, 29, v1
	v_not_b32_e32 v1, v13
	v_cmp_gt_i64_e32 vcc, 0, v[12:13]
	v_ashrrev_i32_e32 v1, 31, v1
	v_and_b32_e32 v47, v47, v48
	v_xor_b32_e32 v13, vcc_hi, v1
	v_and_b32_e32 v47, v47, v13
	v_and_b32_e32 v13, 0xf0000000, v0
	v_not_b32_e32 v0, v13
	v_xor_b32_e32 v1, vcc_lo, v1
	v_cmp_gt_i64_e32 vcc, 0, v[12:13]
	v_ashrrev_i32_e32 v0, 31, v0
	v_and_b32_e32 v46, v46, v1
	v_xor_b32_e32 v1, vcc_hi, v0
	v_xor_b32_e32 v0, vcc_lo, v0
	v_and_b32_e32 v0, v46, v0
	v_and_b32_e32 v1, v47, v1
	v_mbcnt_lo_u32_b32 v13, v0, 0
	v_mbcnt_hi_u32_b32 v46, v1, v13
	v_cmp_eq_u32_e32 vcc, 0, v46
	v_cmp_ne_u64_e64 s[22:23], 0, v[0:1]
	s_and_b64 s[34:35], vcc, s[22:23]
	; wave barrier
	s_and_saveexec_b64 s[22:23], s[34:35]
	s_cbranch_execz .LBB59_24
; %bb.23:                               ;   in Loop: Header=BB59_4 Depth=2
	v_bcnt_u32_b32 v0, v0, 0
	v_bcnt_u32_b32 v0, v1, v0
	s_waitcnt lgkmcnt(0)
	v_add_u32_e32 v0, v44, v0
	ds_write_b32 v45, v0
.LBB59_24:                              ;   in Loop: Header=BB59_4 Depth=2
	s_or_b64 exec, exec, s[22:23]
	v_lshlrev_b32_sdwa v0, s31, v4 dst_sel:DWORD dst_unused:UNUSED_PAD src0_sel:DWORD src1_sel:BYTE_2
	v_lshrrev_b32_e32 v1, 28, v0
	v_mul_u32_u24_e32 v13, 3, v1
	v_add_lshl_u32 v13, v13, v14, 2
	; wave barrier
	v_add_u32_e32 v48, 8, v13
	ds_read_b32 v47, v13 offset:8
	v_bfe_u32 v13, v0, 28, 1
	v_add_co_u32_e32 v49, vcc, -1, v13
	v_addc_co_u32_e64 v50, s[22:23], 0, -1, vcc
	v_cmp_ne_u32_e32 vcc, 0, v13
	v_xor_b32_e32 v13, vcc_hi, v50
	v_and_b32_e32 v50, exec_hi, v13
	v_lshlrev_b32_e32 v13, 30, v1
	v_xor_b32_e32 v49, vcc_lo, v49
	v_cmp_gt_i64_e32 vcc, 0, v[12:13]
	v_not_b32_e32 v13, v13
	v_ashrrev_i32_e32 v13, 31, v13
	v_and_b32_e32 v49, exec_lo, v49
	v_xor_b32_e32 v51, vcc_hi, v13
	v_xor_b32_e32 v13, vcc_lo, v13
	v_and_b32_e32 v49, v49, v13
	v_lshlrev_b32_e32 v13, 29, v1
	v_not_b32_e32 v1, v13
	v_cmp_gt_i64_e32 vcc, 0, v[12:13]
	v_ashrrev_i32_e32 v1, 31, v1
	v_and_b32_e32 v50, v50, v51
	v_xor_b32_e32 v13, vcc_hi, v1
	v_and_b32_e32 v50, v50, v13
	v_and_b32_e32 v13, 0xf0000000, v0
	v_not_b32_e32 v0, v13
	v_xor_b32_e32 v1, vcc_lo, v1
	v_cmp_gt_i64_e32 vcc, 0, v[12:13]
	v_ashrrev_i32_e32 v0, 31, v0
	v_and_b32_e32 v49, v49, v1
	v_xor_b32_e32 v1, vcc_hi, v0
	v_xor_b32_e32 v0, vcc_lo, v0
	v_and_b32_e32 v0, v49, v0
	v_and_b32_e32 v1, v50, v1
	v_mbcnt_lo_u32_b32 v13, v0, 0
	v_mbcnt_hi_u32_b32 v49, v1, v13
	v_cmp_eq_u32_e32 vcc, 0, v49
	v_cmp_ne_u64_e64 s[22:23], 0, v[0:1]
	s_and_b64 s[34:35], vcc, s[22:23]
	; wave barrier
	s_and_saveexec_b64 s[22:23], s[34:35]
	s_cbranch_execz .LBB59_26
; %bb.25:                               ;   in Loop: Header=BB59_4 Depth=2
	v_bcnt_u32_b32 v0, v0, 0
	v_bcnt_u32_b32 v0, v1, v0
	s_waitcnt lgkmcnt(0)
	v_add_u32_e32 v0, v47, v0
	ds_write_b32 v48, v0
.LBB59_26:                              ;   in Loop: Header=BB59_4 Depth=2
	s_or_b64 exec, exec, s[22:23]
	v_lshlrev_b32_sdwa v0, s31, v4 dst_sel:DWORD dst_unused:UNUSED_PAD src0_sel:DWORD src1_sel:BYTE_3
	v_lshrrev_b32_e32 v1, 28, v0
	v_mul_u32_u24_e32 v13, 3, v1
	v_add_lshl_u32 v13, v13, v14, 2
	; wave barrier
	v_add_u32_e32 v51, 8, v13
	ds_read_b32 v50, v13 offset:8
	v_bfe_u32 v13, v0, 28, 1
	v_add_co_u32_e32 v52, vcc, -1, v13
	v_addc_co_u32_e64 v53, s[22:23], 0, -1, vcc
	v_cmp_ne_u32_e32 vcc, 0, v13
	v_xor_b32_e32 v13, vcc_hi, v53
	v_and_b32_e32 v53, exec_hi, v13
	v_lshlrev_b32_e32 v13, 30, v1
	v_xor_b32_e32 v52, vcc_lo, v52
	v_cmp_gt_i64_e32 vcc, 0, v[12:13]
	v_not_b32_e32 v13, v13
	v_ashrrev_i32_e32 v13, 31, v13
	v_and_b32_e32 v52, exec_lo, v52
	v_xor_b32_e32 v54, vcc_hi, v13
	v_xor_b32_e32 v13, vcc_lo, v13
	v_and_b32_e32 v52, v52, v13
	v_lshlrev_b32_e32 v13, 29, v1
	v_not_b32_e32 v1, v13
	v_cmp_gt_i64_e32 vcc, 0, v[12:13]
	v_ashrrev_i32_e32 v1, 31, v1
	v_and_b32_e32 v53, v53, v54
	v_xor_b32_e32 v13, vcc_hi, v1
	v_and_b32_e32 v53, v53, v13
	v_and_b32_e32 v13, 0xf0000000, v0
	v_not_b32_e32 v0, v13
	v_xor_b32_e32 v1, vcc_lo, v1
	v_cmp_gt_i64_e32 vcc, 0, v[12:13]
	v_ashrrev_i32_e32 v0, 31, v0
	v_and_b32_e32 v52, v52, v1
	v_xor_b32_e32 v1, vcc_hi, v0
	v_xor_b32_e32 v0, vcc_lo, v0
	v_and_b32_e32 v0, v52, v0
	v_and_b32_e32 v1, v53, v1
	v_mbcnt_lo_u32_b32 v13, v0, 0
	v_mbcnt_hi_u32_b32 v52, v1, v13
	v_cmp_eq_u32_e32 vcc, 0, v52
	v_cmp_ne_u64_e64 s[22:23], 0, v[0:1]
	s_and_b64 s[34:35], vcc, s[22:23]
	; wave barrier
	s_and_saveexec_b64 s[22:23], s[34:35]
	s_cbranch_execz .LBB59_28
; %bb.27:                               ;   in Loop: Header=BB59_4 Depth=2
	v_bcnt_u32_b32 v0, v0, 0
	v_bcnt_u32_b32 v0, v1, v0
	s_waitcnt lgkmcnt(0)
	v_add_u32_e32 v0, v50, v0
	ds_write_b32 v51, v0
.LBB59_28:                              ;   in Loop: Header=BB59_4 Depth=2
	s_or_b64 exec, exec, s[22:23]
	v_lshlrev_b32_sdwa v0, s31, v5 dst_sel:DWORD dst_unused:UNUSED_PAD src0_sel:DWORD src1_sel:BYTE_0
	v_lshrrev_b32_e32 v1, 28, v0
	v_mul_u32_u24_e32 v13, 3, v1
	v_add_lshl_u32 v13, v13, v14, 2
	; wave barrier
	v_add_u32_e32 v54, 8, v13
	ds_read_b32 v53, v13 offset:8
	v_bfe_u32 v13, v0, 28, 1
	v_add_co_u32_e32 v55, vcc, -1, v13
	v_addc_co_u32_e64 v56, s[22:23], 0, -1, vcc
	v_cmp_ne_u32_e32 vcc, 0, v13
	v_xor_b32_e32 v13, vcc_hi, v56
	v_and_b32_e32 v56, exec_hi, v13
	v_lshlrev_b32_e32 v13, 30, v1
	v_xor_b32_e32 v55, vcc_lo, v55
	v_cmp_gt_i64_e32 vcc, 0, v[12:13]
	v_not_b32_e32 v13, v13
	v_ashrrev_i32_e32 v13, 31, v13
	v_and_b32_e32 v55, exec_lo, v55
	v_xor_b32_e32 v57, vcc_hi, v13
	v_xor_b32_e32 v13, vcc_lo, v13
	v_and_b32_e32 v55, v55, v13
	v_lshlrev_b32_e32 v13, 29, v1
	v_not_b32_e32 v1, v13
	v_cmp_gt_i64_e32 vcc, 0, v[12:13]
	v_ashrrev_i32_e32 v1, 31, v1
	v_and_b32_e32 v56, v56, v57
	v_xor_b32_e32 v13, vcc_hi, v1
	v_and_b32_e32 v56, v56, v13
	v_and_b32_e32 v13, 0xf0000000, v0
	v_not_b32_e32 v0, v13
	v_xor_b32_e32 v1, vcc_lo, v1
	v_cmp_gt_i64_e32 vcc, 0, v[12:13]
	v_ashrrev_i32_e32 v0, 31, v0
	v_and_b32_e32 v55, v55, v1
	v_xor_b32_e32 v1, vcc_hi, v0
	v_xor_b32_e32 v0, vcc_lo, v0
	v_and_b32_e32 v0, v55, v0
	v_and_b32_e32 v1, v56, v1
	v_mbcnt_lo_u32_b32 v13, v0, 0
	v_mbcnt_hi_u32_b32 v55, v1, v13
	v_cmp_eq_u32_e32 vcc, 0, v55
	v_cmp_ne_u64_e64 s[22:23], 0, v[0:1]
	s_and_b64 s[34:35], vcc, s[22:23]
	; wave barrier
	s_and_saveexec_b64 s[22:23], s[34:35]
	s_cbranch_execz .LBB59_30
; %bb.29:                               ;   in Loop: Header=BB59_4 Depth=2
	v_bcnt_u32_b32 v0, v0, 0
	v_bcnt_u32_b32 v0, v1, v0
	s_waitcnt lgkmcnt(0)
	v_add_u32_e32 v0, v53, v0
	ds_write_b32 v54, v0
.LBB59_30:                              ;   in Loop: Header=BB59_4 Depth=2
	s_or_b64 exec, exec, s[22:23]
	v_lshlrev_b32_sdwa v0, s31, v5 dst_sel:DWORD dst_unused:UNUSED_PAD src0_sel:DWORD src1_sel:BYTE_1
	v_lshrrev_b32_e32 v1, 28, v0
	v_mul_u32_u24_e32 v13, 3, v1
	v_add_lshl_u32 v13, v13, v14, 2
	; wave barrier
	v_add_u32_e32 v57, 8, v13
	ds_read_b32 v56, v13 offset:8
	v_bfe_u32 v13, v0, 28, 1
	v_add_co_u32_e32 v58, vcc, -1, v13
	v_addc_co_u32_e64 v59, s[22:23], 0, -1, vcc
	v_cmp_ne_u32_e32 vcc, 0, v13
	v_xor_b32_e32 v13, vcc_hi, v59
	v_and_b32_e32 v59, exec_hi, v13
	v_lshlrev_b32_e32 v13, 30, v1
	v_xor_b32_e32 v58, vcc_lo, v58
	v_cmp_gt_i64_e32 vcc, 0, v[12:13]
	v_not_b32_e32 v13, v13
	v_ashrrev_i32_e32 v13, 31, v13
	v_and_b32_e32 v58, exec_lo, v58
	v_xor_b32_e32 v60, vcc_hi, v13
	v_xor_b32_e32 v13, vcc_lo, v13
	v_and_b32_e32 v58, v58, v13
	v_lshlrev_b32_e32 v13, 29, v1
	v_not_b32_e32 v1, v13
	v_cmp_gt_i64_e32 vcc, 0, v[12:13]
	v_ashrrev_i32_e32 v1, 31, v1
	v_and_b32_e32 v59, v59, v60
	v_xor_b32_e32 v13, vcc_hi, v1
	v_and_b32_e32 v59, v59, v13
	v_and_b32_e32 v13, 0xf0000000, v0
	v_not_b32_e32 v0, v13
	v_xor_b32_e32 v1, vcc_lo, v1
	v_cmp_gt_i64_e32 vcc, 0, v[12:13]
	v_ashrrev_i32_e32 v0, 31, v0
	v_and_b32_e32 v58, v58, v1
	v_xor_b32_e32 v1, vcc_hi, v0
	v_xor_b32_e32 v0, vcc_lo, v0
	v_and_b32_e32 v0, v58, v0
	v_and_b32_e32 v1, v59, v1
	v_mbcnt_lo_u32_b32 v13, v0, 0
	v_mbcnt_hi_u32_b32 v58, v1, v13
	v_cmp_eq_u32_e32 vcc, 0, v58
	v_cmp_ne_u64_e64 s[22:23], 0, v[0:1]
	s_and_b64 s[34:35], vcc, s[22:23]
	; wave barrier
	s_and_saveexec_b64 s[22:23], s[34:35]
	s_cbranch_execz .LBB59_32
; %bb.31:                               ;   in Loop: Header=BB59_4 Depth=2
	v_bcnt_u32_b32 v0, v0, 0
	v_bcnt_u32_b32 v0, v1, v0
	s_waitcnt lgkmcnt(0)
	v_add_u32_e32 v0, v56, v0
	ds_write_b32 v57, v0
.LBB59_32:                              ;   in Loop: Header=BB59_4 Depth=2
	s_or_b64 exec, exec, s[22:23]
	v_lshlrev_b32_sdwa v0, s31, v5 dst_sel:DWORD dst_unused:UNUSED_PAD src0_sel:DWORD src1_sel:BYTE_2
	v_lshrrev_b32_e32 v1, 28, v0
	v_mul_u32_u24_e32 v13, 3, v1
	v_add_lshl_u32 v13, v13, v14, 2
	; wave barrier
	v_add_u32_e32 v60, 8, v13
	ds_read_b32 v59, v13 offset:8
	v_bfe_u32 v13, v0, 28, 1
	v_add_co_u32_e32 v61, vcc, -1, v13
	v_addc_co_u32_e64 v62, s[22:23], 0, -1, vcc
	v_cmp_ne_u32_e32 vcc, 0, v13
	v_xor_b32_e32 v13, vcc_hi, v62
	v_and_b32_e32 v62, exec_hi, v13
	v_lshlrev_b32_e32 v13, 30, v1
	v_xor_b32_e32 v61, vcc_lo, v61
	v_cmp_gt_i64_e32 vcc, 0, v[12:13]
	v_not_b32_e32 v13, v13
	v_ashrrev_i32_e32 v13, 31, v13
	v_and_b32_e32 v61, exec_lo, v61
	v_xor_b32_e32 v63, vcc_hi, v13
	v_xor_b32_e32 v13, vcc_lo, v13
	v_and_b32_e32 v61, v61, v13
	v_lshlrev_b32_e32 v13, 29, v1
	v_not_b32_e32 v1, v13
	v_cmp_gt_i64_e32 vcc, 0, v[12:13]
	v_ashrrev_i32_e32 v1, 31, v1
	v_and_b32_e32 v62, v62, v63
	v_xor_b32_e32 v13, vcc_hi, v1
	v_and_b32_e32 v62, v62, v13
	v_and_b32_e32 v13, 0xf0000000, v0
	v_not_b32_e32 v0, v13
	v_xor_b32_e32 v1, vcc_lo, v1
	v_cmp_gt_i64_e32 vcc, 0, v[12:13]
	v_ashrrev_i32_e32 v0, 31, v0
	v_and_b32_e32 v61, v61, v1
	v_xor_b32_e32 v1, vcc_hi, v0
	v_xor_b32_e32 v0, vcc_lo, v0
	v_and_b32_e32 v0, v61, v0
	v_and_b32_e32 v1, v62, v1
	v_mbcnt_lo_u32_b32 v13, v0, 0
	v_mbcnt_hi_u32_b32 v61, v1, v13
	v_cmp_eq_u32_e32 vcc, 0, v61
	v_cmp_ne_u64_e64 s[22:23], 0, v[0:1]
	s_and_b64 s[34:35], vcc, s[22:23]
	; wave barrier
	s_and_saveexec_b64 s[22:23], s[34:35]
	s_cbranch_execz .LBB59_34
; %bb.33:                               ;   in Loop: Header=BB59_4 Depth=2
	v_bcnt_u32_b32 v0, v0, 0
	v_bcnt_u32_b32 v0, v1, v0
	s_waitcnt lgkmcnt(0)
	v_add_u32_e32 v0, v59, v0
	ds_write_b32 v60, v0
.LBB59_34:                              ;   in Loop: Header=BB59_4 Depth=2
	s_or_b64 exec, exec, s[22:23]
	v_lshlrev_b32_sdwa v0, s31, v5 dst_sel:DWORD dst_unused:UNUSED_PAD src0_sel:DWORD src1_sel:BYTE_3
	v_lshrrev_b32_e32 v1, 28, v0
	v_mul_u32_u24_e32 v13, 3, v1
	v_add_lshl_u32 v13, v13, v14, 2
	; wave barrier
	v_add_u32_e32 v63, 8, v13
	ds_read_b32 v62, v13 offset:8
	v_bfe_u32 v13, v0, 28, 1
	v_add_co_u32_e32 v64, vcc, -1, v13
	v_addc_co_u32_e64 v65, s[22:23], 0, -1, vcc
	v_cmp_ne_u32_e32 vcc, 0, v13
	v_xor_b32_e32 v13, vcc_hi, v65
	v_and_b32_e32 v65, exec_hi, v13
	v_lshlrev_b32_e32 v13, 30, v1
	v_xor_b32_e32 v64, vcc_lo, v64
	v_cmp_gt_i64_e32 vcc, 0, v[12:13]
	v_not_b32_e32 v13, v13
	v_ashrrev_i32_e32 v13, 31, v13
	v_and_b32_e32 v64, exec_lo, v64
	v_xor_b32_e32 v66, vcc_hi, v13
	v_xor_b32_e32 v13, vcc_lo, v13
	v_and_b32_e32 v64, v64, v13
	v_lshlrev_b32_e32 v13, 29, v1
	v_not_b32_e32 v1, v13
	v_cmp_gt_i64_e32 vcc, 0, v[12:13]
	v_ashrrev_i32_e32 v1, 31, v1
	v_and_b32_e32 v65, v65, v66
	v_xor_b32_e32 v13, vcc_hi, v1
	v_and_b32_e32 v65, v65, v13
	v_and_b32_e32 v13, 0xf0000000, v0
	v_not_b32_e32 v0, v13
	v_xor_b32_e32 v1, vcc_lo, v1
	v_cmp_gt_i64_e32 vcc, 0, v[12:13]
	v_ashrrev_i32_e32 v0, 31, v0
	v_and_b32_e32 v64, v64, v1
	v_xor_b32_e32 v1, vcc_hi, v0
	v_xor_b32_e32 v0, vcc_lo, v0
	v_and_b32_e32 v0, v64, v0
	v_and_b32_e32 v1, v65, v1
	v_mbcnt_lo_u32_b32 v13, v0, 0
	v_mbcnt_hi_u32_b32 v64, v1, v13
	v_cmp_eq_u32_e32 vcc, 0, v64
	v_cmp_ne_u64_e64 s[22:23], 0, v[0:1]
	s_and_b64 s[34:35], vcc, s[22:23]
	; wave barrier
	s_and_saveexec_b64 s[22:23], s[34:35]
	s_cbranch_execz .LBB59_36
; %bb.35:                               ;   in Loop: Header=BB59_4 Depth=2
	v_bcnt_u32_b32 v0, v0, 0
	v_bcnt_u32_b32 v0, v1, v0
	s_waitcnt lgkmcnt(0)
	v_add_u32_e32 v0, v62, v0
	ds_write_b32 v63, v0
.LBB59_36:                              ;   in Loop: Header=BB59_4 Depth=2
	s_or_b64 exec, exec, s[22:23]
	s_waitcnt vmcnt(0)
	v_lshlrev_b32_sdwa v0, s31, v6 dst_sel:DWORD dst_unused:UNUSED_PAD src0_sel:DWORD src1_sel:BYTE_0
	v_lshrrev_b32_e32 v1, 28, v0
	v_mul_u32_u24_e32 v13, 3, v1
	v_add_lshl_u32 v13, v13, v14, 2
	; wave barrier
	v_add_u32_e32 v66, 8, v13
	ds_read_b32 v65, v13 offset:8
	v_bfe_u32 v13, v0, 28, 1
	v_add_co_u32_e32 v67, vcc, -1, v13
	v_addc_co_u32_e64 v68, s[22:23], 0, -1, vcc
	v_cmp_ne_u32_e32 vcc, 0, v13
	v_xor_b32_e32 v13, vcc_hi, v68
	v_and_b32_e32 v68, exec_hi, v13
	v_lshlrev_b32_e32 v13, 30, v1
	v_xor_b32_e32 v67, vcc_lo, v67
	v_cmp_gt_i64_e32 vcc, 0, v[12:13]
	v_not_b32_e32 v13, v13
	v_ashrrev_i32_e32 v13, 31, v13
	v_and_b32_e32 v67, exec_lo, v67
	v_xor_b32_e32 v69, vcc_hi, v13
	v_xor_b32_e32 v13, vcc_lo, v13
	v_and_b32_e32 v67, v67, v13
	v_lshlrev_b32_e32 v13, 29, v1
	v_not_b32_e32 v1, v13
	v_cmp_gt_i64_e32 vcc, 0, v[12:13]
	v_ashrrev_i32_e32 v1, 31, v1
	v_and_b32_e32 v68, v68, v69
	v_xor_b32_e32 v13, vcc_hi, v1
	v_and_b32_e32 v68, v68, v13
	v_and_b32_e32 v13, 0xf0000000, v0
	v_not_b32_e32 v0, v13
	v_xor_b32_e32 v1, vcc_lo, v1
	v_cmp_gt_i64_e32 vcc, 0, v[12:13]
	v_ashrrev_i32_e32 v0, 31, v0
	v_and_b32_e32 v67, v67, v1
	v_xor_b32_e32 v1, vcc_hi, v0
	v_xor_b32_e32 v0, vcc_lo, v0
	v_and_b32_e32 v0, v67, v0
	v_and_b32_e32 v1, v68, v1
	v_mbcnt_lo_u32_b32 v13, v0, 0
	v_mbcnt_hi_u32_b32 v67, v1, v13
	v_cmp_eq_u32_e32 vcc, 0, v67
	v_cmp_ne_u64_e64 s[22:23], 0, v[0:1]
	s_and_b64 s[34:35], vcc, s[22:23]
	; wave barrier
	s_and_saveexec_b64 s[22:23], s[34:35]
	s_cbranch_execz .LBB59_38
; %bb.37:                               ;   in Loop: Header=BB59_4 Depth=2
	v_bcnt_u32_b32 v0, v0, 0
	v_bcnt_u32_b32 v0, v1, v0
	s_waitcnt lgkmcnt(0)
	v_add_u32_e32 v0, v65, v0
	ds_write_b32 v66, v0
.LBB59_38:                              ;   in Loop: Header=BB59_4 Depth=2
	s_or_b64 exec, exec, s[22:23]
	v_lshlrev_b32_sdwa v0, s31, v6 dst_sel:DWORD dst_unused:UNUSED_PAD src0_sel:DWORD src1_sel:BYTE_1
	v_lshrrev_b32_e32 v1, 28, v0
	v_mul_u32_u24_e32 v13, 3, v1
	v_add_lshl_u32 v13, v13, v14, 2
	; wave barrier
	v_add_u32_e32 v69, 8, v13
	ds_read_b32 v68, v13 offset:8
	v_bfe_u32 v13, v0, 28, 1
	v_add_co_u32_e32 v70, vcc, -1, v13
	v_addc_co_u32_e64 v71, s[22:23], 0, -1, vcc
	v_cmp_ne_u32_e32 vcc, 0, v13
	v_xor_b32_e32 v13, vcc_hi, v71
	v_and_b32_e32 v71, exec_hi, v13
	v_lshlrev_b32_e32 v13, 30, v1
	v_xor_b32_e32 v70, vcc_lo, v70
	v_cmp_gt_i64_e32 vcc, 0, v[12:13]
	v_not_b32_e32 v13, v13
	v_ashrrev_i32_e32 v13, 31, v13
	v_and_b32_e32 v70, exec_lo, v70
	v_xor_b32_e32 v72, vcc_hi, v13
	v_xor_b32_e32 v13, vcc_lo, v13
	v_and_b32_e32 v70, v70, v13
	v_lshlrev_b32_e32 v13, 29, v1
	v_not_b32_e32 v1, v13
	v_cmp_gt_i64_e32 vcc, 0, v[12:13]
	v_ashrrev_i32_e32 v1, 31, v1
	v_and_b32_e32 v71, v71, v72
	v_xor_b32_e32 v13, vcc_hi, v1
	v_and_b32_e32 v71, v71, v13
	v_and_b32_e32 v13, 0xf0000000, v0
	v_not_b32_e32 v0, v13
	v_xor_b32_e32 v1, vcc_lo, v1
	v_cmp_gt_i64_e32 vcc, 0, v[12:13]
	v_ashrrev_i32_e32 v0, 31, v0
	v_and_b32_e32 v70, v70, v1
	v_xor_b32_e32 v1, vcc_hi, v0
	v_xor_b32_e32 v0, vcc_lo, v0
	v_and_b32_e32 v0, v70, v0
	v_and_b32_e32 v1, v71, v1
	v_mbcnt_lo_u32_b32 v13, v0, 0
	v_mbcnt_hi_u32_b32 v70, v1, v13
	v_cmp_eq_u32_e32 vcc, 0, v70
	v_cmp_ne_u64_e64 s[22:23], 0, v[0:1]
	s_and_b64 s[34:35], vcc, s[22:23]
	; wave barrier
	s_and_saveexec_b64 s[22:23], s[34:35]
	s_cbranch_execz .LBB59_40
; %bb.39:                               ;   in Loop: Header=BB59_4 Depth=2
	v_bcnt_u32_b32 v0, v0, 0
	v_bcnt_u32_b32 v0, v1, v0
	s_waitcnt lgkmcnt(0)
	v_add_u32_e32 v0, v68, v0
	ds_write_b32 v69, v0
.LBB59_40:                              ;   in Loop: Header=BB59_4 Depth=2
	s_or_b64 exec, exec, s[22:23]
	v_lshlrev_b32_sdwa v0, s31, v6 dst_sel:DWORD dst_unused:UNUSED_PAD src0_sel:DWORD src1_sel:BYTE_2
	v_lshrrev_b32_e32 v1, 28, v0
	v_mul_u32_u24_e32 v13, 3, v1
	v_add_lshl_u32 v13, v13, v14, 2
	; wave barrier
	v_add_u32_e32 v72, 8, v13
	ds_read_b32 v71, v13 offset:8
	v_bfe_u32 v13, v0, 28, 1
	v_add_co_u32_e32 v73, vcc, -1, v13
	v_addc_co_u32_e64 v74, s[22:23], 0, -1, vcc
	v_cmp_ne_u32_e32 vcc, 0, v13
	v_xor_b32_e32 v13, vcc_hi, v74
	v_and_b32_e32 v74, exec_hi, v13
	v_lshlrev_b32_e32 v13, 30, v1
	v_xor_b32_e32 v73, vcc_lo, v73
	v_cmp_gt_i64_e32 vcc, 0, v[12:13]
	v_not_b32_e32 v13, v13
	v_ashrrev_i32_e32 v13, 31, v13
	v_and_b32_e32 v73, exec_lo, v73
	v_xor_b32_e32 v75, vcc_hi, v13
	v_xor_b32_e32 v13, vcc_lo, v13
	v_and_b32_e32 v73, v73, v13
	v_lshlrev_b32_e32 v13, 29, v1
	v_not_b32_e32 v1, v13
	v_cmp_gt_i64_e32 vcc, 0, v[12:13]
	v_ashrrev_i32_e32 v1, 31, v1
	v_and_b32_e32 v74, v74, v75
	v_xor_b32_e32 v13, vcc_hi, v1
	v_and_b32_e32 v74, v74, v13
	v_and_b32_e32 v13, 0xf0000000, v0
	v_not_b32_e32 v0, v13
	v_xor_b32_e32 v1, vcc_lo, v1
	v_cmp_gt_i64_e32 vcc, 0, v[12:13]
	v_ashrrev_i32_e32 v0, 31, v0
	v_and_b32_e32 v73, v73, v1
	v_xor_b32_e32 v1, vcc_hi, v0
	v_xor_b32_e32 v0, vcc_lo, v0
	v_and_b32_e32 v0, v73, v0
	v_and_b32_e32 v1, v74, v1
	v_mbcnt_lo_u32_b32 v13, v0, 0
	v_mbcnt_hi_u32_b32 v73, v1, v13
	v_cmp_eq_u32_e32 vcc, 0, v73
	v_cmp_ne_u64_e64 s[22:23], 0, v[0:1]
	s_and_b64 s[34:35], vcc, s[22:23]
	; wave barrier
	s_and_saveexec_b64 s[22:23], s[34:35]
	s_cbranch_execz .LBB59_42
; %bb.41:                               ;   in Loop: Header=BB59_4 Depth=2
	v_bcnt_u32_b32 v0, v0, 0
	v_bcnt_u32_b32 v0, v1, v0
	s_waitcnt lgkmcnt(0)
	v_add_u32_e32 v0, v71, v0
	ds_write_b32 v72, v0
.LBB59_42:                              ;   in Loop: Header=BB59_4 Depth=2
	s_or_b64 exec, exec, s[22:23]
	v_lshlrev_b32_sdwa v0, s31, v6 dst_sel:DWORD dst_unused:UNUSED_PAD src0_sel:DWORD src1_sel:BYTE_3
	v_lshrrev_b32_e32 v1, 28, v0
	v_mul_u32_u24_e32 v13, 3, v1
	v_add_lshl_u32 v13, v13, v14, 2
	; wave barrier
	v_add_u32_e32 v75, 8, v13
	ds_read_b32 v74, v13 offset:8
	v_bfe_u32 v13, v0, 28, 1
	v_add_co_u32_e32 v76, vcc, -1, v13
	v_addc_co_u32_e64 v77, s[22:23], 0, -1, vcc
	v_cmp_ne_u32_e32 vcc, 0, v13
	v_xor_b32_e32 v13, vcc_hi, v77
	v_and_b32_e32 v77, exec_hi, v13
	v_lshlrev_b32_e32 v13, 30, v1
	v_xor_b32_e32 v76, vcc_lo, v76
	v_cmp_gt_i64_e32 vcc, 0, v[12:13]
	v_not_b32_e32 v13, v13
	v_ashrrev_i32_e32 v13, 31, v13
	v_and_b32_e32 v76, exec_lo, v76
	v_xor_b32_e32 v78, vcc_hi, v13
	v_xor_b32_e32 v13, vcc_lo, v13
	v_and_b32_e32 v76, v76, v13
	v_lshlrev_b32_e32 v13, 29, v1
	v_not_b32_e32 v1, v13
	v_cmp_gt_i64_e32 vcc, 0, v[12:13]
	v_ashrrev_i32_e32 v1, 31, v1
	v_and_b32_e32 v77, v77, v78
	v_xor_b32_e32 v13, vcc_hi, v1
	v_and_b32_e32 v77, v77, v13
	v_and_b32_e32 v13, 0xf0000000, v0
	v_not_b32_e32 v0, v13
	v_xor_b32_e32 v1, vcc_lo, v1
	v_cmp_gt_i64_e32 vcc, 0, v[12:13]
	v_ashrrev_i32_e32 v0, 31, v0
	v_and_b32_e32 v76, v76, v1
	v_xor_b32_e32 v1, vcc_hi, v0
	v_xor_b32_e32 v0, vcc_lo, v0
	v_and_b32_e32 v0, v76, v0
	v_and_b32_e32 v1, v77, v1
	v_mbcnt_lo_u32_b32 v13, v0, 0
	v_mbcnt_hi_u32_b32 v76, v1, v13
	v_cmp_eq_u32_e32 vcc, 0, v76
	v_cmp_ne_u64_e64 s[22:23], 0, v[0:1]
	s_and_b64 s[34:35], vcc, s[22:23]
	; wave barrier
	s_and_saveexec_b64 s[22:23], s[34:35]
	s_cbranch_execz .LBB59_44
; %bb.43:                               ;   in Loop: Header=BB59_4 Depth=2
	v_bcnt_u32_b32 v0, v0, 0
	v_bcnt_u32_b32 v0, v1, v0
	s_waitcnt lgkmcnt(0)
	v_add_u32_e32 v0, v74, v0
	ds_write_b32 v75, v0
.LBB59_44:                              ;   in Loop: Header=BB59_4 Depth=2
	s_or_b64 exec, exec, s[22:23]
	v_lshlrev_b32_sdwa v0, s31, v7 dst_sel:DWORD dst_unused:UNUSED_PAD src0_sel:DWORD src1_sel:BYTE_0
	v_lshrrev_b32_e32 v1, 28, v0
	v_mul_u32_u24_e32 v13, 3, v1
	v_add_lshl_u32 v13, v13, v14, 2
	; wave barrier
	v_add_u32_e32 v78, 8, v13
	ds_read_b32 v77, v13 offset:8
	v_bfe_u32 v13, v0, 28, 1
	v_add_co_u32_e32 v79, vcc, -1, v13
	v_addc_co_u32_e64 v80, s[22:23], 0, -1, vcc
	v_cmp_ne_u32_e32 vcc, 0, v13
	v_xor_b32_e32 v13, vcc_hi, v80
	v_and_b32_e32 v80, exec_hi, v13
	v_lshlrev_b32_e32 v13, 30, v1
	v_xor_b32_e32 v79, vcc_lo, v79
	v_cmp_gt_i64_e32 vcc, 0, v[12:13]
	v_not_b32_e32 v13, v13
	v_ashrrev_i32_e32 v13, 31, v13
	v_and_b32_e32 v79, exec_lo, v79
	v_xor_b32_e32 v81, vcc_hi, v13
	v_xor_b32_e32 v13, vcc_lo, v13
	v_and_b32_e32 v79, v79, v13
	v_lshlrev_b32_e32 v13, 29, v1
	v_not_b32_e32 v1, v13
	v_cmp_gt_i64_e32 vcc, 0, v[12:13]
	v_ashrrev_i32_e32 v1, 31, v1
	v_and_b32_e32 v80, v80, v81
	v_xor_b32_e32 v13, vcc_hi, v1
	v_and_b32_e32 v80, v80, v13
	v_and_b32_e32 v13, 0xf0000000, v0
	v_not_b32_e32 v0, v13
	v_xor_b32_e32 v1, vcc_lo, v1
	v_cmp_gt_i64_e32 vcc, 0, v[12:13]
	v_ashrrev_i32_e32 v0, 31, v0
	v_and_b32_e32 v79, v79, v1
	v_xor_b32_e32 v1, vcc_hi, v0
	v_xor_b32_e32 v0, vcc_lo, v0
	v_and_b32_e32 v0, v79, v0
	v_and_b32_e32 v1, v80, v1
	v_mbcnt_lo_u32_b32 v13, v0, 0
	v_mbcnt_hi_u32_b32 v79, v1, v13
	v_cmp_eq_u32_e32 vcc, 0, v79
	v_cmp_ne_u64_e64 s[22:23], 0, v[0:1]
	s_and_b64 s[34:35], vcc, s[22:23]
	; wave barrier
	s_and_saveexec_b64 s[22:23], s[34:35]
	s_cbranch_execz .LBB59_46
; %bb.45:                               ;   in Loop: Header=BB59_4 Depth=2
	v_bcnt_u32_b32 v0, v0, 0
	v_bcnt_u32_b32 v0, v1, v0
	s_waitcnt lgkmcnt(0)
	v_add_u32_e32 v0, v77, v0
	ds_write_b32 v78, v0
.LBB59_46:                              ;   in Loop: Header=BB59_4 Depth=2
	s_or_b64 exec, exec, s[22:23]
	v_lshlrev_b32_sdwa v0, s31, v7 dst_sel:DWORD dst_unused:UNUSED_PAD src0_sel:DWORD src1_sel:BYTE_1
	v_lshrrev_b32_e32 v1, 28, v0
	v_mul_u32_u24_e32 v13, 3, v1
	v_add_lshl_u32 v13, v13, v14, 2
	; wave barrier
	v_add_u32_e32 v81, 8, v13
	ds_read_b32 v80, v13 offset:8
	v_bfe_u32 v13, v0, 28, 1
	v_add_co_u32_e32 v82, vcc, -1, v13
	v_addc_co_u32_e64 v83, s[22:23], 0, -1, vcc
	v_cmp_ne_u32_e32 vcc, 0, v13
	v_xor_b32_e32 v13, vcc_hi, v83
	v_and_b32_e32 v83, exec_hi, v13
	v_lshlrev_b32_e32 v13, 30, v1
	v_xor_b32_e32 v82, vcc_lo, v82
	v_cmp_gt_i64_e32 vcc, 0, v[12:13]
	v_not_b32_e32 v13, v13
	v_ashrrev_i32_e32 v13, 31, v13
	v_and_b32_e32 v82, exec_lo, v82
	v_xor_b32_e32 v84, vcc_hi, v13
	v_xor_b32_e32 v13, vcc_lo, v13
	v_and_b32_e32 v82, v82, v13
	v_lshlrev_b32_e32 v13, 29, v1
	v_not_b32_e32 v1, v13
	v_cmp_gt_i64_e32 vcc, 0, v[12:13]
	v_ashrrev_i32_e32 v1, 31, v1
	v_and_b32_e32 v83, v83, v84
	v_xor_b32_e32 v13, vcc_hi, v1
	v_and_b32_e32 v83, v83, v13
	v_and_b32_e32 v13, 0xf0000000, v0
	v_not_b32_e32 v0, v13
	v_xor_b32_e32 v1, vcc_lo, v1
	v_cmp_gt_i64_e32 vcc, 0, v[12:13]
	v_ashrrev_i32_e32 v0, 31, v0
	v_and_b32_e32 v82, v82, v1
	v_xor_b32_e32 v1, vcc_hi, v0
	v_xor_b32_e32 v0, vcc_lo, v0
	v_and_b32_e32 v0, v82, v0
	v_and_b32_e32 v1, v83, v1
	v_mbcnt_lo_u32_b32 v13, v0, 0
	v_mbcnt_hi_u32_b32 v82, v1, v13
	v_cmp_eq_u32_e32 vcc, 0, v82
	v_cmp_ne_u64_e64 s[22:23], 0, v[0:1]
	s_and_b64 s[34:35], vcc, s[22:23]
	; wave barrier
	s_and_saveexec_b64 s[22:23], s[34:35]
	s_cbranch_execz .LBB59_48
; %bb.47:                               ;   in Loop: Header=BB59_4 Depth=2
	v_bcnt_u32_b32 v0, v0, 0
	v_bcnt_u32_b32 v0, v1, v0
	s_waitcnt lgkmcnt(0)
	v_add_u32_e32 v0, v80, v0
	ds_write_b32 v81, v0
.LBB59_48:                              ;   in Loop: Header=BB59_4 Depth=2
	s_or_b64 exec, exec, s[22:23]
	v_lshlrev_b32_sdwa v0, s31, v7 dst_sel:DWORD dst_unused:UNUSED_PAD src0_sel:DWORD src1_sel:BYTE_2
	v_lshrrev_b32_e32 v1, 28, v0
	v_mul_u32_u24_e32 v13, 3, v1
	v_add_lshl_u32 v13, v13, v14, 2
	; wave barrier
	v_add_u32_e32 v84, 8, v13
	ds_read_b32 v83, v13 offset:8
	v_bfe_u32 v13, v0, 28, 1
	v_add_co_u32_e32 v85, vcc, -1, v13
	v_addc_co_u32_e64 v86, s[22:23], 0, -1, vcc
	v_cmp_ne_u32_e32 vcc, 0, v13
	v_xor_b32_e32 v13, vcc_hi, v86
	v_and_b32_e32 v86, exec_hi, v13
	v_lshlrev_b32_e32 v13, 30, v1
	v_xor_b32_e32 v85, vcc_lo, v85
	v_cmp_gt_i64_e32 vcc, 0, v[12:13]
	v_not_b32_e32 v13, v13
	v_ashrrev_i32_e32 v13, 31, v13
	v_and_b32_e32 v85, exec_lo, v85
	v_xor_b32_e32 v87, vcc_hi, v13
	v_xor_b32_e32 v13, vcc_lo, v13
	v_and_b32_e32 v85, v85, v13
	v_lshlrev_b32_e32 v13, 29, v1
	v_not_b32_e32 v1, v13
	v_cmp_gt_i64_e32 vcc, 0, v[12:13]
	v_ashrrev_i32_e32 v1, 31, v1
	v_and_b32_e32 v86, v86, v87
	v_xor_b32_e32 v13, vcc_hi, v1
	v_and_b32_e32 v86, v86, v13
	v_and_b32_e32 v13, 0xf0000000, v0
	v_not_b32_e32 v0, v13
	v_xor_b32_e32 v1, vcc_lo, v1
	v_cmp_gt_i64_e32 vcc, 0, v[12:13]
	v_ashrrev_i32_e32 v0, 31, v0
	v_and_b32_e32 v85, v85, v1
	v_xor_b32_e32 v1, vcc_hi, v0
	v_xor_b32_e32 v0, vcc_lo, v0
	v_and_b32_e32 v0, v85, v0
	v_and_b32_e32 v1, v86, v1
	v_mbcnt_lo_u32_b32 v13, v0, 0
	v_mbcnt_hi_u32_b32 v85, v1, v13
	v_cmp_eq_u32_e32 vcc, 0, v85
	v_cmp_ne_u64_e64 s[22:23], 0, v[0:1]
	s_and_b64 s[34:35], vcc, s[22:23]
	; wave barrier
	s_and_saveexec_b64 s[22:23], s[34:35]
	s_cbranch_execz .LBB59_50
; %bb.49:                               ;   in Loop: Header=BB59_4 Depth=2
	v_bcnt_u32_b32 v0, v0, 0
	v_bcnt_u32_b32 v0, v1, v0
	s_waitcnt lgkmcnt(0)
	v_add_u32_e32 v0, v83, v0
	ds_write_b32 v84, v0
.LBB59_50:                              ;   in Loop: Header=BB59_4 Depth=2
	s_or_b64 exec, exec, s[22:23]
	v_lshlrev_b32_sdwa v0, s31, v7 dst_sel:DWORD dst_unused:UNUSED_PAD src0_sel:DWORD src1_sel:BYTE_3
	v_lshrrev_b32_e32 v1, 28, v0
	v_mul_u32_u24_e32 v13, 3, v1
	v_add_lshl_u32 v13, v13, v14, 2
	; wave barrier
	v_add_u32_e32 v87, 8, v13
	ds_read_b32 v86, v13 offset:8
	v_bfe_u32 v13, v0, 28, 1
	v_add_co_u32_e32 v88, vcc, -1, v13
	v_addc_co_u32_e64 v89, s[22:23], 0, -1, vcc
	v_cmp_ne_u32_e32 vcc, 0, v13
	v_xor_b32_e32 v13, vcc_hi, v89
	v_and_b32_e32 v89, exec_hi, v13
	v_lshlrev_b32_e32 v13, 30, v1
	v_xor_b32_e32 v88, vcc_lo, v88
	v_cmp_gt_i64_e32 vcc, 0, v[12:13]
	v_not_b32_e32 v13, v13
	v_ashrrev_i32_e32 v13, 31, v13
	v_and_b32_e32 v88, exec_lo, v88
	v_xor_b32_e32 v90, vcc_hi, v13
	v_xor_b32_e32 v13, vcc_lo, v13
	v_and_b32_e32 v88, v88, v13
	v_lshlrev_b32_e32 v13, 29, v1
	v_not_b32_e32 v1, v13
	v_cmp_gt_i64_e32 vcc, 0, v[12:13]
	v_ashrrev_i32_e32 v1, 31, v1
	v_and_b32_e32 v89, v89, v90
	v_xor_b32_e32 v13, vcc_hi, v1
	v_and_b32_e32 v89, v89, v13
	v_and_b32_e32 v13, 0xf0000000, v0
	v_not_b32_e32 v0, v13
	v_xor_b32_e32 v1, vcc_lo, v1
	v_cmp_gt_i64_e32 vcc, 0, v[12:13]
	v_ashrrev_i32_e32 v0, 31, v0
	v_and_b32_e32 v88, v88, v1
	v_xor_b32_e32 v1, vcc_hi, v0
	v_xor_b32_e32 v0, vcc_lo, v0
	v_and_b32_e32 v0, v88, v0
	v_and_b32_e32 v1, v89, v1
	v_mbcnt_lo_u32_b32 v13, v0, 0
	v_mbcnt_hi_u32_b32 v88, v1, v13
	v_cmp_eq_u32_e32 vcc, 0, v88
	v_cmp_ne_u64_e64 s[22:23], 0, v[0:1]
	s_and_b64 s[34:35], vcc, s[22:23]
	; wave barrier
	s_and_saveexec_b64 s[22:23], s[34:35]
	s_cbranch_execz .LBB59_52
; %bb.51:                               ;   in Loop: Header=BB59_4 Depth=2
	v_bcnt_u32_b32 v0, v0, 0
	v_bcnt_u32_b32 v0, v1, v0
	s_waitcnt lgkmcnt(0)
	v_add_u32_e32 v0, v86, v0
	ds_write_b32 v87, v0
.LBB59_52:                              ;   in Loop: Header=BB59_4 Depth=2
	s_or_b64 exec, exec, s[22:23]
	v_lshlrev_b32_sdwa v0, s31, v8 dst_sel:DWORD dst_unused:UNUSED_PAD src0_sel:DWORD src1_sel:BYTE_0
	v_lshrrev_b32_e32 v1, 28, v0
	v_mul_u32_u24_e32 v13, 3, v1
	v_add_lshl_u32 v13, v13, v14, 2
	; wave barrier
	v_add_u32_e32 v90, 8, v13
	ds_read_b32 v89, v13 offset:8
	v_bfe_u32 v13, v0, 28, 1
	v_add_co_u32_e32 v91, vcc, -1, v13
	v_addc_co_u32_e64 v92, s[22:23], 0, -1, vcc
	v_cmp_ne_u32_e32 vcc, 0, v13
	v_xor_b32_e32 v13, vcc_hi, v92
	v_and_b32_e32 v92, exec_hi, v13
	v_lshlrev_b32_e32 v13, 30, v1
	v_xor_b32_e32 v91, vcc_lo, v91
	v_cmp_gt_i64_e32 vcc, 0, v[12:13]
	v_not_b32_e32 v13, v13
	v_ashrrev_i32_e32 v13, 31, v13
	v_and_b32_e32 v91, exec_lo, v91
	v_xor_b32_e32 v93, vcc_hi, v13
	v_xor_b32_e32 v13, vcc_lo, v13
	v_and_b32_e32 v91, v91, v13
	v_lshlrev_b32_e32 v13, 29, v1
	v_not_b32_e32 v1, v13
	v_cmp_gt_i64_e32 vcc, 0, v[12:13]
	v_ashrrev_i32_e32 v1, 31, v1
	v_and_b32_e32 v92, v92, v93
	v_xor_b32_e32 v13, vcc_hi, v1
	v_and_b32_e32 v92, v92, v13
	v_and_b32_e32 v13, 0xf0000000, v0
	v_not_b32_e32 v0, v13
	v_xor_b32_e32 v1, vcc_lo, v1
	v_cmp_gt_i64_e32 vcc, 0, v[12:13]
	v_ashrrev_i32_e32 v0, 31, v0
	v_and_b32_e32 v91, v91, v1
	v_xor_b32_e32 v1, vcc_hi, v0
	v_xor_b32_e32 v0, vcc_lo, v0
	v_and_b32_e32 v0, v91, v0
	v_and_b32_e32 v1, v92, v1
	v_mbcnt_lo_u32_b32 v13, v0, 0
	v_mbcnt_hi_u32_b32 v91, v1, v13
	v_cmp_eq_u32_e32 vcc, 0, v91
	v_cmp_ne_u64_e64 s[22:23], 0, v[0:1]
	s_and_b64 s[34:35], vcc, s[22:23]
	; wave barrier
	s_and_saveexec_b64 s[22:23], s[34:35]
	s_cbranch_execz .LBB59_54
; %bb.53:                               ;   in Loop: Header=BB59_4 Depth=2
	v_bcnt_u32_b32 v0, v0, 0
	v_bcnt_u32_b32 v0, v1, v0
	s_waitcnt lgkmcnt(0)
	v_add_u32_e32 v0, v89, v0
	ds_write_b32 v90, v0
.LBB59_54:                              ;   in Loop: Header=BB59_4 Depth=2
	s_or_b64 exec, exec, s[22:23]
	v_lshlrev_b32_sdwa v0, s31, v8 dst_sel:DWORD dst_unused:UNUSED_PAD src0_sel:DWORD src1_sel:BYTE_1
	v_lshrrev_b32_e32 v1, 28, v0
	v_mul_u32_u24_e32 v13, 3, v1
	v_add_lshl_u32 v13, v13, v14, 2
	; wave barrier
	v_add_u32_e32 v93, 8, v13
	ds_read_b32 v92, v13 offset:8
	v_bfe_u32 v13, v0, 28, 1
	v_add_co_u32_e32 v94, vcc, -1, v13
	v_addc_co_u32_e64 v95, s[22:23], 0, -1, vcc
	v_cmp_ne_u32_e32 vcc, 0, v13
	v_xor_b32_e32 v13, vcc_hi, v95
	v_and_b32_e32 v95, exec_hi, v13
	v_lshlrev_b32_e32 v13, 30, v1
	v_xor_b32_e32 v94, vcc_lo, v94
	v_cmp_gt_i64_e32 vcc, 0, v[12:13]
	v_not_b32_e32 v13, v13
	v_ashrrev_i32_e32 v13, 31, v13
	v_and_b32_e32 v94, exec_lo, v94
	v_xor_b32_e32 v96, vcc_hi, v13
	v_xor_b32_e32 v13, vcc_lo, v13
	v_and_b32_e32 v94, v94, v13
	v_lshlrev_b32_e32 v13, 29, v1
	v_not_b32_e32 v1, v13
	v_cmp_gt_i64_e32 vcc, 0, v[12:13]
	v_ashrrev_i32_e32 v1, 31, v1
	v_and_b32_e32 v95, v95, v96
	v_xor_b32_e32 v13, vcc_hi, v1
	v_and_b32_e32 v95, v95, v13
	v_and_b32_e32 v13, 0xf0000000, v0
	v_not_b32_e32 v0, v13
	v_xor_b32_e32 v1, vcc_lo, v1
	v_cmp_gt_i64_e32 vcc, 0, v[12:13]
	v_ashrrev_i32_e32 v0, 31, v0
	v_and_b32_e32 v94, v94, v1
	v_xor_b32_e32 v1, vcc_hi, v0
	v_xor_b32_e32 v0, vcc_lo, v0
	v_and_b32_e32 v0, v94, v0
	v_and_b32_e32 v1, v95, v1
	v_mbcnt_lo_u32_b32 v13, v0, 0
	v_mbcnt_hi_u32_b32 v94, v1, v13
	v_cmp_eq_u32_e32 vcc, 0, v94
	v_cmp_ne_u64_e64 s[22:23], 0, v[0:1]
	s_and_b64 s[34:35], vcc, s[22:23]
	; wave barrier
	s_and_saveexec_b64 s[22:23], s[34:35]
	s_cbranch_execz .LBB59_56
; %bb.55:                               ;   in Loop: Header=BB59_4 Depth=2
	v_bcnt_u32_b32 v0, v0, 0
	v_bcnt_u32_b32 v0, v1, v0
	s_waitcnt lgkmcnt(0)
	v_add_u32_e32 v0, v92, v0
	ds_write_b32 v93, v0
.LBB59_56:                              ;   in Loop: Header=BB59_4 Depth=2
	s_or_b64 exec, exec, s[22:23]
	v_lshlrev_b32_sdwa v0, s31, v8 dst_sel:DWORD dst_unused:UNUSED_PAD src0_sel:DWORD src1_sel:BYTE_2
	v_lshrrev_b32_e32 v1, 28, v0
	v_mul_u32_u24_e32 v13, 3, v1
	v_add_lshl_u32 v13, v13, v14, 2
	; wave barrier
	v_add_u32_e32 v96, 8, v13
	ds_read_b32 v95, v13 offset:8
	v_bfe_u32 v13, v0, 28, 1
	v_add_co_u32_e32 v97, vcc, -1, v13
	v_addc_co_u32_e64 v98, s[22:23], 0, -1, vcc
	v_cmp_ne_u32_e32 vcc, 0, v13
	v_xor_b32_e32 v13, vcc_hi, v98
	v_and_b32_e32 v98, exec_hi, v13
	v_lshlrev_b32_e32 v13, 30, v1
	v_xor_b32_e32 v97, vcc_lo, v97
	v_cmp_gt_i64_e32 vcc, 0, v[12:13]
	v_not_b32_e32 v13, v13
	v_ashrrev_i32_e32 v13, 31, v13
	v_and_b32_e32 v97, exec_lo, v97
	v_xor_b32_e32 v99, vcc_hi, v13
	v_xor_b32_e32 v13, vcc_lo, v13
	v_and_b32_e32 v97, v97, v13
	v_lshlrev_b32_e32 v13, 29, v1
	v_not_b32_e32 v1, v13
	v_cmp_gt_i64_e32 vcc, 0, v[12:13]
	v_ashrrev_i32_e32 v1, 31, v1
	v_and_b32_e32 v98, v98, v99
	v_xor_b32_e32 v13, vcc_hi, v1
	v_and_b32_e32 v98, v98, v13
	v_and_b32_e32 v13, 0xf0000000, v0
	v_not_b32_e32 v0, v13
	v_xor_b32_e32 v1, vcc_lo, v1
	v_cmp_gt_i64_e32 vcc, 0, v[12:13]
	v_ashrrev_i32_e32 v0, 31, v0
	v_and_b32_e32 v97, v97, v1
	v_xor_b32_e32 v1, vcc_hi, v0
	v_xor_b32_e32 v0, vcc_lo, v0
	v_and_b32_e32 v0, v97, v0
	v_and_b32_e32 v1, v98, v1
	v_mbcnt_lo_u32_b32 v13, v0, 0
	v_mbcnt_hi_u32_b32 v97, v1, v13
	v_cmp_eq_u32_e32 vcc, 0, v97
	v_cmp_ne_u64_e64 s[22:23], 0, v[0:1]
	s_and_b64 s[34:35], vcc, s[22:23]
	; wave barrier
	s_and_saveexec_b64 s[22:23], s[34:35]
	s_cbranch_execz .LBB59_58
; %bb.57:                               ;   in Loop: Header=BB59_4 Depth=2
	v_bcnt_u32_b32 v0, v0, 0
	v_bcnt_u32_b32 v0, v1, v0
	s_waitcnt lgkmcnt(0)
	v_add_u32_e32 v0, v95, v0
	ds_write_b32 v96, v0
.LBB59_58:                              ;   in Loop: Header=BB59_4 Depth=2
	s_or_b64 exec, exec, s[22:23]
	v_lshlrev_b32_sdwa v0, s31, v8 dst_sel:DWORD dst_unused:UNUSED_PAD src0_sel:DWORD src1_sel:BYTE_3
	v_lshrrev_b32_e32 v1, 28, v0
	v_mul_u32_u24_e32 v13, 3, v1
	v_add_lshl_u32 v13, v13, v14, 2
	; wave barrier
	v_add_u32_e32 v99, 8, v13
	ds_read_b32 v98, v13 offset:8
	v_bfe_u32 v13, v0, 28, 1
	v_add_co_u32_e32 v100, vcc, -1, v13
	v_addc_co_u32_e64 v101, s[22:23], 0, -1, vcc
	v_cmp_ne_u32_e32 vcc, 0, v13
	v_xor_b32_e32 v13, vcc_hi, v101
	v_and_b32_e32 v101, exec_hi, v13
	v_lshlrev_b32_e32 v13, 30, v1
	v_xor_b32_e32 v100, vcc_lo, v100
	v_cmp_gt_i64_e32 vcc, 0, v[12:13]
	v_not_b32_e32 v13, v13
	v_ashrrev_i32_e32 v13, 31, v13
	v_and_b32_e32 v100, exec_lo, v100
	v_xor_b32_e32 v102, vcc_hi, v13
	v_xor_b32_e32 v13, vcc_lo, v13
	v_and_b32_e32 v100, v100, v13
	v_lshlrev_b32_e32 v13, 29, v1
	v_not_b32_e32 v1, v13
	v_cmp_gt_i64_e32 vcc, 0, v[12:13]
	v_ashrrev_i32_e32 v1, 31, v1
	v_and_b32_e32 v101, v101, v102
	v_xor_b32_e32 v13, vcc_hi, v1
	v_and_b32_e32 v101, v101, v13
	v_and_b32_e32 v13, 0xf0000000, v0
	v_not_b32_e32 v0, v13
	v_xor_b32_e32 v1, vcc_lo, v1
	v_cmp_gt_i64_e32 vcc, 0, v[12:13]
	v_ashrrev_i32_e32 v0, 31, v0
	v_and_b32_e32 v100, v100, v1
	v_xor_b32_e32 v1, vcc_hi, v0
	v_xor_b32_e32 v0, vcc_lo, v0
	v_and_b32_e32 v0, v100, v0
	v_and_b32_e32 v1, v101, v1
	v_mbcnt_lo_u32_b32 v13, v0, 0
	v_mbcnt_hi_u32_b32 v100, v1, v13
	v_cmp_eq_u32_e32 vcc, 0, v100
	v_cmp_ne_u64_e64 s[22:23], 0, v[0:1]
	s_and_b64 s[34:35], vcc, s[22:23]
	; wave barrier
	s_and_saveexec_b64 s[22:23], s[34:35]
	s_cbranch_execz .LBB59_60
; %bb.59:                               ;   in Loop: Header=BB59_4 Depth=2
	v_bcnt_u32_b32 v0, v0, 0
	v_bcnt_u32_b32 v0, v1, v0
	s_waitcnt lgkmcnt(0)
	v_add_u32_e32 v0, v98, v0
	ds_write_b32 v99, v0
.LBB59_60:                              ;   in Loop: Header=BB59_4 Depth=2
	s_or_b64 exec, exec, s[22:23]
	v_lshlrev_b32_sdwa v0, s31, v9 dst_sel:DWORD dst_unused:UNUSED_PAD src0_sel:DWORD src1_sel:BYTE_0
	v_lshrrev_b32_e32 v1, 28, v0
	v_mul_u32_u24_e32 v13, 3, v1
	v_add_lshl_u32 v13, v13, v14, 2
	; wave barrier
	v_add_u32_e32 v103, 8, v13
	ds_read_b32 v101, v13 offset:8
	v_bfe_u32 v13, v0, 28, 1
	v_add_co_u32_e32 v102, vcc, -1, v13
	v_addc_co_u32_e64 v104, s[22:23], 0, -1, vcc
	v_cmp_ne_u32_e32 vcc, 0, v13
	v_xor_b32_e32 v13, vcc_hi, v104
	v_and_b32_e32 v104, exec_hi, v13
	v_lshlrev_b32_e32 v13, 30, v1
	v_xor_b32_e32 v102, vcc_lo, v102
	v_cmp_gt_i64_e32 vcc, 0, v[12:13]
	v_not_b32_e32 v13, v13
	v_ashrrev_i32_e32 v13, 31, v13
	v_and_b32_e32 v102, exec_lo, v102
	v_xor_b32_e32 v105, vcc_hi, v13
	v_xor_b32_e32 v13, vcc_lo, v13
	v_and_b32_e32 v102, v102, v13
	v_lshlrev_b32_e32 v13, 29, v1
	v_not_b32_e32 v1, v13
	v_cmp_gt_i64_e32 vcc, 0, v[12:13]
	v_ashrrev_i32_e32 v1, 31, v1
	v_and_b32_e32 v104, v104, v105
	v_xor_b32_e32 v13, vcc_hi, v1
	v_and_b32_e32 v104, v104, v13
	v_and_b32_e32 v13, 0xf0000000, v0
	v_not_b32_e32 v0, v13
	v_xor_b32_e32 v1, vcc_lo, v1
	v_cmp_gt_i64_e32 vcc, 0, v[12:13]
	v_ashrrev_i32_e32 v0, 31, v0
	v_and_b32_e32 v102, v102, v1
	v_xor_b32_e32 v1, vcc_hi, v0
	v_xor_b32_e32 v0, vcc_lo, v0
	v_and_b32_e32 v0, v102, v0
	v_and_b32_e32 v1, v104, v1
	v_mbcnt_lo_u32_b32 v13, v0, 0
	v_mbcnt_hi_u32_b32 v102, v1, v13
	v_cmp_eq_u32_e32 vcc, 0, v102
	v_cmp_ne_u64_e64 s[22:23], 0, v[0:1]
	s_and_b64 s[34:35], vcc, s[22:23]
	; wave barrier
	s_and_saveexec_b64 s[22:23], s[34:35]
	s_cbranch_execz .LBB59_62
; %bb.61:                               ;   in Loop: Header=BB59_4 Depth=2
	v_bcnt_u32_b32 v0, v0, 0
	v_bcnt_u32_b32 v0, v1, v0
	s_waitcnt lgkmcnt(0)
	v_add_u32_e32 v0, v101, v0
	ds_write_b32 v103, v0
.LBB59_62:                              ;   in Loop: Header=BB59_4 Depth=2
	s_or_b64 exec, exec, s[22:23]
	v_lshlrev_b32_sdwa v0, s31, v9 dst_sel:DWORD dst_unused:UNUSED_PAD src0_sel:DWORD src1_sel:BYTE_1
	v_lshrrev_b32_e32 v1, 28, v0
	v_mul_u32_u24_e32 v13, 3, v1
	v_add_lshl_u32 v13, v13, v14, 2
	; wave barrier
	v_add_u32_e32 v106, 8, v13
	ds_read_b32 v104, v13 offset:8
	v_bfe_u32 v13, v0, 28, 1
	v_add_co_u32_e32 v105, vcc, -1, v13
	v_addc_co_u32_e64 v107, s[22:23], 0, -1, vcc
	v_cmp_ne_u32_e32 vcc, 0, v13
	v_xor_b32_e32 v13, vcc_hi, v107
	v_and_b32_e32 v107, exec_hi, v13
	v_lshlrev_b32_e32 v13, 30, v1
	v_xor_b32_e32 v105, vcc_lo, v105
	v_cmp_gt_i64_e32 vcc, 0, v[12:13]
	v_not_b32_e32 v13, v13
	v_ashrrev_i32_e32 v13, 31, v13
	v_and_b32_e32 v105, exec_lo, v105
	v_xor_b32_e32 v108, vcc_hi, v13
	v_xor_b32_e32 v13, vcc_lo, v13
	v_and_b32_e32 v105, v105, v13
	v_lshlrev_b32_e32 v13, 29, v1
	v_not_b32_e32 v1, v13
	v_cmp_gt_i64_e32 vcc, 0, v[12:13]
	v_ashrrev_i32_e32 v1, 31, v1
	v_and_b32_e32 v107, v107, v108
	v_xor_b32_e32 v13, vcc_hi, v1
	v_and_b32_e32 v107, v107, v13
	v_and_b32_e32 v13, 0xf0000000, v0
	v_not_b32_e32 v0, v13
	v_xor_b32_e32 v1, vcc_lo, v1
	v_cmp_gt_i64_e32 vcc, 0, v[12:13]
	v_ashrrev_i32_e32 v0, 31, v0
	v_and_b32_e32 v105, v105, v1
	v_xor_b32_e32 v1, vcc_hi, v0
	v_xor_b32_e32 v0, vcc_lo, v0
	v_and_b32_e32 v0, v105, v0
	v_and_b32_e32 v1, v107, v1
	v_mbcnt_lo_u32_b32 v13, v0, 0
	v_mbcnt_hi_u32_b32 v105, v1, v13
	v_cmp_eq_u32_e32 vcc, 0, v105
	v_cmp_ne_u64_e64 s[22:23], 0, v[0:1]
	s_and_b64 s[34:35], vcc, s[22:23]
	; wave barrier
	s_and_saveexec_b64 s[22:23], s[34:35]
	s_cbranch_execz .LBB59_64
; %bb.63:                               ;   in Loop: Header=BB59_4 Depth=2
	v_bcnt_u32_b32 v0, v0, 0
	v_bcnt_u32_b32 v0, v1, v0
	s_waitcnt lgkmcnt(0)
	v_add_u32_e32 v0, v104, v0
	ds_write_b32 v106, v0
.LBB59_64:                              ;   in Loop: Header=BB59_4 Depth=2
	s_or_b64 exec, exec, s[22:23]
	v_lshlrev_b32_sdwa v0, s31, v9 dst_sel:DWORD dst_unused:UNUSED_PAD src0_sel:DWORD src1_sel:BYTE_2
	v_lshrrev_b32_e32 v1, 28, v0
	v_mul_u32_u24_e32 v13, 3, v1
	v_add_lshl_u32 v13, v13, v14, 2
	; wave barrier
	v_add_u32_e32 v109, 8, v13
	ds_read_b32 v107, v13 offset:8
	v_bfe_u32 v13, v0, 28, 1
	v_add_co_u32_e32 v108, vcc, -1, v13
	v_addc_co_u32_e64 v110, s[22:23], 0, -1, vcc
	v_cmp_ne_u32_e32 vcc, 0, v13
	v_xor_b32_e32 v13, vcc_hi, v110
	v_and_b32_e32 v110, exec_hi, v13
	v_lshlrev_b32_e32 v13, 30, v1
	v_xor_b32_e32 v108, vcc_lo, v108
	v_cmp_gt_i64_e32 vcc, 0, v[12:13]
	v_not_b32_e32 v13, v13
	v_ashrrev_i32_e32 v13, 31, v13
	v_and_b32_e32 v108, exec_lo, v108
	v_xor_b32_e32 v111, vcc_hi, v13
	v_xor_b32_e32 v13, vcc_lo, v13
	v_and_b32_e32 v108, v108, v13
	v_lshlrev_b32_e32 v13, 29, v1
	v_not_b32_e32 v1, v13
	v_cmp_gt_i64_e32 vcc, 0, v[12:13]
	v_ashrrev_i32_e32 v1, 31, v1
	v_and_b32_e32 v110, v110, v111
	v_xor_b32_e32 v13, vcc_hi, v1
	v_and_b32_e32 v110, v110, v13
	v_and_b32_e32 v13, 0xf0000000, v0
	v_not_b32_e32 v0, v13
	v_xor_b32_e32 v1, vcc_lo, v1
	v_cmp_gt_i64_e32 vcc, 0, v[12:13]
	v_ashrrev_i32_e32 v0, 31, v0
	v_and_b32_e32 v108, v108, v1
	v_xor_b32_e32 v1, vcc_hi, v0
	v_xor_b32_e32 v0, vcc_lo, v0
	v_and_b32_e32 v0, v108, v0
	v_and_b32_e32 v1, v110, v1
	v_mbcnt_lo_u32_b32 v13, v0, 0
	v_mbcnt_hi_u32_b32 v108, v1, v13
	v_cmp_eq_u32_e32 vcc, 0, v108
	v_cmp_ne_u64_e64 s[22:23], 0, v[0:1]
	s_and_b64 s[34:35], vcc, s[22:23]
	; wave barrier
	s_and_saveexec_b64 s[22:23], s[34:35]
	s_cbranch_execz .LBB59_66
; %bb.65:                               ;   in Loop: Header=BB59_4 Depth=2
	v_bcnt_u32_b32 v0, v0, 0
	v_bcnt_u32_b32 v0, v1, v0
	s_waitcnt lgkmcnt(0)
	v_add_u32_e32 v0, v107, v0
	ds_write_b32 v109, v0
.LBB59_66:                              ;   in Loop: Header=BB59_4 Depth=2
	s_or_b64 exec, exec, s[22:23]
	v_lshlrev_b32_sdwa v0, s31, v9 dst_sel:DWORD dst_unused:UNUSED_PAD src0_sel:DWORD src1_sel:BYTE_3
	v_lshrrev_b32_e32 v1, 28, v0
	v_mul_u32_u24_e32 v13, 3, v1
	v_add_lshl_u32 v13, v13, v14, 2
	; wave barrier
	v_add_u32_e32 v111, 8, v13
	ds_read_b32 v110, v13 offset:8
	v_bfe_u32 v13, v0, 28, 1
	v_add_co_u32_e32 v112, vcc, -1, v13
	v_addc_co_u32_e64 v113, s[22:23], 0, -1, vcc
	v_cmp_ne_u32_e32 vcc, 0, v13
	v_xor_b32_e32 v13, vcc_hi, v113
	v_and_b32_e32 v113, exec_hi, v13
	v_lshlrev_b32_e32 v13, 30, v1
	v_xor_b32_e32 v112, vcc_lo, v112
	v_cmp_gt_i64_e32 vcc, 0, v[12:13]
	v_not_b32_e32 v13, v13
	v_ashrrev_i32_e32 v13, 31, v13
	v_and_b32_e32 v112, exec_lo, v112
	v_xor_b32_e32 v114, vcc_hi, v13
	v_xor_b32_e32 v13, vcc_lo, v13
	v_and_b32_e32 v112, v112, v13
	v_lshlrev_b32_e32 v13, 29, v1
	v_not_b32_e32 v1, v13
	v_cmp_gt_i64_e32 vcc, 0, v[12:13]
	v_ashrrev_i32_e32 v1, 31, v1
	v_and_b32_e32 v113, v113, v114
	v_xor_b32_e32 v13, vcc_hi, v1
	v_and_b32_e32 v113, v113, v13
	v_and_b32_e32 v13, 0xf0000000, v0
	v_not_b32_e32 v0, v13
	v_xor_b32_e32 v1, vcc_lo, v1
	v_cmp_gt_i64_e32 vcc, 0, v[12:13]
	v_ashrrev_i32_e32 v0, 31, v0
	v_and_b32_e32 v112, v112, v1
	v_xor_b32_e32 v1, vcc_hi, v0
	v_xor_b32_e32 v0, vcc_lo, v0
	v_and_b32_e32 v0, v112, v0
	v_and_b32_e32 v1, v113, v1
	v_mbcnt_lo_u32_b32 v13, v0, 0
	v_mbcnt_hi_u32_b32 v13, v1, v13
	v_cmp_eq_u32_e32 vcc, 0, v13
	v_cmp_ne_u64_e64 s[22:23], 0, v[0:1]
	s_and_b64 s[34:35], vcc, s[22:23]
	; wave barrier
	s_and_saveexec_b64 s[22:23], s[34:35]
	s_cbranch_execz .LBB59_68
; %bb.67:                               ;   in Loop: Header=BB59_4 Depth=2
	v_bcnt_u32_b32 v0, v0, 0
	v_bcnt_u32_b32 v0, v1, v0
	s_waitcnt lgkmcnt(0)
	v_add_u32_e32 v0, v110, v0
	ds_write_b32 v111, v0
.LBB59_68:                              ;   in Loop: Header=BB59_4 Depth=2
	s_or_b64 exec, exec, s[22:23]
	; wave barrier
	s_waitcnt lgkmcnt(0)
	s_barrier
	ds_read_b32 v0, v15 offset:8
	s_waitcnt lgkmcnt(0)
	s_nop 0
	v_mov_b32_dpp v1, v0 row_shr:1 row_mask:0xf bank_mask:0xf
	v_cndmask_b32_e64 v1, v1, 0, s[0:1]
	v_add_u32_e32 v0, v1, v0
	s_nop 1
	v_mov_b32_dpp v1, v0 row_shr:2 row_mask:0xf bank_mask:0xf
	v_cndmask_b32_e64 v1, 0, v1, s[2:3]
	v_add_u32_e32 v0, v0, v1
	;; [unrolled: 4-line block ×4, first 2 shown]
	s_nop 1
	v_mov_b32_dpp v1, v0 row_bcast:15 row_mask:0xf bank_mask:0xf
	v_cndmask_b32_e64 v1, v1, 0, s[8:9]
	v_add_u32_e32 v0, v0, v1
	s_nop 1
	v_mov_b32_dpp v1, v0 row_bcast:31 row_mask:0xf bank_mask:0xf
	v_cndmask_b32_e64 v1, 0, v1, s[10:11]
	v_add_u32_e32 v0, v0, v1
	s_and_saveexec_b64 s[22:23], s[12:13]
	s_xor_b64 s[22:23], exec, s[22:23]
	s_cbranch_execz .LBB59_70
; %bb.69:                               ;   in Loop: Header=BB59_4 Depth=2
	ds_write_b32 v18, v0
.LBB59_70:                              ;   in Loop: Header=BB59_4 Depth=2
	s_or_b64 exec, exec, s[22:23]
	s_waitcnt lgkmcnt(0)
	s_barrier
	s_and_saveexec_b64 s[22:23], s[14:15]
	s_cbranch_execz .LBB59_72
; %bb.71:                               ;   in Loop: Header=BB59_4 Depth=2
	ds_read_b32 v1, v15
	s_waitcnt lgkmcnt(0)
	s_nop 0
	v_mov_b32_dpp v112, v1 row_shr:1 row_mask:0xf bank_mask:0xf
	v_cndmask_b32_e64 v112, v112, 0, s[20:21]
	v_add_u32_e32 v1, v112, v1
	ds_write_b32 v15, v1
.LBB59_72:                              ;   in Loop: Header=BB59_4 Depth=2
	s_or_b64 exec, exec, s[22:23]
	v_mov_b32_e32 v1, 0
	s_waitcnt lgkmcnt(0)
	s_barrier
	s_and_saveexec_b64 s[22:23], s[16:17]
	s_cbranch_execz .LBB59_3
; %bb.73:                               ;   in Loop: Header=BB59_4 Depth=2
	ds_read_b32 v1, v19
	s_branch .LBB59_3
.LBB59_74:
	ds_read_b32 v0, v21
	ds_read_b32 v4, v37
	;; [unrolled: 1-line block ×8, first 2 shown]
	s_lshl_b64 s[0:1], s[28:29], 2
	s_add_u32 s0, s26, s0
	s_waitcnt lgkmcnt(7)
	v_add3_u32 v1, v22, v20, v0
	s_waitcnt lgkmcnt(3)
	v_add3_u32 v3, v28, v26, v2
	;; [unrolled: 2-line block ×3, first 2 shown]
	s_waitcnt lgkmcnt(1)
	v_add_u32_e32 v0, v8, v16
	v_lshlrev_b32_e32 v7, 2, v10
	s_addc_u32 s1, s27, s1
	global_store_dwordx4 v7, v[0:3], s[0:1]
	s_nop 0
	v_add3_u32 v1, v35, v32, v5
	v_add3_u32 v0, v31, v29, v6
	ds_read_b32 v5, v63
	ds_read_b32 v6, v60
	;; [unrolled: 1-line block ×8, first 2 shown]
	s_waitcnt lgkmcnt(8)
	v_add3_u32 v3, v39, v38, v9
	v_add3_u32 v2, v36, v34, v4
	global_store_dwordx4 v7, v[0:3], s[0:1] offset:16
	s_waitcnt lgkmcnt(1)
	v_add3_u32 v1, v46, v44, v14
	s_waitcnt lgkmcnt(0)
	v_add3_u32 v0, v43, v41, v15
	v_add3_u32 v3, v52, v50, v11
	;; [unrolled: 1-line block ×3, first 2 shown]
	global_store_dwordx4 v7, v[0:3], s[0:1] offset:32
	s_nop 0
	v_add3_u32 v1, v58, v56, v8
	v_add3_u32 v0, v55, v53, v10
	ds_read_b32 v4, v111
	ds_read_b32 v8, v109
	;; [unrolled: 1-line block ×16, first 2 shown]
	v_add3_u32 v3, v64, v62, v5
	v_add3_u32 v2, v61, v59, v6
	global_store_dwordx4 v7, v[0:3], s[0:1] offset:48
	s_waitcnt lgkmcnt(1)
	v_add3_u32 v1, v70, v68, v22
	s_waitcnt lgkmcnt(0)
	v_add3_u32 v0, v67, v65, v23
	v_add3_u32 v3, v76, v74, v20
	v_add3_u32 v2, v73, v71, v21
	global_store_dwordx4 v7, v[0:3], s[0:1] offset:64
	s_nop 0
	v_add3_u32 v1, v82, v80, v18
	v_add3_u32 v0, v79, v77, v19
	v_add3_u32 v3, v88, v86, v16
	v_add3_u32 v2, v85, v83, v17
	global_store_dwordx4 v7, v[0:3], s[0:1] offset:80
	s_nop 0
	v_add3_u32 v1, v94, v92, v14
	;; [unrolled: 6-line block ×3, first 2 shown]
	v_add3_u32 v0, v102, v101, v10
	v_add3_u32 v3, v13, v110, v4
	;; [unrolled: 1-line block ×3, first 2 shown]
	global_store_dwordx4 v7, v[0:3], s[0:1] offset:112
	s_endpgm
	.section	.rodata,"a",@progbits
	.p2align	6, 0x0
	.amdhsa_kernel _Z11rank_kernelIhLj4ELb0EL18RadixRankAlgorithm2ELj128ELj32ELj10EEvPKT_Pi
		.amdhsa_group_segment_fixed_size 520
		.amdhsa_private_segment_fixed_size 0
		.amdhsa_kernarg_size 272
		.amdhsa_user_sgpr_count 6
		.amdhsa_user_sgpr_private_segment_buffer 1
		.amdhsa_user_sgpr_dispatch_ptr 0
		.amdhsa_user_sgpr_queue_ptr 0
		.amdhsa_user_sgpr_kernarg_segment_ptr 1
		.amdhsa_user_sgpr_dispatch_id 0
		.amdhsa_user_sgpr_flat_scratch_init 0
		.amdhsa_user_sgpr_kernarg_preload_length 0
		.amdhsa_user_sgpr_kernarg_preload_offset 0
		.amdhsa_user_sgpr_private_segment_size 0
		.amdhsa_uses_dynamic_stack 0
		.amdhsa_system_sgpr_private_segment_wavefront_offset 0
		.amdhsa_system_sgpr_workgroup_id_x 1
		.amdhsa_system_sgpr_workgroup_id_y 0
		.amdhsa_system_sgpr_workgroup_id_z 0
		.amdhsa_system_sgpr_workgroup_info 0
		.amdhsa_system_vgpr_workitem_id 2
		.amdhsa_next_free_vgpr 115
		.amdhsa_next_free_sgpr 36
		.amdhsa_accum_offset 116
		.amdhsa_reserve_vcc 1
		.amdhsa_reserve_flat_scratch 0
		.amdhsa_float_round_mode_32 0
		.amdhsa_float_round_mode_16_64 0
		.amdhsa_float_denorm_mode_32 3
		.amdhsa_float_denorm_mode_16_64 3
		.amdhsa_dx10_clamp 1
		.amdhsa_ieee_mode 1
		.amdhsa_fp16_overflow 0
		.amdhsa_tg_split 0
		.amdhsa_exception_fp_ieee_invalid_op 0
		.amdhsa_exception_fp_denorm_src 0
		.amdhsa_exception_fp_ieee_div_zero 0
		.amdhsa_exception_fp_ieee_overflow 0
		.amdhsa_exception_fp_ieee_underflow 0
		.amdhsa_exception_fp_ieee_inexact 0
		.amdhsa_exception_int_div_zero 0
	.end_amdhsa_kernel
	.section	.text._Z11rank_kernelIhLj4ELb0EL18RadixRankAlgorithm2ELj128ELj32ELj10EEvPKT_Pi,"axG",@progbits,_Z11rank_kernelIhLj4ELb0EL18RadixRankAlgorithm2ELj128ELj32ELj10EEvPKT_Pi,comdat
.Lfunc_end59:
	.size	_Z11rank_kernelIhLj4ELb0EL18RadixRankAlgorithm2ELj128ELj32ELj10EEvPKT_Pi, .Lfunc_end59-_Z11rank_kernelIhLj4ELb0EL18RadixRankAlgorithm2ELj128ELj32ELj10EEvPKT_Pi
                                        ; -- End function
	.section	.AMDGPU.csdata,"",@progbits
; Kernel info:
; codeLenInByte = 9380
; NumSgprs: 40
; NumVgprs: 115
; NumAgprs: 0
; TotalNumVgprs: 115
; ScratchSize: 0
; MemoryBound: 0
; FloatMode: 240
; IeeeMode: 1
; LDSByteSize: 520 bytes/workgroup (compile time only)
; SGPRBlocks: 4
; VGPRBlocks: 14
; NumSGPRsForWavesPerEU: 40
; NumVGPRsForWavesPerEU: 115
; AccumOffset: 116
; Occupancy: 4
; WaveLimiterHint : 0
; COMPUTE_PGM_RSRC2:SCRATCH_EN: 0
; COMPUTE_PGM_RSRC2:USER_SGPR: 6
; COMPUTE_PGM_RSRC2:TRAP_HANDLER: 0
; COMPUTE_PGM_RSRC2:TGID_X_EN: 1
; COMPUTE_PGM_RSRC2:TGID_Y_EN: 0
; COMPUTE_PGM_RSRC2:TGID_Z_EN: 0
; COMPUTE_PGM_RSRC2:TIDIG_COMP_CNT: 2
; COMPUTE_PGM_RSRC3_GFX90A:ACCUM_OFFSET: 28
; COMPUTE_PGM_RSRC3_GFX90A:TG_SPLIT: 0
	.section	.text._Z11rank_kernelIhLj4ELb0EL18RadixRankAlgorithm0ELj256ELj1ELj10EEvPKT_Pi,"axG",@progbits,_Z11rank_kernelIhLj4ELb0EL18RadixRankAlgorithm0ELj256ELj1ELj10EEvPKT_Pi,comdat
	.protected	_Z11rank_kernelIhLj4ELb0EL18RadixRankAlgorithm0ELj256ELj1ELj10EEvPKT_Pi ; -- Begin function _Z11rank_kernelIhLj4ELb0EL18RadixRankAlgorithm0ELj256ELj1ELj10EEvPKT_Pi
	.globl	_Z11rank_kernelIhLj4ELb0EL18RadixRankAlgorithm0ELj256ELj1ELj10EEvPKT_Pi
	.p2align	8
	.type	_Z11rank_kernelIhLj4ELb0EL18RadixRankAlgorithm0ELj256ELj1ELj10EEvPKT_Pi,@function
_Z11rank_kernelIhLj4ELb0EL18RadixRankAlgorithm0ELj256ELj1ELj10EEvPKT_Pi: ; @_Z11rank_kernelIhLj4ELb0EL18RadixRankAlgorithm0ELj256ELj1ELj10EEvPKT_Pi
; %bb.0:
	s_load_dwordx4 s[20:23], s[4:5], 0x0
	s_lshl_b32 s24, s6, 8
	v_mbcnt_lo_u32_b32 v1, -1, 0
	v_mbcnt_hi_u32_b32 v3, -1, v1
	v_add_u32_e32 v11, -1, v3
	s_waitcnt lgkmcnt(0)
	s_add_u32 s0, s20, s24
	s_addc_u32 s1, s21, 0
	global_load_ubyte v2, v0, s[0:1]
	v_and_b32_e32 v12, 64, v3
	v_or_b32_e32 v7, 63, v0
	v_lshrrev_b32_e32 v8, 4, v0
	v_cmp_lt_i32_e64 s[18:19], v11, v12
	v_and_b32_e32 v9, 15, v3
	v_and_b32_e32 v10, 16, v3
	v_cmp_lt_u32_e64 s[2:3], 31, v3
	v_cmp_eq_u32_e64 s[4:5], v7, v0
	v_cmp_eq_u32_e64 s[6:7], 0, v3
	v_and_b32_e32 v7, 12, v8
	v_and_b32_e32 v8, 3, v3
	v_cndmask_b32_e64 v3, v11, v3, s[18:19]
	s_movk_i32 s26, 0x700
	v_cmp_eq_u32_e64 s[8:9], 0, v9
	v_cmp_lt_u32_e64 s[10:11], 1, v9
	v_cmp_lt_u32_e64 s[12:13], 3, v9
	;; [unrolled: 1-line block ×3, first 2 shown]
	v_cmp_eq_u32_e64 s[16:17], 0, v10
	v_cmp_eq_u32_e64 s[18:19], 0, v8
	v_cmp_lt_u32_e64 s[20:21], 1, v8
	v_lshlrev_b32_e32 v8, 2, v3
	s_mov_b32 s25, 0
	v_mov_b32_e32 v4, 0
	v_lshlrev_b32_e32 v5, 5, v0
	v_cmp_gt_u32_e32 vcc, 4, v0
	v_cmp_lt_u32_e64 s[0:1], 63, v0
	v_lshlrev_b32_e32 v6, 2, v0
	v_or_b32_e32 v1, 0x100, v0
	s_mov_b32 s33, s25
	s_waitcnt vmcnt(0)
	v_lshlrev_b32_e32 v3, 4, v2
	v_lshrrev_b32_e32 v9, 6, v2
	v_lshlrev_b32_e32 v10, 8, v2
	v_lshrrev_b32_e32 v2, 2, v2
	v_and_or_b32 v3, v3, s26, v0
	v_and_b32_e32 v9, 2, v9
	v_and_or_b32 v10, v10, s26, v0
	v_and_b32_e32 v2, 2, v2
	v_lshl_or_b32 v9, v3, 2, v9
	v_lshl_or_b32 v10, v10, 2, v2
	s_branch .LBB60_2
.LBB60_1:                               ;   in Loop: Header=BB60_2 Depth=1
	s_or_b64 exec, exec, s[26:27]
	s_waitcnt lgkmcnt(0)
	v_add_u32_e32 v3, v11, v3
	ds_bpermute_b32 v3, v8, v3
	ds_read_b32 v14, v4 offset:8204
	ds_read2_b32 v[12:13], v5 offset1:1
	s_add_i32 s33, s33, 1
	s_cmp_eq_u32 s33, 10
	s_waitcnt lgkmcnt(2)
	v_cndmask_b32_e64 v3, v3, v11, s[6:7]
	s_waitcnt lgkmcnt(1)
	v_lshl_add_u32 v3, v14, 16, v3
	ds_read2_b32 v[14:15], v5 offset0:2 offset1:3
	ds_read2_b32 v[16:17], v5 offset0:4 offset1:5
	ds_read_b32 v11, v5 offset:24
	s_waitcnt lgkmcnt(3)
	v_add_u32_e32 v12, v3, v12
	ds_write2_b32 v5, v3, v12 offset1:1
	v_add_u32_e32 v3, v13, v12
	s_waitcnt lgkmcnt(3)
	v_add_u32_e32 v12, v14, v3
	ds_write2_b32 v5, v3, v12 offset0:2 offset1:3
	v_add_u32_e32 v3, v15, v12
	s_waitcnt lgkmcnt(3)
	v_add_u32_e32 v12, v16, v3
	ds_write2_b32 v5, v3, v12 offset0:4 offset1:5
	;; [unrolled: 4-line block ×3, first 2 shown]
	s_waitcnt lgkmcnt(0)
	s_barrier
	s_cbranch_scc1 .LBB60_26
.LBB60_2:                               ; =>This Loop Header: Depth=1
                                        ;     Child Loop BB60_4 Depth 2
                                        ;     Child Loop BB60_16 Depth 2
	s_mov_b64 s[26:27], 0
	s_mov_b32 s34, 0
	v_pk_mov_b32 v[2:3], v[0:1], v[0:1] op_sel:[0,1]
	s_branch .LBB60_4
.LBB60_3:                               ;   in Loop: Header=BB60_4 Depth=2
	s_or_b64 exec, exec, s[30:31]
	s_add_i32 s34, s34, 2
	v_cmp_eq_u32_e64 s[28:29], 8, s34
	v_add_u32_e32 v3, 0x200, v3
	s_or_b64 s[26:27], s[28:29], s[26:27]
	v_add_u32_e32 v2, 0x200, v2
	s_andn2_b64 exec, exec, s[26:27]
	s_cbranch_execz .LBB60_8
.LBB60_4:                               ;   Parent Loop BB60_2 Depth=1
                                        ; =>  This Inner Loop Header: Depth=2
	s_or_b32 s28, s34, 1
	v_cmp_le_u32_e64 s[28:29], s28, 7
	v_cmp_le_u32_e64 s[36:37], s34, 7
	s_and_saveexec_b64 s[30:31], s[36:37]
	s_cbranch_execz .LBB60_6
; %bb.5:                                ;   in Loop: Header=BB60_4 Depth=2
	v_lshlrev_b32_e32 v11, 2, v2
	ds_write_b32 v11, v4
.LBB60_6:                               ;   in Loop: Header=BB60_4 Depth=2
	s_or_b64 exec, exec, s[30:31]
	s_and_saveexec_b64 s[30:31], s[28:29]
	s_cbranch_execz .LBB60_3
; %bb.7:                                ;   in Loop: Header=BB60_4 Depth=2
	v_lshlrev_b32_e32 v11, 2, v3
	ds_write_b32 v11, v4
	s_branch .LBB60_3
.LBB60_8:                               ;   in Loop: Header=BB60_2 Depth=1
	s_or_b64 exec, exec, s[26:27]
	ds_read_u16 v2, v10
	s_waitcnt lgkmcnt(0)
	v_add_u16_e32 v2, 1, v2
	ds_write_b16 v10, v2
	s_waitcnt lgkmcnt(0)
	s_barrier
	ds_read2_b32 v[2:3], v5 offset1:1
	ds_read2_b32 v[12:13], v5 offset0:2 offset1:3
	ds_read2_b32 v[14:15], v5 offset0:4 offset1:5
	;; [unrolled: 1-line block ×3, first 2 shown]
	s_waitcnt lgkmcnt(3)
	v_add_u32_e32 v2, v3, v2
	s_waitcnt lgkmcnt(2)
	v_add3_u32 v2, v2, v12, v13
	s_waitcnt lgkmcnt(1)
	v_add3_u32 v2, v2, v14, v15
	s_waitcnt lgkmcnt(0)
	v_add3_u32 v2, v2, v16, v17
	s_nop 1
	v_mov_b32_dpp v3, v2 row_shr:1 row_mask:0xf bank_mask:0xf
	v_cndmask_b32_e64 v3, v3, 0, s[8:9]
	v_add_u32_e32 v2, v3, v2
	s_nop 1
	v_mov_b32_dpp v3, v2 row_shr:2 row_mask:0xf bank_mask:0xf
	v_cndmask_b32_e64 v3, 0, v3, s[10:11]
	v_add_u32_e32 v2, v2, v3
	;; [unrolled: 4-line block ×4, first 2 shown]
	s_nop 1
	v_mov_b32_dpp v3, v2 row_bcast:15 row_mask:0xf bank_mask:0xf
	v_cndmask_b32_e64 v3, v3, 0, s[16:17]
	v_add_u32_e32 v2, v2, v3
	s_nop 1
	v_mov_b32_dpp v3, v2 row_bcast:31 row_mask:0xf bank_mask:0xf
	v_cndmask_b32_e64 v3, 0, v3, s[2:3]
	v_add_u32_e32 v2, v2, v3
	s_and_saveexec_b64 s[26:27], s[4:5]
	s_cbranch_execz .LBB60_10
; %bb.9:                                ;   in Loop: Header=BB60_2 Depth=1
	ds_write_b32 v7, v2 offset:8192
.LBB60_10:                              ;   in Loop: Header=BB60_2 Depth=1
	s_or_b64 exec, exec, s[26:27]
	s_waitcnt lgkmcnt(0)
	s_barrier
	s_and_saveexec_b64 s[26:27], vcc
	s_cbranch_execz .LBB60_12
; %bb.11:                               ;   in Loop: Header=BB60_2 Depth=1
	ds_read_b32 v3, v6 offset:8192
	s_waitcnt lgkmcnt(0)
	s_nop 0
	v_mov_b32_dpp v11, v3 row_shr:1 row_mask:0xf bank_mask:0xf
	v_cndmask_b32_e64 v11, v11, 0, s[18:19]
	v_add_u32_e32 v3, v11, v3
	s_nop 1
	v_mov_b32_dpp v11, v3 row_shr:2 row_mask:0xf bank_mask:0xf
	v_cndmask_b32_e64 v11, 0, v11, s[20:21]
	v_add_u32_e32 v3, v3, v11
	ds_write_b32 v6, v3 offset:8192
.LBB60_12:                              ;   in Loop: Header=BB60_2 Depth=1
	s_or_b64 exec, exec, s[26:27]
	v_mov_b32_e32 v3, 0
	s_waitcnt lgkmcnt(0)
	s_barrier
	s_and_saveexec_b64 s[26:27], s[0:1]
	s_cbranch_execz .LBB60_14
; %bb.13:                               ;   in Loop: Header=BB60_2 Depth=1
	ds_read_b32 v3, v7 offset:8188
.LBB60_14:                              ;   in Loop: Header=BB60_2 Depth=1
	s_or_b64 exec, exec, s[26:27]
	s_waitcnt lgkmcnt(0)
	v_add_u32_e32 v2, v3, v2
	ds_bpermute_b32 v2, v8, v2
	ds_read_b32 v11, v4 offset:8204
	s_mov_b32 s34, 0
	s_mov_b64 s[26:27], 0
	s_waitcnt lgkmcnt(1)
	v_cndmask_b32_e64 v12, v2, v3, s[6:7]
	ds_read2_b32 v[2:3], v5 offset1:1
	s_waitcnt lgkmcnt(1)
	v_lshl_add_u32 v11, v11, 16, v12
	ds_read2_b32 v[12:13], v5 offset0:2 offset1:3
	ds_read2_b32 v[14:15], v5 offset0:4 offset1:5
	ds_read_b32 v16, v5 offset:24
	s_waitcnt lgkmcnt(3)
	v_add_u32_e32 v2, v11, v2
	ds_write2_b32 v5, v11, v2 offset1:1
	v_add_u32_e32 v2, v3, v2
	s_waitcnt lgkmcnt(3)
	v_add_u32_e32 v3, v12, v2
	ds_write2_b32 v5, v2, v3 offset0:2 offset1:3
	v_add_u32_e32 v2, v13, v3
	s_waitcnt lgkmcnt(3)
	v_add_u32_e32 v3, v14, v2
	ds_write2_b32 v5, v2, v3 offset0:4 offset1:5
	;; [unrolled: 4-line block ×3, first 2 shown]
	v_pk_mov_b32 v[2:3], v[0:1], v[0:1] op_sel:[0,1]
	s_waitcnt lgkmcnt(0)
	s_barrier
	s_branch .LBB60_16
.LBB60_15:                              ;   in Loop: Header=BB60_16 Depth=2
	s_or_b64 exec, exec, s[30:31]
	s_add_i32 s34, s34, 2
	v_cmp_eq_u32_e64 s[28:29], 8, s34
	v_add_u32_e32 v3, 0x200, v3
	s_or_b64 s[26:27], s[28:29], s[26:27]
	v_add_u32_e32 v2, 0x200, v2
	s_andn2_b64 exec, exec, s[26:27]
	s_cbranch_execz .LBB60_20
.LBB60_16:                              ;   Parent Loop BB60_2 Depth=1
                                        ; =>  This Inner Loop Header: Depth=2
	s_or_b32 s28, s34, 1
	v_cmp_le_u32_e64 s[28:29], s28, 7
	v_cmp_le_u32_e64 s[36:37], s34, 7
	s_and_saveexec_b64 s[30:31], s[36:37]
	s_cbranch_execz .LBB60_18
; %bb.17:                               ;   in Loop: Header=BB60_16 Depth=2
	v_lshlrev_b32_e32 v11, 2, v2
	ds_write_b32 v11, v4
.LBB60_18:                              ;   in Loop: Header=BB60_16 Depth=2
	s_or_b64 exec, exec, s[30:31]
	s_and_saveexec_b64 s[30:31], s[28:29]
	s_cbranch_execz .LBB60_15
; %bb.19:                               ;   in Loop: Header=BB60_16 Depth=2
	v_lshlrev_b32_e32 v11, 2, v3
	ds_write_b32 v11, v4
	s_branch .LBB60_15
.LBB60_20:                              ;   in Loop: Header=BB60_2 Depth=1
	s_or_b64 exec, exec, s[26:27]
	ds_read_u16 v2, v9
	s_waitcnt lgkmcnt(0)
	v_add_u16_e32 v3, 1, v2
	ds_write_b16 v9, v3
	s_waitcnt lgkmcnt(0)
	s_barrier
	ds_read2_b32 v[12:13], v5 offset1:1
	ds_read2_b32 v[14:15], v5 offset0:2 offset1:3
	ds_read2_b32 v[16:17], v5 offset0:4 offset1:5
	;; [unrolled: 1-line block ×3, first 2 shown]
	s_waitcnt lgkmcnt(3)
	v_add_u32_e32 v3, v13, v12
	s_waitcnt lgkmcnt(2)
	v_add3_u32 v3, v3, v14, v15
	s_waitcnt lgkmcnt(1)
	v_add3_u32 v3, v3, v16, v17
	;; [unrolled: 2-line block ×3, first 2 shown]
	s_nop 1
	v_mov_b32_dpp v11, v3 row_shr:1 row_mask:0xf bank_mask:0xf
	v_cndmask_b32_e64 v11, v11, 0, s[8:9]
	v_add_u32_e32 v3, v11, v3
	s_nop 1
	v_mov_b32_dpp v11, v3 row_shr:2 row_mask:0xf bank_mask:0xf
	v_cndmask_b32_e64 v11, 0, v11, s[10:11]
	v_add_u32_e32 v3, v3, v11
	;; [unrolled: 4-line block ×4, first 2 shown]
	s_nop 1
	v_mov_b32_dpp v11, v3 row_bcast:15 row_mask:0xf bank_mask:0xf
	v_cndmask_b32_e64 v11, v11, 0, s[16:17]
	v_add_u32_e32 v3, v3, v11
	s_nop 1
	v_mov_b32_dpp v11, v3 row_bcast:31 row_mask:0xf bank_mask:0xf
	v_cndmask_b32_e64 v11, 0, v11, s[2:3]
	v_add_u32_e32 v3, v3, v11
	s_and_saveexec_b64 s[26:27], s[4:5]
	s_cbranch_execz .LBB60_22
; %bb.21:                               ;   in Loop: Header=BB60_2 Depth=1
	ds_write_b32 v7, v3 offset:8192
.LBB60_22:                              ;   in Loop: Header=BB60_2 Depth=1
	s_or_b64 exec, exec, s[26:27]
	s_waitcnt lgkmcnt(0)
	s_barrier
	s_and_saveexec_b64 s[26:27], vcc
	s_cbranch_execz .LBB60_24
; %bb.23:                               ;   in Loop: Header=BB60_2 Depth=1
	ds_read_b32 v11, v6 offset:8192
	s_waitcnt lgkmcnt(0)
	s_nop 0
	v_mov_b32_dpp v12, v11 row_shr:1 row_mask:0xf bank_mask:0xf
	v_cndmask_b32_e64 v12, v12, 0, s[18:19]
	v_add_u32_e32 v11, v12, v11
	s_nop 1
	v_mov_b32_dpp v12, v11 row_shr:2 row_mask:0xf bank_mask:0xf
	v_cndmask_b32_e64 v12, 0, v12, s[20:21]
	v_add_u32_e32 v11, v11, v12
	ds_write_b32 v6, v11 offset:8192
.LBB60_24:                              ;   in Loop: Header=BB60_2 Depth=1
	s_or_b64 exec, exec, s[26:27]
	v_mov_b32_e32 v11, 0
	s_waitcnt lgkmcnt(0)
	s_barrier
	s_and_saveexec_b64 s[26:27], s[0:1]
	s_cbranch_execz .LBB60_1
; %bb.25:                               ;   in Loop: Header=BB60_2 Depth=1
	ds_read_b32 v11, v7 offset:8188
	s_branch .LBB60_1
.LBB60_26:
	ds_read_u16 v1, v9
	s_lshl_b64 s[0:1], s[24:25], 2
	s_add_u32 s0, s22, s0
	s_addc_u32 s1, s23, s1
	v_lshlrev_b32_e32 v0, 2, v0
	s_waitcnt lgkmcnt(0)
	v_add_u32_sdwa v1, v1, v2 dst_sel:DWORD dst_unused:UNUSED_PAD src0_sel:DWORD src1_sel:WORD_0
	global_store_dword v0, v1, s[0:1]
	s_endpgm
	.section	.rodata,"a",@progbits
	.p2align	6, 0x0
	.amdhsa_kernel _Z11rank_kernelIhLj4ELb0EL18RadixRankAlgorithm0ELj256ELj1ELj10EEvPKT_Pi
		.amdhsa_group_segment_fixed_size 8208
		.amdhsa_private_segment_fixed_size 0
		.amdhsa_kernarg_size 16
		.amdhsa_user_sgpr_count 6
		.amdhsa_user_sgpr_private_segment_buffer 1
		.amdhsa_user_sgpr_dispatch_ptr 0
		.amdhsa_user_sgpr_queue_ptr 0
		.amdhsa_user_sgpr_kernarg_segment_ptr 1
		.amdhsa_user_sgpr_dispatch_id 0
		.amdhsa_user_sgpr_flat_scratch_init 0
		.amdhsa_user_sgpr_kernarg_preload_length 0
		.amdhsa_user_sgpr_kernarg_preload_offset 0
		.amdhsa_user_sgpr_private_segment_size 0
		.amdhsa_uses_dynamic_stack 0
		.amdhsa_system_sgpr_private_segment_wavefront_offset 0
		.amdhsa_system_sgpr_workgroup_id_x 1
		.amdhsa_system_sgpr_workgroup_id_y 0
		.amdhsa_system_sgpr_workgroup_id_z 0
		.amdhsa_system_sgpr_workgroup_info 0
		.amdhsa_system_vgpr_workitem_id 0
		.amdhsa_next_free_vgpr 20
		.amdhsa_next_free_sgpr 38
		.amdhsa_accum_offset 20
		.amdhsa_reserve_vcc 1
		.amdhsa_reserve_flat_scratch 0
		.amdhsa_float_round_mode_32 0
		.amdhsa_float_round_mode_16_64 0
		.amdhsa_float_denorm_mode_32 3
		.amdhsa_float_denorm_mode_16_64 3
		.amdhsa_dx10_clamp 1
		.amdhsa_ieee_mode 1
		.amdhsa_fp16_overflow 0
		.amdhsa_tg_split 0
		.amdhsa_exception_fp_ieee_invalid_op 0
		.amdhsa_exception_fp_denorm_src 0
		.amdhsa_exception_fp_ieee_div_zero 0
		.amdhsa_exception_fp_ieee_overflow 0
		.amdhsa_exception_fp_ieee_underflow 0
		.amdhsa_exception_fp_ieee_inexact 0
		.amdhsa_exception_int_div_zero 0
	.end_amdhsa_kernel
	.section	.text._Z11rank_kernelIhLj4ELb0EL18RadixRankAlgorithm0ELj256ELj1ELj10EEvPKT_Pi,"axG",@progbits,_Z11rank_kernelIhLj4ELb0EL18RadixRankAlgorithm0ELj256ELj1ELj10EEvPKT_Pi,comdat
.Lfunc_end60:
	.size	_Z11rank_kernelIhLj4ELb0EL18RadixRankAlgorithm0ELj256ELj1ELj10EEvPKT_Pi, .Lfunc_end60-_Z11rank_kernelIhLj4ELb0EL18RadixRankAlgorithm0ELj256ELj1ELj10EEvPKT_Pi
                                        ; -- End function
	.section	.AMDGPU.csdata,"",@progbits
; Kernel info:
; codeLenInByte = 1736
; NumSgprs: 42
; NumVgprs: 20
; NumAgprs: 0
; TotalNumVgprs: 20
; ScratchSize: 0
; MemoryBound: 0
; FloatMode: 240
; IeeeMode: 1
; LDSByteSize: 8208 bytes/workgroup (compile time only)
; SGPRBlocks: 5
; VGPRBlocks: 2
; NumSGPRsForWavesPerEU: 42
; NumVGPRsForWavesPerEU: 20
; AccumOffset: 20
; Occupancy: 7
; WaveLimiterHint : 0
; COMPUTE_PGM_RSRC2:SCRATCH_EN: 0
; COMPUTE_PGM_RSRC2:USER_SGPR: 6
; COMPUTE_PGM_RSRC2:TRAP_HANDLER: 0
; COMPUTE_PGM_RSRC2:TGID_X_EN: 1
; COMPUTE_PGM_RSRC2:TGID_Y_EN: 0
; COMPUTE_PGM_RSRC2:TGID_Z_EN: 0
; COMPUTE_PGM_RSRC2:TIDIG_COMP_CNT: 0
; COMPUTE_PGM_RSRC3_GFX90A:ACCUM_OFFSET: 4
; COMPUTE_PGM_RSRC3_GFX90A:TG_SPLIT: 0
	.section	.text._Z11rank_kernelIhLj4ELb0EL18RadixRankAlgorithm1ELj256ELj1ELj10EEvPKT_Pi,"axG",@progbits,_Z11rank_kernelIhLj4ELb0EL18RadixRankAlgorithm1ELj256ELj1ELj10EEvPKT_Pi,comdat
	.protected	_Z11rank_kernelIhLj4ELb0EL18RadixRankAlgorithm1ELj256ELj1ELj10EEvPKT_Pi ; -- Begin function _Z11rank_kernelIhLj4ELb0EL18RadixRankAlgorithm1ELj256ELj1ELj10EEvPKT_Pi
	.globl	_Z11rank_kernelIhLj4ELb0EL18RadixRankAlgorithm1ELj256ELj1ELj10EEvPKT_Pi
	.p2align	8
	.type	_Z11rank_kernelIhLj4ELb0EL18RadixRankAlgorithm1ELj256ELj1ELj10EEvPKT_Pi,@function
_Z11rank_kernelIhLj4ELb0EL18RadixRankAlgorithm1ELj256ELj1ELj10EEvPKT_Pi: ; @_Z11rank_kernelIhLj4ELb0EL18RadixRankAlgorithm1ELj256ELj1ELj10EEvPKT_Pi
; %bb.0:
	s_load_dwordx4 s[20:23], s[4:5], 0x0
	s_lshl_b32 s24, s6, 8
	v_mbcnt_lo_u32_b32 v1, -1, 0
	v_mbcnt_hi_u32_b32 v3, -1, v1
	v_or_b32_e32 v4, 63, v0
	s_waitcnt lgkmcnt(0)
	s_add_u32 s0, s20, s24
	s_addc_u32 s1, s21, 0
	global_load_ubyte v2, v0, s[0:1]
	v_cmp_eq_u32_e64 s[4:5], v4, v0
	v_add_u32_e32 v4, -1, v3
	v_and_b32_e32 v8, 64, v3
	v_lshrrev_b32_e32 v5, 4, v0
	v_cmp_lt_i32_e64 s[18:19], v4, v8
	v_and_b32_e32 v6, 15, v3
	v_and_b32_e32 v7, 16, v3
	v_cmp_lt_u32_e64 s[2:3], 31, v3
	v_cmp_eq_u32_e64 s[6:7], 0, v3
	v_and_b32_e32 v13, 12, v5
	v_and_b32_e32 v5, 3, v3
	v_cndmask_b32_e64 v3, v4, v3, s[18:19]
	s_movk_i32 s26, 0x700
	v_cmp_eq_u32_e64 s[18:19], 0, v5
	v_cmp_lt_u32_e64 s[20:21], 1, v5
	v_lshlrev_b32_e32 v14, 2, v3
	s_mov_b32 s25, 0
	v_mov_b32_e32 v10, 0
	v_lshlrev_b32_e32 v11, 5, v0
	v_cmp_gt_u32_e32 vcc, 4, v0
	v_cmp_lt_u32_e64 s[0:1], 63, v0
	v_lshlrev_b32_e32 v12, 2, v0
	v_or_b32_e32 v1, 0x100, v0
	v_cmp_eq_u32_e64 s[8:9], 0, v6
	v_cmp_lt_u32_e64 s[10:11], 1, v6
	v_cmp_lt_u32_e64 s[12:13], 3, v6
	;; [unrolled: 1-line block ×3, first 2 shown]
	v_cmp_eq_u32_e64 s[16:17], 0, v7
	s_mov_b32 s33, s25
	s_waitcnt vmcnt(0)
	v_lshlrev_b32_e32 v3, 4, v2
	v_lshrrev_b32_e32 v4, 6, v2
	v_lshlrev_b32_e32 v5, 8, v2
	v_lshrrev_b32_e32 v2, 2, v2
	v_and_or_b32 v3, v3, s26, v0
	v_and_b32_e32 v4, 2, v4
	v_and_or_b32 v5, v5, s26, v0
	v_and_b32_e32 v2, 2, v2
	v_lshl_or_b32 v15, v3, 2, v4
	v_lshl_or_b32 v16, v5, 2, v2
	s_branch .LBB61_2
.LBB61_1:                               ;   in Loop: Header=BB61_2 Depth=1
	s_or_b64 exec, exec, s[26:27]
	s_waitcnt lgkmcnt(0)
	v_add_u32_e32 v3, v18, v3
	ds_bpermute_b32 v3, v14, v3
	ds_read_b32 v19, v10 offset:8204
	s_add_i32 s33, s33, 1
	s_cmp_eq_u32 s33, 10
	s_waitcnt lgkmcnt(1)
	v_cndmask_b32_e64 v3, v3, v18, s[6:7]
	s_waitcnt lgkmcnt(0)
	v_lshl_add_u32 v3, v19, 16, v3
	v_add_u32_e32 v8, v3, v8
	v_add_u32_e32 v9, v8, v9
	ds_write2_b32 v11, v3, v8 offset1:1
	v_add_u32_e32 v3, v9, v6
	v_add_u32_e32 v6, v3, v7
	ds_write2_b32 v11, v9, v3 offset0:2 offset1:3
	v_add_u32_e32 v3, v6, v4
	v_add_u32_e32 v4, v3, v5
	;; [unrolled: 1-line block ×3, first 2 shown]
	ds_write2_b32 v11, v6, v3 offset0:4 offset1:5
	ds_write2_b32 v11, v4, v2 offset0:6 offset1:7
	s_waitcnt lgkmcnt(0)
	s_barrier
	s_cbranch_scc1 .LBB61_26
.LBB61_2:                               ; =>This Loop Header: Depth=1
                                        ;     Child Loop BB61_4 Depth 2
                                        ;     Child Loop BB61_16 Depth 2
	s_mov_b64 s[26:27], 0
	s_mov_b32 s34, 0
	v_pk_mov_b32 v[2:3], v[0:1], v[0:1] op_sel:[0,1]
	s_branch .LBB61_4
.LBB61_3:                               ;   in Loop: Header=BB61_4 Depth=2
	s_or_b64 exec, exec, s[30:31]
	s_add_i32 s34, s34, 2
	v_cmp_eq_u32_e64 s[28:29], 8, s34
	v_add_u32_e32 v3, 0x200, v3
	s_or_b64 s[26:27], s[28:29], s[26:27]
	v_add_u32_e32 v2, 0x200, v2
	s_andn2_b64 exec, exec, s[26:27]
	s_cbranch_execz .LBB61_8
.LBB61_4:                               ;   Parent Loop BB61_2 Depth=1
                                        ; =>  This Inner Loop Header: Depth=2
	s_or_b32 s28, s34, 1
	v_cmp_le_u32_e64 s[28:29], s28, 7
	v_cmp_le_u32_e64 s[36:37], s34, 7
	s_and_saveexec_b64 s[30:31], s[36:37]
	s_cbranch_execz .LBB61_6
; %bb.5:                                ;   in Loop: Header=BB61_4 Depth=2
	v_lshlrev_b32_e32 v4, 2, v2
	ds_write_b32 v4, v10
.LBB61_6:                               ;   in Loop: Header=BB61_4 Depth=2
	s_or_b64 exec, exec, s[30:31]
	s_and_saveexec_b64 s[30:31], s[28:29]
	s_cbranch_execz .LBB61_3
; %bb.7:                                ;   in Loop: Header=BB61_4 Depth=2
	v_lshlrev_b32_e32 v4, 2, v3
	ds_write_b32 v4, v10
	s_branch .LBB61_3
.LBB61_8:                               ;   in Loop: Header=BB61_2 Depth=1
	s_or_b64 exec, exec, s[26:27]
	ds_read_u16 v2, v16
	s_waitcnt lgkmcnt(0)
	v_add_u16_e32 v2, 1, v2
	ds_write_b16 v16, v2
	s_waitcnt lgkmcnt(0)
	s_barrier
	ds_read2_b32 v[8:9], v11 offset1:1
	ds_read2_b32 v[6:7], v11 offset0:2 offset1:3
	ds_read2_b32 v[4:5], v11 offset0:4 offset1:5
	;; [unrolled: 1-line block ×3, first 2 shown]
	s_waitcnt lgkmcnt(3)
	v_add_u32_e32 v17, v9, v8
	s_waitcnt lgkmcnt(2)
	v_add3_u32 v17, v17, v6, v7
	s_waitcnt lgkmcnt(1)
	v_add3_u32 v17, v17, v4, v5
	;; [unrolled: 2-line block ×3, first 2 shown]
	s_nop 1
	v_mov_b32_dpp v17, v3 row_shr:1 row_mask:0xf bank_mask:0xf
	v_cndmask_b32_e64 v17, v17, 0, s[8:9]
	v_add_u32_e32 v3, v17, v3
	s_nop 1
	v_mov_b32_dpp v17, v3 row_shr:2 row_mask:0xf bank_mask:0xf
	v_cndmask_b32_e64 v17, 0, v17, s[10:11]
	v_add_u32_e32 v3, v3, v17
	;; [unrolled: 4-line block ×4, first 2 shown]
	s_nop 1
	v_mov_b32_dpp v17, v3 row_bcast:15 row_mask:0xf bank_mask:0xf
	v_cndmask_b32_e64 v17, v17, 0, s[16:17]
	v_add_u32_e32 v3, v3, v17
	s_nop 1
	v_mov_b32_dpp v17, v3 row_bcast:31 row_mask:0xf bank_mask:0xf
	v_cndmask_b32_e64 v17, 0, v17, s[2:3]
	v_add_u32_e32 v3, v3, v17
	s_and_saveexec_b64 s[26:27], s[4:5]
	s_cbranch_execz .LBB61_10
; %bb.9:                                ;   in Loop: Header=BB61_2 Depth=1
	ds_write_b32 v13, v3 offset:8192
.LBB61_10:                              ;   in Loop: Header=BB61_2 Depth=1
	s_or_b64 exec, exec, s[26:27]
	s_waitcnt lgkmcnt(0)
	s_barrier
	s_and_saveexec_b64 s[26:27], vcc
	s_cbranch_execz .LBB61_12
; %bb.11:                               ;   in Loop: Header=BB61_2 Depth=1
	ds_read_b32 v17, v12 offset:8192
	s_waitcnt lgkmcnt(0)
	s_nop 0
	v_mov_b32_dpp v18, v17 row_shr:1 row_mask:0xf bank_mask:0xf
	v_cndmask_b32_e64 v18, v18, 0, s[18:19]
	v_add_u32_e32 v17, v18, v17
	s_nop 1
	v_mov_b32_dpp v18, v17 row_shr:2 row_mask:0xf bank_mask:0xf
	v_cndmask_b32_e64 v18, 0, v18, s[20:21]
	v_add_u32_e32 v17, v17, v18
	ds_write_b32 v12, v17 offset:8192
.LBB61_12:                              ;   in Loop: Header=BB61_2 Depth=1
	s_or_b64 exec, exec, s[26:27]
	v_mov_b32_e32 v17, 0
	s_waitcnt lgkmcnt(0)
	s_barrier
	s_and_saveexec_b64 s[26:27], s[0:1]
	s_cbranch_execz .LBB61_14
; %bb.13:                               ;   in Loop: Header=BB61_2 Depth=1
	ds_read_b32 v17, v13 offset:8188
.LBB61_14:                              ;   in Loop: Header=BB61_2 Depth=1
	s_or_b64 exec, exec, s[26:27]
	s_waitcnt lgkmcnt(0)
	v_add_u32_e32 v3, v17, v3
	ds_bpermute_b32 v3, v14, v3
	ds_read_b32 v18, v10 offset:8204
	s_mov_b32 s34, 0
	s_mov_b64 s[26:27], 0
	s_waitcnt lgkmcnt(1)
	v_cndmask_b32_e64 v3, v3, v17, s[6:7]
	s_waitcnt lgkmcnt(0)
	v_lshl_add_u32 v3, v18, 16, v3
	v_add_u32_e32 v8, v3, v8
	v_add_u32_e32 v9, v8, v9
	ds_write2_b32 v11, v3, v8 offset1:1
	v_add_u32_e32 v3, v9, v6
	v_add_u32_e32 v6, v3, v7
	ds_write2_b32 v11, v9, v3 offset0:2 offset1:3
	v_add_u32_e32 v3, v6, v4
	v_add_u32_e32 v4, v3, v5
	;; [unrolled: 1-line block ×3, first 2 shown]
	ds_write2_b32 v11, v6, v3 offset0:4 offset1:5
	ds_write2_b32 v11, v4, v2 offset0:6 offset1:7
	v_pk_mov_b32 v[2:3], v[0:1], v[0:1] op_sel:[0,1]
	s_waitcnt lgkmcnt(0)
	s_barrier
	s_branch .LBB61_16
.LBB61_15:                              ;   in Loop: Header=BB61_16 Depth=2
	s_or_b64 exec, exec, s[30:31]
	s_add_i32 s34, s34, 2
	v_cmp_eq_u32_e64 s[28:29], 8, s34
	v_add_u32_e32 v3, 0x200, v3
	s_or_b64 s[26:27], s[28:29], s[26:27]
	v_add_u32_e32 v2, 0x200, v2
	s_andn2_b64 exec, exec, s[26:27]
	s_cbranch_execz .LBB61_20
.LBB61_16:                              ;   Parent Loop BB61_2 Depth=1
                                        ; =>  This Inner Loop Header: Depth=2
	s_or_b32 s28, s34, 1
	v_cmp_le_u32_e64 s[28:29], s28, 7
	v_cmp_le_u32_e64 s[36:37], s34, 7
	s_and_saveexec_b64 s[30:31], s[36:37]
	s_cbranch_execz .LBB61_18
; %bb.17:                               ;   in Loop: Header=BB61_16 Depth=2
	v_lshlrev_b32_e32 v4, 2, v2
	ds_write_b32 v4, v10
.LBB61_18:                              ;   in Loop: Header=BB61_16 Depth=2
	s_or_b64 exec, exec, s[30:31]
	s_and_saveexec_b64 s[30:31], s[28:29]
	s_cbranch_execz .LBB61_15
; %bb.19:                               ;   in Loop: Header=BB61_16 Depth=2
	v_lshlrev_b32_e32 v4, 2, v3
	ds_write_b32 v4, v10
	s_branch .LBB61_15
.LBB61_20:                              ;   in Loop: Header=BB61_2 Depth=1
	s_or_b64 exec, exec, s[26:27]
	ds_read_u16 v17, v15
	s_waitcnt lgkmcnt(0)
	v_add_u16_e32 v2, 1, v17
	ds_write_b16 v15, v2
	s_waitcnt lgkmcnt(0)
	s_barrier
	ds_read2_b32 v[8:9], v11 offset1:1
	ds_read2_b32 v[6:7], v11 offset0:2 offset1:3
	ds_read2_b32 v[4:5], v11 offset0:4 offset1:5
	;; [unrolled: 1-line block ×3, first 2 shown]
	s_waitcnt lgkmcnt(3)
	v_add_u32_e32 v18, v9, v8
	s_waitcnt lgkmcnt(2)
	v_add3_u32 v18, v18, v6, v7
	s_waitcnt lgkmcnt(1)
	v_add3_u32 v18, v18, v4, v5
	;; [unrolled: 2-line block ×3, first 2 shown]
	s_nop 1
	v_mov_b32_dpp v18, v3 row_shr:1 row_mask:0xf bank_mask:0xf
	v_cndmask_b32_e64 v18, v18, 0, s[8:9]
	v_add_u32_e32 v3, v18, v3
	s_nop 1
	v_mov_b32_dpp v18, v3 row_shr:2 row_mask:0xf bank_mask:0xf
	v_cndmask_b32_e64 v18, 0, v18, s[10:11]
	v_add_u32_e32 v3, v3, v18
	;; [unrolled: 4-line block ×4, first 2 shown]
	s_nop 1
	v_mov_b32_dpp v18, v3 row_bcast:15 row_mask:0xf bank_mask:0xf
	v_cndmask_b32_e64 v18, v18, 0, s[16:17]
	v_add_u32_e32 v3, v3, v18
	s_nop 1
	v_mov_b32_dpp v18, v3 row_bcast:31 row_mask:0xf bank_mask:0xf
	v_cndmask_b32_e64 v18, 0, v18, s[2:3]
	v_add_u32_e32 v3, v3, v18
	s_and_saveexec_b64 s[26:27], s[4:5]
	s_cbranch_execz .LBB61_22
; %bb.21:                               ;   in Loop: Header=BB61_2 Depth=1
	ds_write_b32 v13, v3 offset:8192
.LBB61_22:                              ;   in Loop: Header=BB61_2 Depth=1
	s_or_b64 exec, exec, s[26:27]
	s_waitcnt lgkmcnt(0)
	s_barrier
	s_and_saveexec_b64 s[26:27], vcc
	s_cbranch_execz .LBB61_24
; %bb.23:                               ;   in Loop: Header=BB61_2 Depth=1
	ds_read_b32 v18, v12 offset:8192
	s_waitcnt lgkmcnt(0)
	s_nop 0
	v_mov_b32_dpp v19, v18 row_shr:1 row_mask:0xf bank_mask:0xf
	v_cndmask_b32_e64 v19, v19, 0, s[18:19]
	v_add_u32_e32 v18, v19, v18
	s_nop 1
	v_mov_b32_dpp v19, v18 row_shr:2 row_mask:0xf bank_mask:0xf
	v_cndmask_b32_e64 v19, 0, v19, s[20:21]
	v_add_u32_e32 v18, v18, v19
	ds_write_b32 v12, v18 offset:8192
.LBB61_24:                              ;   in Loop: Header=BB61_2 Depth=1
	s_or_b64 exec, exec, s[26:27]
	v_mov_b32_e32 v18, 0
	s_waitcnt lgkmcnt(0)
	s_barrier
	s_and_saveexec_b64 s[26:27], s[0:1]
	s_cbranch_execz .LBB61_1
; %bb.25:                               ;   in Loop: Header=BB61_2 Depth=1
	ds_read_b32 v18, v13 offset:8188
	s_branch .LBB61_1
.LBB61_26:
	ds_read_u16 v1, v15
	s_lshl_b64 s[0:1], s[24:25], 2
	s_add_u32 s0, s22, s0
	s_addc_u32 s1, s23, s1
	v_lshlrev_b32_e32 v0, 2, v0
	s_waitcnt lgkmcnt(0)
	v_add_u32_sdwa v1, v1, v17 dst_sel:DWORD dst_unused:UNUSED_PAD src0_sel:DWORD src1_sel:WORD_0
	global_store_dword v0, v1, s[0:1]
	s_endpgm
	.section	.rodata,"a",@progbits
	.p2align	6, 0x0
	.amdhsa_kernel _Z11rank_kernelIhLj4ELb0EL18RadixRankAlgorithm1ELj256ELj1ELj10EEvPKT_Pi
		.amdhsa_group_segment_fixed_size 8208
		.amdhsa_private_segment_fixed_size 0
		.amdhsa_kernarg_size 16
		.amdhsa_user_sgpr_count 6
		.amdhsa_user_sgpr_private_segment_buffer 1
		.amdhsa_user_sgpr_dispatch_ptr 0
		.amdhsa_user_sgpr_queue_ptr 0
		.amdhsa_user_sgpr_kernarg_segment_ptr 1
		.amdhsa_user_sgpr_dispatch_id 0
		.amdhsa_user_sgpr_flat_scratch_init 0
		.amdhsa_user_sgpr_kernarg_preload_length 0
		.amdhsa_user_sgpr_kernarg_preload_offset 0
		.amdhsa_user_sgpr_private_segment_size 0
		.amdhsa_uses_dynamic_stack 0
		.amdhsa_system_sgpr_private_segment_wavefront_offset 0
		.amdhsa_system_sgpr_workgroup_id_x 1
		.amdhsa_system_sgpr_workgroup_id_y 0
		.amdhsa_system_sgpr_workgroup_id_z 0
		.amdhsa_system_sgpr_workgroup_info 0
		.amdhsa_system_vgpr_workitem_id 0
		.amdhsa_next_free_vgpr 20
		.amdhsa_next_free_sgpr 38
		.amdhsa_accum_offset 20
		.amdhsa_reserve_vcc 1
		.amdhsa_reserve_flat_scratch 0
		.amdhsa_float_round_mode_32 0
		.amdhsa_float_round_mode_16_64 0
		.amdhsa_float_denorm_mode_32 3
		.amdhsa_float_denorm_mode_16_64 3
		.amdhsa_dx10_clamp 1
		.amdhsa_ieee_mode 1
		.amdhsa_fp16_overflow 0
		.amdhsa_tg_split 0
		.amdhsa_exception_fp_ieee_invalid_op 0
		.amdhsa_exception_fp_denorm_src 0
		.amdhsa_exception_fp_ieee_div_zero 0
		.amdhsa_exception_fp_ieee_overflow 0
		.amdhsa_exception_fp_ieee_underflow 0
		.amdhsa_exception_fp_ieee_inexact 0
		.amdhsa_exception_int_div_zero 0
	.end_amdhsa_kernel
	.section	.text._Z11rank_kernelIhLj4ELb0EL18RadixRankAlgorithm1ELj256ELj1ELj10EEvPKT_Pi,"axG",@progbits,_Z11rank_kernelIhLj4ELb0EL18RadixRankAlgorithm1ELj256ELj1ELj10EEvPKT_Pi,comdat
.Lfunc_end61:
	.size	_Z11rank_kernelIhLj4ELb0EL18RadixRankAlgorithm1ELj256ELj1ELj10EEvPKT_Pi, .Lfunc_end61-_Z11rank_kernelIhLj4ELb0EL18RadixRankAlgorithm1ELj256ELj1ELj10EEvPKT_Pi
                                        ; -- End function
	.section	.AMDGPU.csdata,"",@progbits
; Kernel info:
; codeLenInByte = 1640
; NumSgprs: 42
; NumVgprs: 20
; NumAgprs: 0
; TotalNumVgprs: 20
; ScratchSize: 0
; MemoryBound: 0
; FloatMode: 240
; IeeeMode: 1
; LDSByteSize: 8208 bytes/workgroup (compile time only)
; SGPRBlocks: 5
; VGPRBlocks: 2
; NumSGPRsForWavesPerEU: 42
; NumVGPRsForWavesPerEU: 20
; AccumOffset: 20
; Occupancy: 7
; WaveLimiterHint : 0
; COMPUTE_PGM_RSRC2:SCRATCH_EN: 0
; COMPUTE_PGM_RSRC2:USER_SGPR: 6
; COMPUTE_PGM_RSRC2:TRAP_HANDLER: 0
; COMPUTE_PGM_RSRC2:TGID_X_EN: 1
; COMPUTE_PGM_RSRC2:TGID_Y_EN: 0
; COMPUTE_PGM_RSRC2:TGID_Z_EN: 0
; COMPUTE_PGM_RSRC2:TIDIG_COMP_CNT: 0
; COMPUTE_PGM_RSRC3_GFX90A:ACCUM_OFFSET: 4
; COMPUTE_PGM_RSRC3_GFX90A:TG_SPLIT: 0
	.section	.text._Z11rank_kernelIhLj4ELb0EL18RadixRankAlgorithm2ELj256ELj1ELj10EEvPKT_Pi,"axG",@progbits,_Z11rank_kernelIhLj4ELb0EL18RadixRankAlgorithm2ELj256ELj1ELj10EEvPKT_Pi,comdat
	.protected	_Z11rank_kernelIhLj4ELb0EL18RadixRankAlgorithm2ELj256ELj1ELj10EEvPKT_Pi ; -- Begin function _Z11rank_kernelIhLj4ELb0EL18RadixRankAlgorithm2ELj256ELj1ELj10EEvPKT_Pi
	.globl	_Z11rank_kernelIhLj4ELb0EL18RadixRankAlgorithm2ELj256ELj1ELj10EEvPKT_Pi
	.p2align	8
	.type	_Z11rank_kernelIhLj4ELb0EL18RadixRankAlgorithm2ELj256ELj1ELj10EEvPKT_Pi,@function
_Z11rank_kernelIhLj4ELb0EL18RadixRankAlgorithm2ELj256ELj1ELj10EEvPKT_Pi: ; @_Z11rank_kernelIhLj4ELb0EL18RadixRankAlgorithm2ELj256ELj1ELj10EEvPKT_Pi
; %bb.0:
	s_load_dwordx4 s[36:39], s[4:5], 0x0
	s_load_dword s22, s[4:5], 0x1c
	s_lshl_b32 s40, s6, 8
	v_and_b32_e32 v2, 0x3ff, v0
	v_mbcnt_lo_u32_b32 v1, -1, 0
	s_waitcnt lgkmcnt(0)
	s_add_u32 s0, s36, s40
	s_addc_u32 s1, s37, 0
	global_load_ubyte v3, v2, s[0:1]
	v_mbcnt_hi_u32_b32 v1, -1, v1
	v_add_u32_e32 v9, -1, v1
	v_and_b32_e32 v10, 64, v1
	v_bfe_u32 v5, v0, 10, 10
	v_bfe_u32 v0, v0, 20, 10
	v_cmp_lt_i32_e64 s[18:19], v9, v10
	s_lshr_b32 s23, s22, 16
	v_and_b32_e32 v6, 15, v1
	v_and_b32_e32 v7, 16, v1
	v_cmp_lt_u32_e32 vcc, 31, v1
	v_cmp_eq_u32_e64 s[4:5], 0, v1
	v_and_b32_e32 v12, 3, v1
	v_cndmask_b32_e64 v1, v9, v1, s[18:19]
	s_and_b32 s22, s22, 0xffff
	v_mad_u32_u24 v0, v0, s23, v5
	v_cmp_eq_u32_e64 s[6:7], 0, v6
	v_cmp_lt_u32_e64 s[8:9], 1, v6
	v_cmp_lt_u32_e64 s[10:11], 3, v6
	;; [unrolled: 1-line block ×3, first 2 shown]
	v_lshlrev_b32_e32 v18, 2, v1
	v_cmp_eq_u32_e64 s[14:15], 0, v7
	v_mov_b32_e32 v4, 0
	v_lshrrev_b32_e32 v11, 4, v2
	v_and_b32_e32 v15, 12, v11
	v_or_b32_e32 v8, 63, v2
	v_cmp_eq_u32_e64 s[16:17], v8, v2
	v_cmp_eq_u32_e64 s[18:19], 0, v12
	v_cmp_lt_u32_e64 s[20:21], 1, v12
	s_mov_b32 s41, 0
	s_mov_b32 s33, 10
	v_lshlrev_b32_e32 v13, 2, v2
	v_cmp_gt_u32_e64 s[0:1], 4, v2
	v_cmp_lt_u32_e64 s[2:3], 63, v2
	v_add_u32_e32 v19, -4, v15
	s_waitcnt vmcnt(0)
	v_mad_u64_u32 v[0:1], s[22:23], v0, s22, v[2:3]
	v_and_b32_e32 v6, 1, v3
	v_add_co_u32_e64 v20, s[22:23], -1, v6
	v_bfe_u32 v7, v3, 4, 1
	v_addc_co_u32_e64 v21, s[22:23], 0, -1, s[22:23]
	v_lshlrev_b32_e32 v5, 30, v3
	v_add_co_u32_e64 v22, s[22:23], -1, v7
	v_cmp_gt_i64_e64 s[28:29], 0, v[4:5]
	v_not_b32_e32 v10, v5
	v_lshlrev_b32_e32 v5, 29, v3
	v_addc_co_u32_e64 v23, s[22:23], 0, -1, s[22:23]
	v_lshrrev_b32_e32 v9, 4, v3
	v_cmp_eq_u32_e64 s[22:23], 1, v6
	v_cmp_gt_i64_e64 s[30:31], 0, v[4:5]
	v_not_b32_e32 v6, v5
	v_lshlrev_b32_e32 v5, 28, v3
	v_lshrrev_b32_e32 v1, 6, v0
	v_and_b32_e32 v0, 15, v3
	v_cmp_gt_i64_e64 s[34:35], 0, v[4:5]
	v_not_b32_e32 v7, v5
	v_lshlrev_b32_e32 v5, 30, v9
	v_mul_u32_u24_e32 v11, 5, v0
	v_cndmask_b32_e64 v25, 0, 1, s[22:23]
	v_ashrrev_i32_e32 v0, 31, v10
	v_cmp_gt_i64_e64 s[22:23], 0, v[4:5]
	v_not_b32_e32 v10, v5
	v_lshlrev_b32_e32 v5, 29, v9
	v_add_lshl_u32 v26, v1, v11, 2
	v_cmp_gt_i64_e64 s[24:25], 0, v[4:5]
	v_not_b32_e32 v11, v5
	v_lshlrev_b32_e32 v5, 28, v9
	v_and_b32_e32 v16, 16, v3
	v_mul_u32_u24_e32 v8, 5, v9
	v_ashrrev_i32_e32 v12, 31, v11
	v_not_b32_e32 v11, v5
	v_add_lshl_u32 v24, v1, v8, 2
	v_ashrrev_i32_e32 v6, 31, v6
	v_ashrrev_i32_e32 v8, 31, v7
	;; [unrolled: 1-line block ×4, first 2 shown]
	v_cndmask_b32_e64 v27, 0, 1, s[28:29]
	v_cmp_ne_u32_e64 s[28:29], 0, v16
	v_mov_b32_e32 v1, v0
	v_mov_b32_e32 v3, v6
	;; [unrolled: 1-line block ×4, first 2 shown]
	v_cmp_gt_i64_e64 s[26:27], 0, v[4:5]
	v_mov_b32_e32 v5, v12
	v_mov_b32_e32 v11, v14
	v_cndmask_b32_e64 v28, 0, 1, s[30:31]
	v_cndmask_b32_e64 v29, 0, 1, s[34:35]
	;; [unrolled: 1-line block ×3, first 2 shown]
	s_branch .LBB62_2
.LBB62_1:                               ;   in Loop: Header=BB62_2 Depth=1
	s_or_b64 exec, exec, s[28:29]
	s_waitcnt lgkmcnt(0)
	v_add_u32_e32 v16, v17, v16
	ds_bpermute_b32 v16, v18, v16
	s_add_i32 s33, s33, -1
	s_cmp_eq_u32 s33, 0
	s_waitcnt lgkmcnt(0)
	v_cndmask_b32_e64 v16, v16, v17, s[4:5]
	ds_write_b32 v13, v16 offset:16
	s_waitcnt lgkmcnt(0)
	s_barrier
	s_cbranch_scc1 .LBB62_18
.LBB62_2:                               ; =>This Inner Loop Header: Depth=1
	v_cmp_ne_u32_e64 s[28:29], 0, v25
	v_xor_b32_e32 v16, s29, v21
	v_xor_b32_e32 v17, s28, v20
	v_cmp_ne_u32_e64 s[28:29], 0, v27
	v_and_b32_e32 v16, exec_hi, v16
	v_and_b32_e32 v17, exec_lo, v17
	v_xor_b32_e32 v31, s29, v1
	v_xor_b32_e32 v32, s28, v0
	v_cmp_ne_u32_e64 s[28:29], 0, v28
	v_and_b32_e32 v16, v16, v31
	v_and_b32_e32 v17, v17, v32
	v_xor_b32_e32 v31, s29, v3
	v_xor_b32_e32 v32, s28, v6
	v_cmp_ne_u32_e64 s[28:29], 0, v29
	v_and_b32_e32 v16, v16, v31
	v_and_b32_e32 v31, v17, v32
	v_xor_b32_e32 v17, s29, v7
	v_xor_b32_e32 v32, s28, v8
	v_and_b32_e32 v17, v16, v17
	v_and_b32_e32 v16, v31, v32
	v_mbcnt_lo_u32_b32 v31, v16, 0
	v_mbcnt_hi_u32_b32 v31, v17, v31
	v_cmp_eq_u32_e64 s[28:29], 0, v31
	v_cmp_ne_u64_e64 s[30:31], 0, v[16:17]
	s_and_b64 s[30:31], s[30:31], s[28:29]
	ds_write_b32 v13, v4 offset:16
	s_waitcnt lgkmcnt(0)
	s_barrier
	s_waitcnt lgkmcnt(0)
	; wave barrier
	s_and_saveexec_b64 s[28:29], s[30:31]
	s_cbranch_execz .LBB62_4
; %bb.3:                                ;   in Loop: Header=BB62_2 Depth=1
	v_bcnt_u32_b32 v16, v16, 0
	v_bcnt_u32_b32 v16, v17, v16
	ds_write_b32 v26, v16 offset:16
.LBB62_4:                               ;   in Loop: Header=BB62_2 Depth=1
	s_or_b64 exec, exec, s[28:29]
	; wave barrier
	s_waitcnt lgkmcnt(0)
	s_barrier
	ds_read_b32 v16, v13 offset:16
	s_waitcnt lgkmcnt(0)
	s_nop 0
	v_mov_b32_dpp v17, v16 row_shr:1 row_mask:0xf bank_mask:0xf
	v_cndmask_b32_e64 v17, v17, 0, s[6:7]
	v_add_u32_e32 v16, v17, v16
	s_nop 1
	v_mov_b32_dpp v17, v16 row_shr:2 row_mask:0xf bank_mask:0xf
	v_cndmask_b32_e64 v17, 0, v17, s[8:9]
	v_add_u32_e32 v16, v16, v17
	;; [unrolled: 4-line block ×4, first 2 shown]
	s_nop 1
	v_mov_b32_dpp v17, v16 row_bcast:15 row_mask:0xf bank_mask:0xf
	v_cndmask_b32_e64 v17, v17, 0, s[14:15]
	v_add_u32_e32 v16, v16, v17
	s_nop 1
	v_mov_b32_dpp v17, v16 row_bcast:31 row_mask:0xf bank_mask:0xf
	v_cndmask_b32_e32 v17, 0, v17, vcc
	v_add_u32_e32 v16, v16, v17
	s_and_saveexec_b64 s[28:29], s[16:17]
	s_cbranch_execz .LBB62_6
; %bb.5:                                ;   in Loop: Header=BB62_2 Depth=1
	ds_write_b32 v15, v16
.LBB62_6:                               ;   in Loop: Header=BB62_2 Depth=1
	s_or_b64 exec, exec, s[28:29]
	s_waitcnt lgkmcnt(0)
	s_barrier
	s_and_saveexec_b64 s[28:29], s[0:1]
	s_cbranch_execz .LBB62_8
; %bb.7:                                ;   in Loop: Header=BB62_2 Depth=1
	ds_read_b32 v17, v13
	s_waitcnt lgkmcnt(0)
	s_nop 0
	v_mov_b32_dpp v31, v17 row_shr:1 row_mask:0xf bank_mask:0xf
	v_cndmask_b32_e64 v31, v31, 0, s[18:19]
	v_add_u32_e32 v17, v31, v17
	s_nop 1
	v_mov_b32_dpp v31, v17 row_shr:2 row_mask:0xf bank_mask:0xf
	v_cndmask_b32_e64 v31, 0, v31, s[20:21]
	v_add_u32_e32 v17, v17, v31
	ds_write_b32 v13, v17
.LBB62_8:                               ;   in Loop: Header=BB62_2 Depth=1
	s_or_b64 exec, exec, s[28:29]
	v_mov_b32_e32 v17, 0
	s_waitcnt lgkmcnt(0)
	s_barrier
	s_and_saveexec_b64 s[28:29], s[2:3]
	s_cbranch_execz .LBB62_10
; %bb.9:                                ;   in Loop: Header=BB62_2 Depth=1
	ds_read_b32 v17, v19
.LBB62_10:                              ;   in Loop: Header=BB62_2 Depth=1
	s_or_b64 exec, exec, s[28:29]
	s_waitcnt lgkmcnt(0)
	v_add_u32_e32 v16, v17, v16
	ds_bpermute_b32 v16, v18, v16
	v_cmp_ne_u32_e64 s[28:29], 0, v30
	v_cndmask_b32_e64 v31, 0, 1, s[22:23]
	s_waitcnt lgkmcnt(0)
	v_cndmask_b32_e64 v16, v16, v17, s[4:5]
	ds_write_b32 v13, v16 offset:16
	v_xor_b32_e32 v16, s29, v23
	v_xor_b32_e32 v17, s28, v22
	v_cmp_ne_u32_e64 s[28:29], 0, v31
	v_and_b32_e32 v16, exec_hi, v16
	v_xor_b32_e32 v31, s29, v9
	v_and_b32_e32 v16, v16, v31
	v_cndmask_b32_e64 v31, 0, 1, s[24:25]
	v_and_b32_e32 v17, exec_lo, v17
	v_xor_b32_e32 v32, s28, v10
	v_cmp_ne_u32_e64 s[28:29], 0, v31
	v_and_b32_e32 v17, v17, v32
	v_xor_b32_e32 v31, s29, v5
	v_xor_b32_e32 v32, s28, v12
	v_and_b32_e32 v16, v16, v31
	v_and_b32_e32 v31, v17, v32
	v_cndmask_b32_e64 v17, 0, 1, s[26:27]
	v_cmp_ne_u32_e64 s[28:29], 0, v17
	v_xor_b32_e32 v17, s29, v11
	v_xor_b32_e32 v32, s28, v14
	v_and_b32_e32 v17, v16, v17
	v_and_b32_e32 v16, v31, v32
	v_mbcnt_lo_u32_b32 v31, v16, 0
	v_mbcnt_hi_u32_b32 v31, v17, v31
	v_cmp_eq_u32_e64 s[28:29], 0, v31
	v_cmp_ne_u64_e64 s[30:31], 0, v[16:17]
	s_and_b64 s[30:31], s[30:31], s[28:29]
	s_waitcnt lgkmcnt(0)
	s_barrier
	ds_write_b32 v13, v4 offset:16
	s_waitcnt lgkmcnt(0)
	s_barrier
	s_waitcnt lgkmcnt(0)
	; wave barrier
	s_and_saveexec_b64 s[28:29], s[30:31]
	s_cbranch_execz .LBB62_12
; %bb.11:                               ;   in Loop: Header=BB62_2 Depth=1
	v_bcnt_u32_b32 v16, v16, 0
	v_bcnt_u32_b32 v16, v17, v16
	ds_write_b32 v24, v16 offset:16
.LBB62_12:                              ;   in Loop: Header=BB62_2 Depth=1
	s_or_b64 exec, exec, s[28:29]
	; wave barrier
	s_waitcnt lgkmcnt(0)
	s_barrier
	ds_read_b32 v16, v13 offset:16
	s_waitcnt lgkmcnt(0)
	s_nop 0
	v_mov_b32_dpp v17, v16 row_shr:1 row_mask:0xf bank_mask:0xf
	v_cndmask_b32_e64 v17, v17, 0, s[6:7]
	v_add_u32_e32 v16, v17, v16
	s_nop 1
	v_mov_b32_dpp v17, v16 row_shr:2 row_mask:0xf bank_mask:0xf
	v_cndmask_b32_e64 v17, 0, v17, s[8:9]
	v_add_u32_e32 v16, v16, v17
	;; [unrolled: 4-line block ×4, first 2 shown]
	s_nop 1
	v_mov_b32_dpp v17, v16 row_bcast:15 row_mask:0xf bank_mask:0xf
	v_cndmask_b32_e64 v17, v17, 0, s[14:15]
	v_add_u32_e32 v16, v16, v17
	s_nop 1
	v_mov_b32_dpp v17, v16 row_bcast:31 row_mask:0xf bank_mask:0xf
	v_cndmask_b32_e32 v17, 0, v17, vcc
	v_add_u32_e32 v16, v16, v17
	s_and_saveexec_b64 s[28:29], s[16:17]
	s_cbranch_execz .LBB62_14
; %bb.13:                               ;   in Loop: Header=BB62_2 Depth=1
	ds_write_b32 v15, v16
.LBB62_14:                              ;   in Loop: Header=BB62_2 Depth=1
	s_or_b64 exec, exec, s[28:29]
	s_waitcnt lgkmcnt(0)
	s_barrier
	s_and_saveexec_b64 s[28:29], s[0:1]
	s_cbranch_execz .LBB62_16
; %bb.15:                               ;   in Loop: Header=BB62_2 Depth=1
	ds_read_b32 v17, v13
	s_waitcnt lgkmcnt(0)
	s_nop 0
	v_mov_b32_dpp v32, v17 row_shr:1 row_mask:0xf bank_mask:0xf
	v_cndmask_b32_e64 v32, v32, 0, s[18:19]
	v_add_u32_e32 v17, v32, v17
	s_nop 1
	v_mov_b32_dpp v32, v17 row_shr:2 row_mask:0xf bank_mask:0xf
	v_cndmask_b32_e64 v32, 0, v32, s[20:21]
	v_add_u32_e32 v17, v17, v32
	ds_write_b32 v13, v17
.LBB62_16:                              ;   in Loop: Header=BB62_2 Depth=1
	s_or_b64 exec, exec, s[28:29]
	v_mov_b32_e32 v17, 0
	s_waitcnt lgkmcnt(0)
	s_barrier
	s_and_saveexec_b64 s[28:29], s[2:3]
	s_cbranch_execz .LBB62_1
; %bb.17:                               ;   in Loop: Header=BB62_2 Depth=1
	ds_read_b32 v17, v19
	s_branch .LBB62_1
.LBB62_18:
	ds_read_b32 v0, v24 offset:16
	s_lshl_b64 s[0:1], s[40:41], 2
	s_add_u32 s0, s38, s0
	s_addc_u32 s1, s39, s1
	v_lshlrev_b32_e32 v1, 2, v2
	s_waitcnt lgkmcnt(0)
	v_add_u32_e32 v0, v0, v31
	global_store_dword v1, v0, s[0:1]
	s_endpgm
	.section	.rodata,"a",@progbits
	.p2align	6, 0x0
	.amdhsa_kernel _Z11rank_kernelIhLj4ELb0EL18RadixRankAlgorithm2ELj256ELj1ELj10EEvPKT_Pi
		.amdhsa_group_segment_fixed_size 1040
		.amdhsa_private_segment_fixed_size 0
		.amdhsa_kernarg_size 272
		.amdhsa_user_sgpr_count 6
		.amdhsa_user_sgpr_private_segment_buffer 1
		.amdhsa_user_sgpr_dispatch_ptr 0
		.amdhsa_user_sgpr_queue_ptr 0
		.amdhsa_user_sgpr_kernarg_segment_ptr 1
		.amdhsa_user_sgpr_dispatch_id 0
		.amdhsa_user_sgpr_flat_scratch_init 0
		.amdhsa_user_sgpr_kernarg_preload_length 0
		.amdhsa_user_sgpr_kernarg_preload_offset 0
		.amdhsa_user_sgpr_private_segment_size 0
		.amdhsa_uses_dynamic_stack 0
		.amdhsa_system_sgpr_private_segment_wavefront_offset 0
		.amdhsa_system_sgpr_workgroup_id_x 1
		.amdhsa_system_sgpr_workgroup_id_y 0
		.amdhsa_system_sgpr_workgroup_id_z 0
		.amdhsa_system_sgpr_workgroup_info 0
		.amdhsa_system_vgpr_workitem_id 2
		.amdhsa_next_free_vgpr 33
		.amdhsa_next_free_sgpr 42
		.amdhsa_accum_offset 36
		.amdhsa_reserve_vcc 1
		.amdhsa_reserve_flat_scratch 0
		.amdhsa_float_round_mode_32 0
		.amdhsa_float_round_mode_16_64 0
		.amdhsa_float_denorm_mode_32 3
		.amdhsa_float_denorm_mode_16_64 3
		.amdhsa_dx10_clamp 1
		.amdhsa_ieee_mode 1
		.amdhsa_fp16_overflow 0
		.amdhsa_tg_split 0
		.amdhsa_exception_fp_ieee_invalid_op 0
		.amdhsa_exception_fp_denorm_src 0
		.amdhsa_exception_fp_ieee_div_zero 0
		.amdhsa_exception_fp_ieee_overflow 0
		.amdhsa_exception_fp_ieee_underflow 0
		.amdhsa_exception_fp_ieee_inexact 0
		.amdhsa_exception_int_div_zero 0
	.end_amdhsa_kernel
	.section	.text._Z11rank_kernelIhLj4ELb0EL18RadixRankAlgorithm2ELj256ELj1ELj10EEvPKT_Pi,"axG",@progbits,_Z11rank_kernelIhLj4ELb0EL18RadixRankAlgorithm2ELj256ELj1ELj10EEvPKT_Pi,comdat
.Lfunc_end62:
	.size	_Z11rank_kernelIhLj4ELb0EL18RadixRankAlgorithm2ELj256ELj1ELj10EEvPKT_Pi, .Lfunc_end62-_Z11rank_kernelIhLj4ELb0EL18RadixRankAlgorithm2ELj256ELj1ELj10EEvPKT_Pi
                                        ; -- End function
	.section	.AMDGPU.csdata,"",@progbits
; Kernel info:
; codeLenInByte = 1712
; NumSgprs: 46
; NumVgprs: 33
; NumAgprs: 0
; TotalNumVgprs: 33
; ScratchSize: 0
; MemoryBound: 0
; FloatMode: 240
; IeeeMode: 1
; LDSByteSize: 1040 bytes/workgroup (compile time only)
; SGPRBlocks: 5
; VGPRBlocks: 4
; NumSGPRsForWavesPerEU: 46
; NumVGPRsForWavesPerEU: 33
; AccumOffset: 36
; Occupancy: 8
; WaveLimiterHint : 0
; COMPUTE_PGM_RSRC2:SCRATCH_EN: 0
; COMPUTE_PGM_RSRC2:USER_SGPR: 6
; COMPUTE_PGM_RSRC2:TRAP_HANDLER: 0
; COMPUTE_PGM_RSRC2:TGID_X_EN: 1
; COMPUTE_PGM_RSRC2:TGID_Y_EN: 0
; COMPUTE_PGM_RSRC2:TGID_Z_EN: 0
; COMPUTE_PGM_RSRC2:TIDIG_COMP_CNT: 2
; COMPUTE_PGM_RSRC3_GFX90A:ACCUM_OFFSET: 8
; COMPUTE_PGM_RSRC3_GFX90A:TG_SPLIT: 0
	.section	.text._Z11rank_kernelIhLj4ELb0EL18RadixRankAlgorithm0ELj256ELj4ELj10EEvPKT_Pi,"axG",@progbits,_Z11rank_kernelIhLj4ELb0EL18RadixRankAlgorithm0ELj256ELj4ELj10EEvPKT_Pi,comdat
	.protected	_Z11rank_kernelIhLj4ELb0EL18RadixRankAlgorithm0ELj256ELj4ELj10EEvPKT_Pi ; -- Begin function _Z11rank_kernelIhLj4ELb0EL18RadixRankAlgorithm0ELj256ELj4ELj10EEvPKT_Pi
	.globl	_Z11rank_kernelIhLj4ELb0EL18RadixRankAlgorithm0ELj256ELj4ELj10EEvPKT_Pi
	.p2align	8
	.type	_Z11rank_kernelIhLj4ELb0EL18RadixRankAlgorithm0ELj256ELj4ELj10EEvPKT_Pi,@function
_Z11rank_kernelIhLj4ELb0EL18RadixRankAlgorithm0ELj256ELj4ELj10EEvPKT_Pi: ; @_Z11rank_kernelIhLj4ELb0EL18RadixRankAlgorithm0ELj256ELj4ELj10EEvPKT_Pi
; %bb.0:
	s_load_dwordx4 s[20:23], s[4:5], 0x0
	s_lshl_b32 s24, s6, 10
	v_lshlrev_b32_e32 v2, 2, v0
	v_mbcnt_lo_u32_b32 v1, -1, 0
	v_mbcnt_hi_u32_b32 v5, -1, v1
	s_waitcnt lgkmcnt(0)
	s_add_u32 s0, s20, s24
	s_addc_u32 s1, s21, 0
	global_load_dword v4, v2, s[0:1]
	v_add_u32_e32 v11, -1, v5
	v_and_b32_e32 v12, 64, v5
	v_or_b32_e32 v7, 63, v0
	v_lshrrev_b32_e32 v8, 4, v0
	v_cmp_lt_i32_e64 s[18:19], v11, v12
	s_movk_i32 s26, 0x700
	v_and_b32_e32 v9, 15, v5
	v_and_b32_e32 v10, 16, v5
	v_cmp_lt_u32_e64 s[2:3], 31, v5
	v_cmp_eq_u32_e64 s[4:5], v7, v0
	v_cmp_eq_u32_e64 s[6:7], 0, v5
	v_and_b32_e32 v7, 12, v8
	v_and_b32_e32 v8, 3, v5
	v_cndmask_b32_e64 v5, v11, v5, s[18:19]
	v_cmp_eq_u32_e64 s[8:9], 0, v9
	v_cmp_lt_u32_e64 s[10:11], 1, v9
	v_cmp_lt_u32_e64 s[12:13], 3, v9
	;; [unrolled: 1-line block ×3, first 2 shown]
	v_cmp_eq_u32_e64 s[16:17], 0, v10
	v_cmp_eq_u32_e64 s[18:19], 0, v8
	v_cmp_lt_u32_e64 s[20:21], 1, v8
	v_lshlrev_b32_e32 v8, 2, v5
	s_mov_b32 s25, 0
	v_mov_b32_e32 v3, 0
	v_lshlrev_b32_e32 v6, 5, v0
	v_cmp_gt_u32_e32 vcc, 4, v0
	v_cmp_lt_u32_e64 s[0:1], 63, v0
	v_or_b32_e32 v1, 0x100, v0
	s_mov_b32 s33, s25
	s_waitcnt vmcnt(0)
	v_lshrrev_b32_e32 v22, 20, v4
	v_lshrrev_b32_e32 v5, 16, v4
	;; [unrolled: 1-line block ×3, first 2 shown]
	v_lshlrev_b32_e32 v10, 4, v4
	v_lshrrev_b32_e32 v11, 6, v4
	v_lshlrev_b32_e32 v12, 8, v4
	v_lshrrev_b32_e32 v13, 2, v4
	v_lshrrev_b32_e32 v15, 10, v4
	;; [unrolled: 1-line block ×8, first 2 shown]
	v_and_or_b32 v22, v22, s26, v0
	v_and_or_b32 v14, v4, s26, v0
	;; [unrolled: 1-line block ×3, first 2 shown]
	v_and_b32_e32 v11, 2, v11
	v_and_or_b32 v12, v12, s26, v0
	v_and_b32_e32 v13, 2, v13
	v_and_b32_e32 v15, 2, v15
	v_and_or_b32 v23, v9, s26, v0
	v_and_b32_e32 v16, 2, v16
	v_and_or_b32 v5, v5, s26, v0
	;; [unrolled: 2-line block ×4, first 2 shown]
	v_and_b32_e32 v21, 2, v21
	v_alignbit_b32 v4, v22, v4, 30
	v_lshl_or_b32 v9, v10, 2, v11
	v_lshl_or_b32 v13, v12, 2, v13
	;; [unrolled: 1-line block ×7, first 2 shown]
	v_and_b32_e32 v12, 0x1ffe, v4
	s_branch .LBB63_2
.LBB63_1:                               ;   in Loop: Header=BB63_2 Depth=1
	s_or_b64 exec, exec, s[26:27]
	s_waitcnt lgkmcnt(0)
	v_add_u32_e32 v19, v20, v19
	ds_bpermute_b32 v19, v8, v19
	ds_read_b32 v22, v3 offset:8204
	s_add_i32 s33, s33, 1
	s_cmp_eq_u32 s33, 10
	s_waitcnt lgkmcnt(1)
	v_cndmask_b32_e64 v19, v19, v20, s[6:7]
	ds_read2_b32 v[20:21], v6 offset1:1
	s_waitcnt lgkmcnt(1)
	v_lshl_add_u32 v19, v22, 16, v19
	ds_read2_b32 v[22:23], v6 offset0:2 offset1:3
	ds_read2_b32 v[24:25], v6 offset0:4 offset1:5
	ds_read_b32 v26, v6 offset:24
	s_waitcnt lgkmcnt(3)
	v_add_u32_e32 v20, v19, v20
	ds_write2_b32 v6, v19, v20 offset1:1
	v_add_u32_e32 v19, v21, v20
	s_waitcnt lgkmcnt(3)
	v_add_u32_e32 v20, v22, v19
	ds_write2_b32 v6, v19, v20 offset0:2 offset1:3
	v_add_u32_e32 v19, v23, v20
	s_waitcnt lgkmcnt(3)
	v_add_u32_e32 v20, v24, v19
	ds_write2_b32 v6, v19, v20 offset0:4 offset1:5
	v_add_u32_e32 v19, v25, v20
	s_waitcnt lgkmcnt(3)
	v_add_u32_e32 v20, v26, v19
	ds_write2_b32 v6, v19, v20 offset0:6 offset1:7
	s_waitcnt lgkmcnt(0)
	s_barrier
	s_cbranch_scc1 .LBB63_26
.LBB63_2:                               ; =>This Loop Header: Depth=1
                                        ;     Child Loop BB63_4 Depth 2
                                        ;     Child Loop BB63_16 Depth 2
	s_mov_b64 s[26:27], 0
	s_mov_b32 s34, 0
	v_pk_mov_b32 v[4:5], v[0:1], v[0:1] op_sel:[0,1]
	s_branch .LBB63_4
.LBB63_3:                               ;   in Loop: Header=BB63_4 Depth=2
	s_or_b64 exec, exec, s[30:31]
	s_add_i32 s34, s34, 2
	v_cmp_eq_u32_e64 s[28:29], 8, s34
	v_add_u32_e32 v5, 0x200, v5
	s_or_b64 s[26:27], s[28:29], s[26:27]
	v_add_u32_e32 v4, 0x200, v4
	s_andn2_b64 exec, exec, s[26:27]
	s_cbranch_execz .LBB63_8
.LBB63_4:                               ;   Parent Loop BB63_2 Depth=1
                                        ; =>  This Inner Loop Header: Depth=2
	s_or_b32 s28, s34, 1
	v_cmp_le_u32_e64 s[28:29], s28, 7
	v_cmp_le_u32_e64 s[36:37], s34, 7
	s_and_saveexec_b64 s[30:31], s[36:37]
	s_cbranch_execz .LBB63_6
; %bb.5:                                ;   in Loop: Header=BB63_4 Depth=2
	v_lshlrev_b32_e32 v17, 2, v4
	ds_write_b32 v17, v3
.LBB63_6:                               ;   in Loop: Header=BB63_4 Depth=2
	s_or_b64 exec, exec, s[30:31]
	s_and_saveexec_b64 s[30:31], s[28:29]
	s_cbranch_execz .LBB63_3
; %bb.7:                                ;   in Loop: Header=BB63_4 Depth=2
	v_lshlrev_b32_e32 v17, 2, v5
	ds_write_b32 v17, v3
	s_branch .LBB63_3
.LBB63_8:                               ;   in Loop: Header=BB63_2 Depth=1
	s_or_b64 exec, exec, s[26:27]
	ds_read_u16 v4, v13
	s_waitcnt lgkmcnt(0)
	v_add_u16_e32 v4, 1, v4
	ds_write_b16 v13, v4
	ds_read_u16 v4, v14
	s_waitcnt lgkmcnt(0)
	v_add_u16_e32 v4, 1, v4
	ds_write_b16 v14, v4
	;; [unrolled: 4-line block ×4, first 2 shown]
	s_waitcnt lgkmcnt(0)
	s_barrier
	ds_read2_b32 v[4:5], v6 offset1:1
	ds_read2_b32 v[18:19], v6 offset0:2 offset1:3
	ds_read2_b32 v[20:21], v6 offset0:4 offset1:5
	;; [unrolled: 1-line block ×3, first 2 shown]
	s_waitcnt lgkmcnt(3)
	v_add_u32_e32 v4, v5, v4
	s_waitcnt lgkmcnt(2)
	v_add3_u32 v4, v4, v18, v19
	s_waitcnt lgkmcnt(1)
	v_add3_u32 v4, v4, v20, v21
	;; [unrolled: 2-line block ×3, first 2 shown]
	s_nop 1
	v_mov_b32_dpp v5, v4 row_shr:1 row_mask:0xf bank_mask:0xf
	v_cndmask_b32_e64 v5, v5, 0, s[8:9]
	v_add_u32_e32 v4, v5, v4
	s_nop 1
	v_mov_b32_dpp v5, v4 row_shr:2 row_mask:0xf bank_mask:0xf
	v_cndmask_b32_e64 v5, 0, v5, s[10:11]
	v_add_u32_e32 v4, v4, v5
	;; [unrolled: 4-line block ×4, first 2 shown]
	s_nop 1
	v_mov_b32_dpp v5, v4 row_bcast:15 row_mask:0xf bank_mask:0xf
	v_cndmask_b32_e64 v5, v5, 0, s[16:17]
	v_add_u32_e32 v4, v4, v5
	s_nop 1
	v_mov_b32_dpp v5, v4 row_bcast:31 row_mask:0xf bank_mask:0xf
	v_cndmask_b32_e64 v5, 0, v5, s[2:3]
	v_add_u32_e32 v4, v4, v5
	s_and_saveexec_b64 s[26:27], s[4:5]
	s_cbranch_execz .LBB63_10
; %bb.9:                                ;   in Loop: Header=BB63_2 Depth=1
	ds_write_b32 v7, v4 offset:8192
.LBB63_10:                              ;   in Loop: Header=BB63_2 Depth=1
	s_or_b64 exec, exec, s[26:27]
	s_waitcnt lgkmcnt(0)
	s_barrier
	s_and_saveexec_b64 s[26:27], vcc
	s_cbranch_execz .LBB63_12
; %bb.11:                               ;   in Loop: Header=BB63_2 Depth=1
	ds_read_b32 v5, v2 offset:8192
	s_waitcnt lgkmcnt(0)
	s_nop 0
	v_mov_b32_dpp v17, v5 row_shr:1 row_mask:0xf bank_mask:0xf
	v_cndmask_b32_e64 v17, v17, 0, s[18:19]
	v_add_u32_e32 v5, v17, v5
	s_nop 1
	v_mov_b32_dpp v17, v5 row_shr:2 row_mask:0xf bank_mask:0xf
	v_cndmask_b32_e64 v17, 0, v17, s[20:21]
	v_add_u32_e32 v5, v5, v17
	ds_write_b32 v2, v5 offset:8192
.LBB63_12:                              ;   in Loop: Header=BB63_2 Depth=1
	s_or_b64 exec, exec, s[26:27]
	v_mov_b32_e32 v5, 0
	s_waitcnt lgkmcnt(0)
	s_barrier
	s_and_saveexec_b64 s[26:27], s[0:1]
	s_cbranch_execz .LBB63_14
; %bb.13:                               ;   in Loop: Header=BB63_2 Depth=1
	ds_read_b32 v5, v7 offset:8188
.LBB63_14:                              ;   in Loop: Header=BB63_2 Depth=1
	s_or_b64 exec, exec, s[26:27]
	s_waitcnt lgkmcnt(0)
	v_add_u32_e32 v4, v5, v4
	ds_bpermute_b32 v4, v8, v4
	ds_read_b32 v17, v3 offset:8204
	s_mov_b32 s34, 0
	s_mov_b64 s[26:27], 0
	s_waitcnt lgkmcnt(1)
	v_cndmask_b32_e64 v18, v4, v5, s[6:7]
	ds_read2_b32 v[4:5], v6 offset1:1
	s_waitcnt lgkmcnt(1)
	v_lshl_add_u32 v17, v17, 16, v18
	ds_read2_b32 v[18:19], v6 offset0:2 offset1:3
	ds_read2_b32 v[20:21], v6 offset0:4 offset1:5
	ds_read_b32 v22, v6 offset:24
	s_waitcnt lgkmcnt(3)
	v_add_u32_e32 v4, v17, v4
	ds_write2_b32 v6, v17, v4 offset1:1
	v_add_u32_e32 v4, v5, v4
	s_waitcnt lgkmcnt(3)
	v_add_u32_e32 v5, v18, v4
	ds_write2_b32 v6, v4, v5 offset0:2 offset1:3
	v_add_u32_e32 v4, v19, v5
	s_waitcnt lgkmcnt(3)
	v_add_u32_e32 v5, v20, v4
	ds_write2_b32 v6, v4, v5 offset0:4 offset1:5
	;; [unrolled: 4-line block ×3, first 2 shown]
	v_pk_mov_b32 v[4:5], v[0:1], v[0:1] op_sel:[0,1]
	s_waitcnt lgkmcnt(0)
	s_barrier
	s_branch .LBB63_16
.LBB63_15:                              ;   in Loop: Header=BB63_16 Depth=2
	s_or_b64 exec, exec, s[30:31]
	s_add_i32 s34, s34, 2
	v_cmp_eq_u32_e64 s[28:29], 8, s34
	v_add_u32_e32 v5, 0x200, v5
	s_or_b64 s[26:27], s[28:29], s[26:27]
	v_add_u32_e32 v4, 0x200, v4
	s_andn2_b64 exec, exec, s[26:27]
	s_cbranch_execz .LBB63_20
.LBB63_16:                              ;   Parent Loop BB63_2 Depth=1
                                        ; =>  This Inner Loop Header: Depth=2
	s_or_b32 s28, s34, 1
	v_cmp_le_u32_e64 s[28:29], s28, 7
	v_cmp_le_u32_e64 s[36:37], s34, 7
	s_and_saveexec_b64 s[30:31], s[36:37]
	s_cbranch_execz .LBB63_18
; %bb.17:                               ;   in Loop: Header=BB63_16 Depth=2
	v_lshlrev_b32_e32 v17, 2, v4
	ds_write_b32 v17, v3
.LBB63_18:                              ;   in Loop: Header=BB63_16 Depth=2
	s_or_b64 exec, exec, s[30:31]
	s_and_saveexec_b64 s[30:31], s[28:29]
	s_cbranch_execz .LBB63_15
; %bb.19:                               ;   in Loop: Header=BB63_16 Depth=2
	v_lshlrev_b32_e32 v17, 2, v5
	ds_write_b32 v17, v3
	s_branch .LBB63_15
.LBB63_20:                              ;   in Loop: Header=BB63_2 Depth=1
	s_or_b64 exec, exec, s[26:27]
	ds_read_u16 v4, v9
	s_waitcnt lgkmcnt(0)
	v_add_u16_e32 v5, 1, v4
	ds_write_b16 v9, v5
	ds_read_u16 v5, v10
	s_waitcnt lgkmcnt(0)
	v_add_u16_e32 v17, 1, v5
	ds_write_b16 v10, v17
	;; [unrolled: 4-line block ×4, first 2 shown]
	s_waitcnt lgkmcnt(0)
	s_barrier
	ds_read2_b32 v[20:21], v6 offset1:1
	ds_read2_b32 v[22:23], v6 offset0:2 offset1:3
	ds_read2_b32 v[24:25], v6 offset0:4 offset1:5
	;; [unrolled: 1-line block ×3, first 2 shown]
	s_waitcnt lgkmcnt(3)
	v_add_u32_e32 v19, v21, v20
	s_waitcnt lgkmcnt(2)
	v_add3_u32 v19, v19, v22, v23
	s_waitcnt lgkmcnt(1)
	v_add3_u32 v19, v19, v24, v25
	;; [unrolled: 2-line block ×3, first 2 shown]
	s_nop 1
	v_mov_b32_dpp v20, v19 row_shr:1 row_mask:0xf bank_mask:0xf
	v_cndmask_b32_e64 v20, v20, 0, s[8:9]
	v_add_u32_e32 v19, v20, v19
	s_nop 1
	v_mov_b32_dpp v20, v19 row_shr:2 row_mask:0xf bank_mask:0xf
	v_cndmask_b32_e64 v20, 0, v20, s[10:11]
	v_add_u32_e32 v19, v19, v20
	;; [unrolled: 4-line block ×4, first 2 shown]
	s_nop 1
	v_mov_b32_dpp v20, v19 row_bcast:15 row_mask:0xf bank_mask:0xf
	v_cndmask_b32_e64 v20, v20, 0, s[16:17]
	v_add_u32_e32 v19, v19, v20
	s_nop 1
	v_mov_b32_dpp v20, v19 row_bcast:31 row_mask:0xf bank_mask:0xf
	v_cndmask_b32_e64 v20, 0, v20, s[2:3]
	v_add_u32_e32 v19, v19, v20
	s_and_saveexec_b64 s[26:27], s[4:5]
	s_cbranch_execz .LBB63_22
; %bb.21:                               ;   in Loop: Header=BB63_2 Depth=1
	ds_write_b32 v7, v19 offset:8192
.LBB63_22:                              ;   in Loop: Header=BB63_2 Depth=1
	s_or_b64 exec, exec, s[26:27]
	s_waitcnt lgkmcnt(0)
	s_barrier
	s_and_saveexec_b64 s[26:27], vcc
	s_cbranch_execz .LBB63_24
; %bb.23:                               ;   in Loop: Header=BB63_2 Depth=1
	ds_read_b32 v20, v2 offset:8192
	s_waitcnt lgkmcnt(0)
	s_nop 0
	v_mov_b32_dpp v21, v20 row_shr:1 row_mask:0xf bank_mask:0xf
	v_cndmask_b32_e64 v21, v21, 0, s[18:19]
	v_add_u32_e32 v20, v21, v20
	s_nop 1
	v_mov_b32_dpp v21, v20 row_shr:2 row_mask:0xf bank_mask:0xf
	v_cndmask_b32_e64 v21, 0, v21, s[20:21]
	v_add_u32_e32 v20, v20, v21
	ds_write_b32 v2, v20 offset:8192
.LBB63_24:                              ;   in Loop: Header=BB63_2 Depth=1
	s_or_b64 exec, exec, s[26:27]
	v_mov_b32_e32 v20, 0
	s_waitcnt lgkmcnt(0)
	s_barrier
	s_and_saveexec_b64 s[26:27], s[0:1]
	s_cbranch_execz .LBB63_1
; %bb.25:                               ;   in Loop: Header=BB63_2 Depth=1
	ds_read_b32 v20, v7 offset:8188
	s_branch .LBB63_1
.LBB63_26:
	ds_read_u16 v0, v9
	ds_read_u16 v1, v10
	;; [unrolled: 1-line block ×4, first 2 shown]
	s_lshl_b64 s[0:1], s[24:25], 2
	s_add_u32 s0, s22, s0
	s_waitcnt lgkmcnt(3)
	v_add_u32_sdwa v4, v0, v4 dst_sel:DWORD dst_unused:UNUSED_PAD src0_sel:DWORD src1_sel:WORD_0
	s_waitcnt lgkmcnt(2)
	v_add_u32_sdwa v5, v1, v5 dst_sel:DWORD dst_unused:UNUSED_PAD src0_sel:DWORD src1_sel:WORD_0
	;; [unrolled: 2-line block ×4, first 2 shown]
	s_addc_u32 s1, s23, s1
	v_lshlrev_b32_e32 v0, 2, v2
	global_store_dwordx4 v0, v[4:7], s[0:1]
	s_endpgm
	.section	.rodata,"a",@progbits
	.p2align	6, 0x0
	.amdhsa_kernel _Z11rank_kernelIhLj4ELb0EL18RadixRankAlgorithm0ELj256ELj4ELj10EEvPKT_Pi
		.amdhsa_group_segment_fixed_size 8208
		.amdhsa_private_segment_fixed_size 0
		.amdhsa_kernarg_size 16
		.amdhsa_user_sgpr_count 6
		.amdhsa_user_sgpr_private_segment_buffer 1
		.amdhsa_user_sgpr_dispatch_ptr 0
		.amdhsa_user_sgpr_queue_ptr 0
		.amdhsa_user_sgpr_kernarg_segment_ptr 1
		.amdhsa_user_sgpr_dispatch_id 0
		.amdhsa_user_sgpr_flat_scratch_init 0
		.amdhsa_user_sgpr_kernarg_preload_length 0
		.amdhsa_user_sgpr_kernarg_preload_offset 0
		.amdhsa_user_sgpr_private_segment_size 0
		.amdhsa_uses_dynamic_stack 0
		.amdhsa_system_sgpr_private_segment_wavefront_offset 0
		.amdhsa_system_sgpr_workgroup_id_x 1
		.amdhsa_system_sgpr_workgroup_id_y 0
		.amdhsa_system_sgpr_workgroup_id_z 0
		.amdhsa_system_sgpr_workgroup_info 0
		.amdhsa_system_vgpr_workitem_id 0
		.amdhsa_next_free_vgpr 28
		.amdhsa_next_free_sgpr 38
		.amdhsa_accum_offset 28
		.amdhsa_reserve_vcc 1
		.amdhsa_reserve_flat_scratch 0
		.amdhsa_float_round_mode_32 0
		.amdhsa_float_round_mode_16_64 0
		.amdhsa_float_denorm_mode_32 3
		.amdhsa_float_denorm_mode_16_64 3
		.amdhsa_dx10_clamp 1
		.amdhsa_ieee_mode 1
		.amdhsa_fp16_overflow 0
		.amdhsa_tg_split 0
		.amdhsa_exception_fp_ieee_invalid_op 0
		.amdhsa_exception_fp_denorm_src 0
		.amdhsa_exception_fp_ieee_div_zero 0
		.amdhsa_exception_fp_ieee_overflow 0
		.amdhsa_exception_fp_ieee_underflow 0
		.amdhsa_exception_fp_ieee_inexact 0
		.amdhsa_exception_int_div_zero 0
	.end_amdhsa_kernel
	.section	.text._Z11rank_kernelIhLj4ELb0EL18RadixRankAlgorithm0ELj256ELj4ELj10EEvPKT_Pi,"axG",@progbits,_Z11rank_kernelIhLj4ELb0EL18RadixRankAlgorithm0ELj256ELj4ELj10EEvPKT_Pi,comdat
.Lfunc_end63:
	.size	_Z11rank_kernelIhLj4ELb0EL18RadixRankAlgorithm0ELj256ELj4ELj10EEvPKT_Pi, .Lfunc_end63-_Z11rank_kernelIhLj4ELb0EL18RadixRankAlgorithm0ELj256ELj4ELj10EEvPKT_Pi
                                        ; -- End function
	.section	.AMDGPU.csdata,"",@progbits
; Kernel info:
; codeLenInByte = 2104
; NumSgprs: 42
; NumVgprs: 28
; NumAgprs: 0
; TotalNumVgprs: 28
; ScratchSize: 0
; MemoryBound: 0
; FloatMode: 240
; IeeeMode: 1
; LDSByteSize: 8208 bytes/workgroup (compile time only)
; SGPRBlocks: 5
; VGPRBlocks: 3
; NumSGPRsForWavesPerEU: 42
; NumVGPRsForWavesPerEU: 28
; AccumOffset: 28
; Occupancy: 7
; WaveLimiterHint : 0
; COMPUTE_PGM_RSRC2:SCRATCH_EN: 0
; COMPUTE_PGM_RSRC2:USER_SGPR: 6
; COMPUTE_PGM_RSRC2:TRAP_HANDLER: 0
; COMPUTE_PGM_RSRC2:TGID_X_EN: 1
; COMPUTE_PGM_RSRC2:TGID_Y_EN: 0
; COMPUTE_PGM_RSRC2:TGID_Z_EN: 0
; COMPUTE_PGM_RSRC2:TIDIG_COMP_CNT: 0
; COMPUTE_PGM_RSRC3_GFX90A:ACCUM_OFFSET: 6
; COMPUTE_PGM_RSRC3_GFX90A:TG_SPLIT: 0
	.section	.text._Z11rank_kernelIhLj4ELb0EL18RadixRankAlgorithm1ELj256ELj4ELj10EEvPKT_Pi,"axG",@progbits,_Z11rank_kernelIhLj4ELb0EL18RadixRankAlgorithm1ELj256ELj4ELj10EEvPKT_Pi,comdat
	.protected	_Z11rank_kernelIhLj4ELb0EL18RadixRankAlgorithm1ELj256ELj4ELj10EEvPKT_Pi ; -- Begin function _Z11rank_kernelIhLj4ELb0EL18RadixRankAlgorithm1ELj256ELj4ELj10EEvPKT_Pi
	.globl	_Z11rank_kernelIhLj4ELb0EL18RadixRankAlgorithm1ELj256ELj4ELj10EEvPKT_Pi
	.p2align	8
	.type	_Z11rank_kernelIhLj4ELb0EL18RadixRankAlgorithm1ELj256ELj4ELj10EEvPKT_Pi,@function
_Z11rank_kernelIhLj4ELb0EL18RadixRankAlgorithm1ELj256ELj4ELj10EEvPKT_Pi: ; @_Z11rank_kernelIhLj4ELb0EL18RadixRankAlgorithm1ELj256ELj4ELj10EEvPKT_Pi
; %bb.0:
	s_load_dwordx4 s[20:23], s[4:5], 0x0
	s_lshl_b32 s24, s6, 10
	v_lshlrev_b32_e32 v2, 2, v0
	v_mbcnt_lo_u32_b32 v1, -1, 0
	v_mbcnt_hi_u32_b32 v5, -1, v1
	s_waitcnt lgkmcnt(0)
	s_add_u32 s0, s20, s24
	s_addc_u32 s1, s21, 0
	global_load_dword v4, v2, s[0:1]
	v_or_b32_e32 v6, 63, v0
	v_cmp_eq_u32_e64 s[4:5], v6, v0
	v_add_u32_e32 v6, -1, v5
	v_and_b32_e32 v10, 64, v5
	v_lshrrev_b32_e32 v7, 4, v0
	v_cmp_lt_i32_e64 s[18:19], v6, v10
	s_movk_i32 s26, 0x700
	v_and_b32_e32 v8, 15, v5
	v_and_b32_e32 v9, 16, v5
	v_cmp_lt_u32_e64 s[2:3], 31, v5
	v_cmp_eq_u32_e64 s[6:7], 0, v5
	v_and_b32_e32 v13, 12, v7
	v_and_b32_e32 v7, 3, v5
	v_cndmask_b32_e64 v5, v6, v5, s[18:19]
	v_cmp_eq_u32_e64 s[8:9], 0, v8
	v_cmp_lt_u32_e64 s[10:11], 1, v8
	v_cmp_lt_u32_e64 s[12:13], 3, v8
	;; [unrolled: 1-line block ×3, first 2 shown]
	v_cmp_eq_u32_e64 s[16:17], 0, v9
	v_cmp_eq_u32_e64 s[18:19], 0, v7
	v_cmp_lt_u32_e64 s[20:21], 1, v7
	v_lshlrev_b32_e32 v14, 2, v5
	s_mov_b32 s25, 0
	v_mov_b32_e32 v3, 0
	v_lshlrev_b32_e32 v12, 5, v0
	v_cmp_gt_u32_e32 vcc, 4, v0
	v_cmp_lt_u32_e64 s[0:1], 63, v0
	v_or_b32_e32 v1, 0x100, v0
	s_mov_b32 s33, s25
	s_waitcnt vmcnt(0)
	v_lshrrev_b32_e32 v22, 20, v4
	v_lshrrev_b32_e32 v5, 16, v4
	;; [unrolled: 1-line block ×3, first 2 shown]
	v_lshlrev_b32_e32 v7, 4, v4
	v_lshrrev_b32_e32 v8, 6, v4
	v_lshlrev_b32_e32 v9, 8, v4
	v_lshrrev_b32_e32 v10, 2, v4
	v_lshrrev_b32_e32 v15, 10, v4
	;; [unrolled: 1-line block ×8, first 2 shown]
	v_and_or_b32 v27, v22, s26, v0
	v_and_or_b32 v11, v4, s26, v0
	;; [unrolled: 1-line block ×3, first 2 shown]
	v_and_b32_e32 v8, 2, v8
	v_and_or_b32 v9, v9, s26, v0
	v_and_b32_e32 v10, 2, v10
	v_and_b32_e32 v23, 2, v15
	v_and_or_b32 v6, v6, s26, v0
	v_and_b32_e32 v16, 2, v16
	v_and_or_b32 v5, v5, s26, v0
	;; [unrolled: 2-line block ×4, first 2 shown]
	v_and_b32_e32 v26, 2, v21
	v_alignbit_b32 v4, v27, v4, 30
	v_lshl_or_b32 v15, v7, 2, v8
	v_lshl_or_b32 v19, v9, 2, v10
	;; [unrolled: 1-line block ×7, first 2 shown]
	v_and_b32_e32 v18, 0x1ffe, v4
	s_branch .LBB64_2
.LBB64_1:                               ;   in Loop: Header=BB64_2 Depth=1
	s_or_b64 exec, exec, s[26:27]
	s_waitcnt lgkmcnt(0)
	v_add_u32_e32 v5, v27, v5
	ds_bpermute_b32 v5, v14, v5
	ds_read_b32 v28, v3 offset:8204
	s_add_i32 s33, s33, 1
	s_cmp_eq_u32 s33, 10
	s_waitcnt lgkmcnt(1)
	v_cndmask_b32_e64 v5, v5, v27, s[6:7]
	s_waitcnt lgkmcnt(0)
	v_lshl_add_u32 v5, v28, 16, v5
	v_add_u32_e32 v10, v5, v10
	v_add_u32_e32 v11, v10, v11
	ds_write2_b32 v12, v5, v10 offset1:1
	v_add_u32_e32 v5, v11, v8
	v_add_u32_e32 v8, v5, v9
	ds_write2_b32 v12, v11, v5 offset0:2 offset1:3
	v_add_u32_e32 v5, v8, v6
	v_add_u32_e32 v6, v5, v7
	;; [unrolled: 1-line block ×3, first 2 shown]
	ds_write2_b32 v12, v8, v5 offset0:4 offset1:5
	ds_write2_b32 v12, v6, v4 offset0:6 offset1:7
	s_waitcnt lgkmcnt(0)
	s_barrier
	s_cbranch_scc1 .LBB64_26
.LBB64_2:                               ; =>This Loop Header: Depth=1
                                        ;     Child Loop BB64_4 Depth 2
                                        ;     Child Loop BB64_16 Depth 2
	s_mov_b64 s[26:27], 0
	s_mov_b32 s34, 0
	v_pk_mov_b32 v[4:5], v[0:1], v[0:1] op_sel:[0,1]
	s_branch .LBB64_4
.LBB64_3:                               ;   in Loop: Header=BB64_4 Depth=2
	s_or_b64 exec, exec, s[30:31]
	s_add_i32 s34, s34, 2
	v_cmp_eq_u32_e64 s[28:29], 8, s34
	v_add_u32_e32 v5, 0x200, v5
	s_or_b64 s[26:27], s[28:29], s[26:27]
	v_add_u32_e32 v4, 0x200, v4
	s_andn2_b64 exec, exec, s[26:27]
	s_cbranch_execz .LBB64_8
.LBB64_4:                               ;   Parent Loop BB64_2 Depth=1
                                        ; =>  This Inner Loop Header: Depth=2
	s_or_b32 s28, s34, 1
	v_cmp_le_u32_e64 s[28:29], s28, 7
	v_cmp_le_u32_e64 s[36:37], s34, 7
	s_and_saveexec_b64 s[30:31], s[36:37]
	s_cbranch_execz .LBB64_6
; %bb.5:                                ;   in Loop: Header=BB64_4 Depth=2
	v_lshlrev_b32_e32 v6, 2, v4
	ds_write_b32 v6, v3
.LBB64_6:                               ;   in Loop: Header=BB64_4 Depth=2
	s_or_b64 exec, exec, s[30:31]
	s_and_saveexec_b64 s[30:31], s[28:29]
	s_cbranch_execz .LBB64_3
; %bb.7:                                ;   in Loop: Header=BB64_4 Depth=2
	v_lshlrev_b32_e32 v6, 2, v5
	ds_write_b32 v6, v3
	s_branch .LBB64_3
.LBB64_8:                               ;   in Loop: Header=BB64_2 Depth=1
	s_or_b64 exec, exec, s[26:27]
	ds_read_u16 v4, v19
	s_waitcnt lgkmcnt(0)
	v_add_u16_e32 v4, 1, v4
	ds_write_b16 v19, v4
	ds_read_u16 v4, v20
	s_waitcnt lgkmcnt(0)
	v_add_u16_e32 v4, 1, v4
	ds_write_b16 v20, v4
	;; [unrolled: 4-line block ×4, first 2 shown]
	s_waitcnt lgkmcnt(0)
	s_barrier
	ds_read2_b32 v[10:11], v12 offset1:1
	ds_read2_b32 v[8:9], v12 offset0:2 offset1:3
	ds_read2_b32 v[6:7], v12 offset0:4 offset1:5
	ds_read2_b32 v[4:5], v12 offset0:6 offset1:7
	s_waitcnt lgkmcnt(3)
	v_add_u32_e32 v23, v11, v10
	s_waitcnt lgkmcnt(2)
	v_add3_u32 v23, v23, v8, v9
	s_waitcnt lgkmcnt(1)
	v_add3_u32 v23, v23, v6, v7
	;; [unrolled: 2-line block ×3, first 2 shown]
	s_nop 1
	v_mov_b32_dpp v23, v5 row_shr:1 row_mask:0xf bank_mask:0xf
	v_cndmask_b32_e64 v23, v23, 0, s[8:9]
	v_add_u32_e32 v5, v23, v5
	s_nop 1
	v_mov_b32_dpp v23, v5 row_shr:2 row_mask:0xf bank_mask:0xf
	v_cndmask_b32_e64 v23, 0, v23, s[10:11]
	v_add_u32_e32 v5, v5, v23
	;; [unrolled: 4-line block ×4, first 2 shown]
	s_nop 1
	v_mov_b32_dpp v23, v5 row_bcast:15 row_mask:0xf bank_mask:0xf
	v_cndmask_b32_e64 v23, v23, 0, s[16:17]
	v_add_u32_e32 v5, v5, v23
	s_nop 1
	v_mov_b32_dpp v23, v5 row_bcast:31 row_mask:0xf bank_mask:0xf
	v_cndmask_b32_e64 v23, 0, v23, s[2:3]
	v_add_u32_e32 v5, v5, v23
	s_and_saveexec_b64 s[26:27], s[4:5]
	s_cbranch_execz .LBB64_10
; %bb.9:                                ;   in Loop: Header=BB64_2 Depth=1
	ds_write_b32 v13, v5 offset:8192
.LBB64_10:                              ;   in Loop: Header=BB64_2 Depth=1
	s_or_b64 exec, exec, s[26:27]
	s_waitcnt lgkmcnt(0)
	s_barrier
	s_and_saveexec_b64 s[26:27], vcc
	s_cbranch_execz .LBB64_12
; %bb.11:                               ;   in Loop: Header=BB64_2 Depth=1
	ds_read_b32 v23, v2 offset:8192
	s_waitcnt lgkmcnt(0)
	s_nop 0
	v_mov_b32_dpp v24, v23 row_shr:1 row_mask:0xf bank_mask:0xf
	v_cndmask_b32_e64 v24, v24, 0, s[18:19]
	v_add_u32_e32 v23, v24, v23
	s_nop 1
	v_mov_b32_dpp v24, v23 row_shr:2 row_mask:0xf bank_mask:0xf
	v_cndmask_b32_e64 v24, 0, v24, s[20:21]
	v_add_u32_e32 v23, v23, v24
	ds_write_b32 v2, v23 offset:8192
.LBB64_12:                              ;   in Loop: Header=BB64_2 Depth=1
	s_or_b64 exec, exec, s[26:27]
	v_mov_b32_e32 v23, 0
	s_waitcnt lgkmcnt(0)
	s_barrier
	s_and_saveexec_b64 s[26:27], s[0:1]
	s_cbranch_execz .LBB64_14
; %bb.13:                               ;   in Loop: Header=BB64_2 Depth=1
	ds_read_b32 v23, v13 offset:8188
.LBB64_14:                              ;   in Loop: Header=BB64_2 Depth=1
	s_or_b64 exec, exec, s[26:27]
	s_waitcnt lgkmcnt(0)
	v_add_u32_e32 v5, v23, v5
	ds_bpermute_b32 v5, v14, v5
	ds_read_b32 v24, v3 offset:8204
	s_mov_b32 s34, 0
	s_mov_b64 s[26:27], 0
	s_waitcnt lgkmcnt(1)
	v_cndmask_b32_e64 v5, v5, v23, s[6:7]
	s_waitcnt lgkmcnt(0)
	v_lshl_add_u32 v5, v24, 16, v5
	v_add_u32_e32 v10, v5, v10
	v_add_u32_e32 v11, v10, v11
	ds_write2_b32 v12, v5, v10 offset1:1
	v_add_u32_e32 v5, v11, v8
	v_add_u32_e32 v8, v5, v9
	ds_write2_b32 v12, v11, v5 offset0:2 offset1:3
	v_add_u32_e32 v5, v8, v6
	v_add_u32_e32 v6, v5, v7
	;; [unrolled: 1-line block ×3, first 2 shown]
	ds_write2_b32 v12, v8, v5 offset0:4 offset1:5
	ds_write2_b32 v12, v6, v4 offset0:6 offset1:7
	v_pk_mov_b32 v[4:5], v[0:1], v[0:1] op_sel:[0,1]
	s_waitcnt lgkmcnt(0)
	s_barrier
	s_branch .LBB64_16
.LBB64_15:                              ;   in Loop: Header=BB64_16 Depth=2
	s_or_b64 exec, exec, s[30:31]
	s_add_i32 s34, s34, 2
	v_cmp_eq_u32_e64 s[28:29], 8, s34
	v_add_u32_e32 v5, 0x200, v5
	s_or_b64 s[26:27], s[28:29], s[26:27]
	v_add_u32_e32 v4, 0x200, v4
	s_andn2_b64 exec, exec, s[26:27]
	s_cbranch_execz .LBB64_20
.LBB64_16:                              ;   Parent Loop BB64_2 Depth=1
                                        ; =>  This Inner Loop Header: Depth=2
	s_or_b32 s28, s34, 1
	v_cmp_le_u32_e64 s[28:29], s28, 7
	v_cmp_le_u32_e64 s[36:37], s34, 7
	s_and_saveexec_b64 s[30:31], s[36:37]
	s_cbranch_execz .LBB64_18
; %bb.17:                               ;   in Loop: Header=BB64_16 Depth=2
	v_lshlrev_b32_e32 v6, 2, v4
	ds_write_b32 v6, v3
.LBB64_18:                              ;   in Loop: Header=BB64_16 Depth=2
	s_or_b64 exec, exec, s[30:31]
	s_and_saveexec_b64 s[30:31], s[28:29]
	s_cbranch_execz .LBB64_15
; %bb.19:                               ;   in Loop: Header=BB64_16 Depth=2
	v_lshlrev_b32_e32 v6, 2, v5
	ds_write_b32 v6, v3
	s_branch .LBB64_15
.LBB64_20:                              ;   in Loop: Header=BB64_2 Depth=1
	s_or_b64 exec, exec, s[26:27]
	ds_read_u16 v23, v15
	s_waitcnt lgkmcnt(0)
	v_add_u16_e32 v4, 1, v23
	ds_write_b16 v15, v4
	ds_read_u16 v24, v16
	s_waitcnt lgkmcnt(0)
	v_add_u16_e32 v4, 1, v24
	ds_write_b16 v16, v4
	ds_read_u16 v25, v17
	s_waitcnt lgkmcnt(0)
	v_add_u16_e32 v4, 1, v25
	ds_write_b16 v17, v4
	ds_read_u16 v26, v18
	s_waitcnt lgkmcnt(0)
	v_add_u16_e32 v4, 1, v26
	ds_write_b16 v18, v4
	s_waitcnt lgkmcnt(0)
	s_barrier
	ds_read2_b32 v[10:11], v12 offset1:1
	ds_read2_b32 v[8:9], v12 offset0:2 offset1:3
	ds_read2_b32 v[6:7], v12 offset0:4 offset1:5
	;; [unrolled: 1-line block ×3, first 2 shown]
	s_waitcnt lgkmcnt(3)
	v_add_u32_e32 v27, v11, v10
	s_waitcnt lgkmcnt(2)
	v_add3_u32 v27, v27, v8, v9
	s_waitcnt lgkmcnt(1)
	v_add3_u32 v27, v27, v6, v7
	;; [unrolled: 2-line block ×3, first 2 shown]
	s_nop 1
	v_mov_b32_dpp v27, v5 row_shr:1 row_mask:0xf bank_mask:0xf
	v_cndmask_b32_e64 v27, v27, 0, s[8:9]
	v_add_u32_e32 v5, v27, v5
	s_nop 1
	v_mov_b32_dpp v27, v5 row_shr:2 row_mask:0xf bank_mask:0xf
	v_cndmask_b32_e64 v27, 0, v27, s[10:11]
	v_add_u32_e32 v5, v5, v27
	s_nop 1
	v_mov_b32_dpp v27, v5 row_shr:4 row_mask:0xf bank_mask:0xf
	v_cndmask_b32_e64 v27, 0, v27, s[12:13]
	v_add_u32_e32 v5, v5, v27
	s_nop 1
	v_mov_b32_dpp v27, v5 row_shr:8 row_mask:0xf bank_mask:0xf
	v_cndmask_b32_e64 v27, 0, v27, s[14:15]
	v_add_u32_e32 v5, v5, v27
	s_nop 1
	v_mov_b32_dpp v27, v5 row_bcast:15 row_mask:0xf bank_mask:0xf
	v_cndmask_b32_e64 v27, v27, 0, s[16:17]
	v_add_u32_e32 v5, v5, v27
	s_nop 1
	v_mov_b32_dpp v27, v5 row_bcast:31 row_mask:0xf bank_mask:0xf
	v_cndmask_b32_e64 v27, 0, v27, s[2:3]
	v_add_u32_e32 v5, v5, v27
	s_and_saveexec_b64 s[26:27], s[4:5]
	s_cbranch_execz .LBB64_22
; %bb.21:                               ;   in Loop: Header=BB64_2 Depth=1
	ds_write_b32 v13, v5 offset:8192
.LBB64_22:                              ;   in Loop: Header=BB64_2 Depth=1
	s_or_b64 exec, exec, s[26:27]
	s_waitcnt lgkmcnt(0)
	s_barrier
	s_and_saveexec_b64 s[26:27], vcc
	s_cbranch_execz .LBB64_24
; %bb.23:                               ;   in Loop: Header=BB64_2 Depth=1
	ds_read_b32 v27, v2 offset:8192
	s_waitcnt lgkmcnt(0)
	s_nop 0
	v_mov_b32_dpp v28, v27 row_shr:1 row_mask:0xf bank_mask:0xf
	v_cndmask_b32_e64 v28, v28, 0, s[18:19]
	v_add_u32_e32 v27, v28, v27
	s_nop 1
	v_mov_b32_dpp v28, v27 row_shr:2 row_mask:0xf bank_mask:0xf
	v_cndmask_b32_e64 v28, 0, v28, s[20:21]
	v_add_u32_e32 v27, v27, v28
	ds_write_b32 v2, v27 offset:8192
.LBB64_24:                              ;   in Loop: Header=BB64_2 Depth=1
	s_or_b64 exec, exec, s[26:27]
	v_mov_b32_e32 v27, 0
	s_waitcnt lgkmcnt(0)
	s_barrier
	s_and_saveexec_b64 s[26:27], s[0:1]
	s_cbranch_execz .LBB64_1
; %bb.25:                               ;   in Loop: Header=BB64_2 Depth=1
	ds_read_b32 v27, v13 offset:8188
	s_branch .LBB64_1
.LBB64_26:
	ds_read_u16 v0, v15
	ds_read_u16 v1, v16
	;; [unrolled: 1-line block ×4, first 2 shown]
	s_lshl_b64 s[0:1], s[24:25], 2
	s_add_u32 s0, s22, s0
	s_waitcnt lgkmcnt(3)
	v_add_u32_sdwa v4, v0, v23 dst_sel:DWORD dst_unused:UNUSED_PAD src0_sel:DWORD src1_sel:WORD_0
	s_waitcnt lgkmcnt(2)
	v_add_u32_sdwa v5, v1, v24 dst_sel:DWORD dst_unused:UNUSED_PAD src0_sel:DWORD src1_sel:WORD_0
	;; [unrolled: 2-line block ×4, first 2 shown]
	s_addc_u32 s1, s23, s1
	v_lshlrev_b32_e32 v0, 2, v2
	global_store_dwordx4 v0, v[4:7], s[0:1]
	s_endpgm
	.section	.rodata,"a",@progbits
	.p2align	6, 0x0
	.amdhsa_kernel _Z11rank_kernelIhLj4ELb0EL18RadixRankAlgorithm1ELj256ELj4ELj10EEvPKT_Pi
		.amdhsa_group_segment_fixed_size 8208
		.amdhsa_private_segment_fixed_size 0
		.amdhsa_kernarg_size 16
		.amdhsa_user_sgpr_count 6
		.amdhsa_user_sgpr_private_segment_buffer 1
		.amdhsa_user_sgpr_dispatch_ptr 0
		.amdhsa_user_sgpr_queue_ptr 0
		.amdhsa_user_sgpr_kernarg_segment_ptr 1
		.amdhsa_user_sgpr_dispatch_id 0
		.amdhsa_user_sgpr_flat_scratch_init 0
		.amdhsa_user_sgpr_kernarg_preload_length 0
		.amdhsa_user_sgpr_kernarg_preload_offset 0
		.amdhsa_user_sgpr_private_segment_size 0
		.amdhsa_uses_dynamic_stack 0
		.amdhsa_system_sgpr_private_segment_wavefront_offset 0
		.amdhsa_system_sgpr_workgroup_id_x 1
		.amdhsa_system_sgpr_workgroup_id_y 0
		.amdhsa_system_sgpr_workgroup_id_z 0
		.amdhsa_system_sgpr_workgroup_info 0
		.amdhsa_system_vgpr_workitem_id 0
		.amdhsa_next_free_vgpr 29
		.amdhsa_next_free_sgpr 38
		.amdhsa_accum_offset 32
		.amdhsa_reserve_vcc 1
		.amdhsa_reserve_flat_scratch 0
		.amdhsa_float_round_mode_32 0
		.amdhsa_float_round_mode_16_64 0
		.amdhsa_float_denorm_mode_32 3
		.amdhsa_float_denorm_mode_16_64 3
		.amdhsa_dx10_clamp 1
		.amdhsa_ieee_mode 1
		.amdhsa_fp16_overflow 0
		.amdhsa_tg_split 0
		.amdhsa_exception_fp_ieee_invalid_op 0
		.amdhsa_exception_fp_denorm_src 0
		.amdhsa_exception_fp_ieee_div_zero 0
		.amdhsa_exception_fp_ieee_overflow 0
		.amdhsa_exception_fp_ieee_underflow 0
		.amdhsa_exception_fp_ieee_inexact 0
		.amdhsa_exception_int_div_zero 0
	.end_amdhsa_kernel
	.section	.text._Z11rank_kernelIhLj4ELb0EL18RadixRankAlgorithm1ELj256ELj4ELj10EEvPKT_Pi,"axG",@progbits,_Z11rank_kernelIhLj4ELb0EL18RadixRankAlgorithm1ELj256ELj4ELj10EEvPKT_Pi,comdat
.Lfunc_end64:
	.size	_Z11rank_kernelIhLj4ELb0EL18RadixRankAlgorithm1ELj256ELj4ELj10EEvPKT_Pi, .Lfunc_end64-_Z11rank_kernelIhLj4ELb0EL18RadixRankAlgorithm1ELj256ELj4ELj10EEvPKT_Pi
                                        ; -- End function
	.section	.AMDGPU.csdata,"",@progbits
; Kernel info:
; codeLenInByte = 2008
; NumSgprs: 42
; NumVgprs: 29
; NumAgprs: 0
; TotalNumVgprs: 29
; ScratchSize: 0
; MemoryBound: 0
; FloatMode: 240
; IeeeMode: 1
; LDSByteSize: 8208 bytes/workgroup (compile time only)
; SGPRBlocks: 5
; VGPRBlocks: 3
; NumSGPRsForWavesPerEU: 42
; NumVGPRsForWavesPerEU: 29
; AccumOffset: 32
; Occupancy: 7
; WaveLimiterHint : 0
; COMPUTE_PGM_RSRC2:SCRATCH_EN: 0
; COMPUTE_PGM_RSRC2:USER_SGPR: 6
; COMPUTE_PGM_RSRC2:TRAP_HANDLER: 0
; COMPUTE_PGM_RSRC2:TGID_X_EN: 1
; COMPUTE_PGM_RSRC2:TGID_Y_EN: 0
; COMPUTE_PGM_RSRC2:TGID_Z_EN: 0
; COMPUTE_PGM_RSRC2:TIDIG_COMP_CNT: 0
; COMPUTE_PGM_RSRC3_GFX90A:ACCUM_OFFSET: 7
; COMPUTE_PGM_RSRC3_GFX90A:TG_SPLIT: 0
	.section	.text._Z11rank_kernelIhLj4ELb0EL18RadixRankAlgorithm2ELj256ELj4ELj10EEvPKT_Pi,"axG",@progbits,_Z11rank_kernelIhLj4ELb0EL18RadixRankAlgorithm2ELj256ELj4ELj10EEvPKT_Pi,comdat
	.protected	_Z11rank_kernelIhLj4ELb0EL18RadixRankAlgorithm2ELj256ELj4ELj10EEvPKT_Pi ; -- Begin function _Z11rank_kernelIhLj4ELb0EL18RadixRankAlgorithm2ELj256ELj4ELj10EEvPKT_Pi
	.globl	_Z11rank_kernelIhLj4ELb0EL18RadixRankAlgorithm2ELj256ELj4ELj10EEvPKT_Pi
	.p2align	8
	.type	_Z11rank_kernelIhLj4ELb0EL18RadixRankAlgorithm2ELj256ELj4ELj10EEvPKT_Pi,@function
_Z11rank_kernelIhLj4ELb0EL18RadixRankAlgorithm2ELj256ELj4ELj10EEvPKT_Pi: ; @_Z11rank_kernelIhLj4ELb0EL18RadixRankAlgorithm2ELj256ELj4ELj10EEvPKT_Pi
; %bb.0:
	s_load_dwordx4 s[0:3], s[4:5], 0x0
	s_load_dword s16, s[4:5], 0x1c
	s_lshl_b32 s92, s6, 10
	v_and_b32_e32 v4, 0x3ff, v0
	v_lshlrev_b32_e32 v2, 2, v4
	s_waitcnt lgkmcnt(0)
	s_add_u32 s0, s0, s92
	s_addc_u32 s1, s1, 0
	global_load_dword v3, v2, s[0:1]
	v_mbcnt_lo_u32_b32 v5, -1, 0
	v_mbcnt_hi_u32_b32 v21, -1, v5
	v_add_u32_e32 v13, -1, v21
	v_and_b32_e32 v15, 64, v21
	v_cmp_lt_i32_e64 s[14:15], v13, v15
	v_bfe_u32 v7, v0, 10, 10
	v_bfe_u32 v0, v0, 20, 10
	v_cndmask_b32_e64 v25, v13, v21, s[14:15]
	s_lshr_b32 s14, s16, 16
	v_and_b32_e32 v5, 15, v21
	v_or_b32_e32 v11, 63, v4
	s_and_b32 s15, s16, 0xffff
	v_mad_u32_u24 v0, v0, s14, v7
	s_mov_b64 s[94:95], s[2:3]
	v_cmp_gt_u32_e32 vcc, 4, v4
	v_cmp_lt_u32_e64 s[0:1], 63, v4
	v_lshrrev_b32_e32 v17, 4, v4
	v_cmp_eq_u32_e64 s[2:3], 0, v5
	v_cmp_lt_u32_e64 s[4:5], 1, v5
	v_cmp_lt_u32_e64 s[6:7], 3, v5
	;; [unrolled: 1-line block ×3, first 2 shown]
	v_cmp_eq_u32_e64 s[12:13], v11, v4
	v_mad_u64_u32 v[4:5], s[14:15], v0, s15, v[4:5]
	v_mov_b32_e32 v1, 0
	v_and_b32_e32 v9, 16, v21
	v_lshrrev_b32_e32 v5, 6, v4
	v_mov_b32_e32 v6, v1
	v_mov_b32_e32 v8, v1
	v_cmp_eq_u32_e64 s[10:11], 0, v9
	v_mov_b32_e32 v18, 30
	v_mov_b32_e32 v12, v1
	;; [unrolled: 1-line block ×5, first 2 shown]
	v_and_b32_e32 v51, 12, v17
	v_and_b32_e32 v52, 3, v21
	v_add_u32_e32 v54, -4, v51
	s_mov_b32 s33, 10
	s_mov_b32 s93, 0
	v_cmp_lt_u32_e64 s[78:79], 31, v21
	v_lshlrev_b32_e32 v79, 2, v25
	v_cmp_eq_u32_e64 s[80:81], 0, v21
	v_cmp_eq_u32_e64 s[82:83], 0, v52
	v_cmp_lt_u32_e64 s[84:85], 1, v52
	s_waitcnt vmcnt(0)
	v_and_b32_e32 v0, 1, v3
	v_add_co_u32_e64 v55, s[14:15], -1, v0
	v_addc_co_u32_e64 v56, s[14:15], 0, -1, s[14:15]
	v_cmp_ne_u64_e64 s[14:15], 0, v[0:1]
	v_bfe_u32 v0, v3, 8, 1
	v_add_co_u32_e64 v57, s[22:23], -1, v0
	v_addc_co_u32_e64 v58, s[22:23], 0, -1, s[22:23]
	v_cmp_ne_u64_e64 s[22:23], 0, v[0:1]
	v_bfe_u32 v0, v3, 16, 1
	v_lshrrev_b32_e32 v4, 8, v3
	v_add_co_u32_e64 v59, s[30:31], -1, v0
	v_lshlrev_b32_e32 v7, 30, v3
	v_lshlrev_b32_e32 v9, 29, v3
	;; [unrolled: 1-line block ×3, first 2 shown]
	v_addc_co_u32_e64 v60, s[30:31], 0, -1, s[30:31]
	v_cmp_gt_i64_e64 s[16:17], 0, v[6:7]
	v_not_b32_e32 v6, v7
	v_cmp_gt_i64_e64 s[18:19], 0, v[8:9]
	v_not_b32_e32 v7, v9
	v_lshlrev_b32_e32 v13, 30, v4
	v_not_b32_e32 v9, v15
	v_cmp_ne_u64_e64 s[30:31], 0, v[0:1]
	v_bfe_u32 v0, v3, 24, 1
	v_lshlrev_b32_e32 v11, 28, v3
	v_lshlrev_b32_e32 v17, 28, v4
	v_ashrrev_i32_e32 v4, 31, v6
	v_ashrrev_i32_e32 v6, 31, v7
	v_cmp_gt_i64_e64 s[24:25], 0, v[12:13]
	v_not_b32_e32 v7, v13
	v_cmp_gt_i64_e64 s[26:27], 0, v[14:15]
	v_ashrrev_i32_e32 v12, 31, v9
	v_lshlrev_b32_sdwa v15, v18, v3 dst_sel:DWORD dst_unused:UNUSED_PAD src0_sel:DWORD src1_sel:WORD_1
	v_mov_b32_e32 v9, 29
	v_add_co_u32_e64 v61, s[40:41], -1, v0
	v_cmp_gt_i64_e64 s[20:21], 0, v[10:11]
	v_cmp_gt_i64_e64 s[28:29], 0, v[16:17]
	v_ashrrev_i32_e32 v10, 31, v7
	v_cmp_gt_i64_e64 s[34:35], 0, v[14:15]
	v_not_b32_e32 v7, v15
	v_lshlrev_b32_sdwa v15, v9, v3 dst_sel:DWORD dst_unused:UNUSED_PAD src0_sel:DWORD src1_sel:WORD_1
	v_mov_b32_e32 v16, 28
	v_addc_co_u32_e64 v62, s[40:41], 0, -1, s[40:41]
	v_cmp_gt_i64_e64 s[36:37], 0, v[14:15]
	v_not_b32_e32 v13, v15
	v_lshlrev_b32_sdwa v15, v16, v3 dst_sel:DWORD dst_unused:UNUSED_PAD src0_sel:DWORD src1_sel:WORD_1
	v_cmp_ne_u64_e64 s[40:41], 0, v[0:1]
	v_bfe_u32 v0, v3, 4, 1
	v_not_b32_e32 v8, v11
	v_not_b32_e32 v11, v17
	v_cmp_gt_i64_e64 s[38:39], 0, v[14:15]
	v_not_b32_e32 v17, v15
	v_lshlrev_b32_sdwa v15, v18, v3 dst_sel:DWORD dst_unused:UNUSED_PAD src0_sel:DWORD src1_sel:BYTE_3
	v_add_co_u32_e64 v63, s[48:49], -1, v0
	v_cmp_gt_i64_e64 s[42:43], 0, v[14:15]
	v_not_b32_e32 v28, v15
	v_lshlrev_b32_sdwa v15, v9, v3 dst_sel:DWORD dst_unused:UNUSED_PAD src0_sel:DWORD src1_sel:BYTE_3
	v_addc_co_u32_e64 v64, s[48:49], 0, -1, s[48:49]
	v_cmp_gt_i64_e64 s[44:45], 0, v[14:15]
	v_not_b32_e32 v9, v15
	v_lshlrev_b32_sdwa v15, v16, v3 dst_sel:DWORD dst_unused:UNUSED_PAD src0_sel:DWORD src1_sel:BYTE_3
	v_lshrrev_b32_e32 v16, 4, v3
	v_cmp_ne_u64_e64 s[48:49], 0, v[0:1]
	v_bfe_u32 v0, v3, 12, 1
	v_cmp_gt_i64_e64 s[46:47], 0, v[14:15]
	v_not_b32_e32 v29, v15
	v_lshlrev_b32_e32 v15, 30, v16
	v_add_co_u32_e64 v65, s[56:57], -1, v0
	v_cmp_gt_i64_e64 s[50:51], 0, v[14:15]
	v_not_b32_e32 v30, v15
	v_lshlrev_b32_e32 v15, 29, v16
	v_addc_co_u32_e64 v66, s[56:57], 0, -1, s[56:57]
	v_cmp_gt_i64_e64 s[52:53], 0, v[14:15]
	v_not_b32_e32 v31, v15
	v_lshlrev_b32_e32 v15, 28, v16
	v_lshrrev_b32_e32 v16, 12, v3
	v_cmp_ne_u64_e64 s[56:57], 0, v[0:1]
	v_bfe_u32 v0, v3, 20, 1
	v_cmp_gt_i64_e64 s[54:55], 0, v[14:15]
	v_not_b32_e32 v32, v15
	v_lshlrev_b32_e32 v15, 30, v16
	v_add_co_u32_e64 v67, s[64:65], -1, v0
	v_cmp_gt_i64_e64 s[58:59], 0, v[14:15]
	v_not_b32_e32 v33, v15
	v_lshlrev_b32_e32 v15, 29, v16
	v_addc_co_u32_e64 v68, s[64:65], 0, -1, s[64:65]
	v_cmp_gt_i64_e64 s[60:61], 0, v[14:15]
	v_not_b32_e32 v35, v15
	v_lshlrev_b32_e32 v15, 28, v16
	v_lshrrev_b32_e32 v16, 20, v3
	v_cmp_ne_u64_e64 s[64:65], 0, v[0:1]
	v_bfe_u32 v0, v3, 28, 1
	v_cmp_gt_i64_e64 s[62:63], 0, v[14:15]
	v_not_b32_e32 v37, v15
	v_lshlrev_b32_e32 v15, 30, v16
	v_add_co_u32_e64 v69, s[68:69], -1, v0
	v_and_b32_e32 v20, 15, v3
	v_cmp_gt_i64_e64 s[66:67], 0, v[14:15]
	v_not_b32_e32 v39, v15
	v_lshlrev_b32_e32 v15, 29, v16
	v_addc_co_u32_e64 v70, s[68:69], 0, -1, s[68:69]
	v_bfe_u32 v22, v3, 8, 4
	v_cmp_gt_i64_e64 s[68:69], 0, v[14:15]
	v_not_b32_e32 v41, v15
	v_lshlrev_b32_e32 v15, 28, v16
	v_mul_u32_u24_e32 v16, 5, v20
	v_bfe_u32 v23, v3, 16, 4
	v_add_lshl_u32 v71, v5, v16, 2
	v_mul_u32_u24_e32 v16, 5, v22
	v_bfe_u32 v24, v3, 24, 4
	v_add_lshl_u32 v72, v5, v16, 2
	v_mul_u32_u24_e32 v16, 5, v23
	v_bfe_u32 v18, v3, 4, 4
	v_cmp_gt_i64_e64 s[70:71], 0, v[14:15]
	v_bfe_u32 v14, v3, 20, 4
	v_add_lshl_u32 v74, v5, v16, 2
	v_mul_u32_u24_e32 v16, 5, v24
	v_bfe_u32 v26, v3, 12, 4
	v_lshrrev_b32_e32 v27, 28, v3
	v_add_lshl_u32 v75, v5, v16, 2
	v_mul_u32_u24_e32 v16, 5, v18
	v_mul_u32_u24_e32 v14, 5, v14
	v_lshlrev_b32_e32 v19, 30, v27
	v_add_lshl_u32 v73, v5, v16, 2
	v_mul_u32_u24_e32 v16, 5, v26
	v_add_lshl_u32 v77, v5, v14, 2
	v_mul_u32_u24_e32 v14, 5, v27
	v_lshlrev_b32_e32 v23, 29, v27
	v_and_b32_e32 v27, 0xf0000000, v3
	v_not_b32_e32 v15, v15
	v_add_lshl_u32 v76, v5, v16, 2
	v_add_lshl_u32 v78, v5, v14, 2
	v_mov_b32_e32 v18, v1
	v_ashrrev_i32_e32 v16, 31, v7
	v_not_b32_e32 v5, v19
	v_mov_b32_e32 v22, v1
	v_not_b32_e32 v3, v23
	v_mov_b32_e32 v26, v1
	v_not_b32_e32 v7, v27
	v_ashrrev_i32_e32 v8, 31, v8
	v_ashrrev_i32_e32 v14, 31, v11
	v_cmp_gt_i64_e64 s[72:73], 0, v[18:19]
	v_ashrrev_i32_e32 v18, 31, v13
	v_ashrrev_i32_e32 v20, 31, v17
	v_cmp_gt_i64_e64 s[74:75], 0, v[22:23]
	;; [unrolled: 3-line block ×3, first 2 shown]
	v_ashrrev_i32_e32 v26, 31, v29
	v_ashrrev_i32_e32 v28, 31, v30
	;; [unrolled: 1-line block ×13, first 2 shown]
	v_mov_b32_e32 v3, v4
	v_mov_b32_e32 v5, v6
	;; [unrolled: 1-line block ×24, first 2 shown]
	v_cmp_ne_u64_e64 s[86:87], 0, v[0:1]
	s_branch .LBB65_2
.LBB65_1:                               ;   in Loop: Header=BB65_2 Depth=1
	s_or_b64 exec, exec, s[88:89]
	s_waitcnt lgkmcnt(0)
	v_add_u32_e32 v52, v53, v52
	ds_bpermute_b32 v52, v79, v52
	s_add_i32 s33, s33, -1
	s_cmp_eq_u32 s33, 0
	s_waitcnt lgkmcnt(0)
	v_cndmask_b32_e64 v52, v52, v53, s[80:81]
	ds_write_b32 v2, v52 offset:16
	s_waitcnt lgkmcnt(0)
	s_barrier
	s_cbranch_scc1 .LBB65_30
.LBB65_2:                               ; =>This Inner Loop Header: Depth=1
	v_cndmask_b32_e64 v0, 0, 1, s[14:15]
	v_cmp_ne_u32_e64 s[88:89], 0, v0
	v_cndmask_b32_e64 v53, 0, 1, s[16:17]
	v_xor_b32_e32 v0, s89, v56
	v_xor_b32_e32 v52, s88, v55
	v_cmp_ne_u32_e64 s[88:89], 0, v53
	v_and_b32_e32 v0, exec_hi, v0
	v_xor_b32_e32 v53, s89, v3
	v_and_b32_e32 v0, v0, v53
	v_cndmask_b32_e64 v53, 0, 1, s[18:19]
	v_xor_b32_e32 v80, s88, v4
	v_cmp_ne_u32_e64 s[88:89], 0, v53
	v_xor_b32_e32 v53, s89, v5
	v_and_b32_e32 v52, exec_lo, v52
	v_and_b32_e32 v0, v0, v53
	v_cndmask_b32_e64 v53, 0, 1, s[20:21]
	v_and_b32_e32 v52, v52, v80
	v_xor_b32_e32 v80, s88, v6
	v_cmp_ne_u32_e64 s[88:89], 0, v53
	v_and_b32_e32 v52, v52, v80
	v_xor_b32_e32 v80, s88, v8
	v_xor_b32_e32 v53, s89, v7
	v_and_b32_e32 v52, v52, v80
	v_and_b32_e32 v53, v0, v53
	v_mbcnt_lo_u32_b32 v0, v52, 0
	v_mbcnt_hi_u32_b32 v0, v53, v0
	v_cmp_eq_u32_e64 s[88:89], 0, v0
	v_cmp_ne_u64_e64 s[90:91], 0, v[52:53]
	s_and_b64 s[90:91], s[90:91], s[88:89]
	ds_write_b32 v2, v1 offset:16
	s_waitcnt lgkmcnt(0)
	s_barrier
	s_waitcnt lgkmcnt(0)
	; wave barrier
	s_and_saveexec_b64 s[88:89], s[90:91]
	s_cbranch_execz .LBB65_4
; %bb.3:                                ;   in Loop: Header=BB65_2 Depth=1
	v_bcnt_u32_b32 v0, v52, 0
	v_bcnt_u32_b32 v0, v53, v0
	ds_write_b32 v71, v0 offset:16
.LBB65_4:                               ;   in Loop: Header=BB65_2 Depth=1
	s_or_b64 exec, exec, s[88:89]
	v_cndmask_b32_e64 v52, 0, 1, s[22:23]
	v_cmp_ne_u32_e64 s[88:89], 0, v52
	v_cndmask_b32_e64 v80, 0, 1, s[24:25]
	v_xor_b32_e32 v52, s89, v58
	v_xor_b32_e32 v53, s88, v57
	v_cmp_ne_u32_e64 s[88:89], 0, v80
	v_and_b32_e32 v52, exec_hi, v52
	v_xor_b32_e32 v80, s89, v9
	v_and_b32_e32 v52, v52, v80
	v_cndmask_b32_e64 v80, 0, 1, s[26:27]
	v_and_b32_e32 v53, exec_lo, v53
	v_xor_b32_e32 v81, s88, v10
	v_cmp_ne_u32_e64 s[88:89], 0, v80
	v_and_b32_e32 v53, v53, v81
	v_xor_b32_e32 v80, s89, v11
	v_xor_b32_e32 v81, s88, v12
	v_and_b32_e32 v52, v52, v80
	v_and_b32_e32 v80, v53, v81
	v_cndmask_b32_e64 v53, 0, 1, s[28:29]
	v_cmp_ne_u32_e64 s[88:89], 0, v53
	v_xor_b32_e32 v53, s89, v13
	v_xor_b32_e32 v81, s88, v14
	; wave barrier
	ds_read_b32 v0, v72 offset:16
	v_and_b32_e32 v53, v52, v53
	v_and_b32_e32 v52, v80, v81
	v_mbcnt_lo_u32_b32 v80, v52, 0
	v_mbcnt_hi_u32_b32 v80, v53, v80
	v_cmp_eq_u32_e64 s[88:89], 0, v80
	v_cmp_ne_u64_e64 s[90:91], 0, v[52:53]
	s_and_b64 s[90:91], s[90:91], s[88:89]
	; wave barrier
	s_and_saveexec_b64 s[88:89], s[90:91]
	s_cbranch_execz .LBB65_6
; %bb.5:                                ;   in Loop: Header=BB65_2 Depth=1
	v_bcnt_u32_b32 v52, v52, 0
	v_bcnt_u32_b32 v52, v53, v52
	s_waitcnt lgkmcnt(0)
	v_add_u32_e32 v0, v0, v52
	ds_write_b32 v72, v0 offset:16
.LBB65_6:                               ;   in Loop: Header=BB65_2 Depth=1
	s_or_b64 exec, exec, s[88:89]
	v_cndmask_b32_e64 v52, 0, 1, s[30:31]
	v_cmp_ne_u32_e64 s[88:89], 0, v52
	v_cndmask_b32_e64 v80, 0, 1, s[34:35]
	v_xor_b32_e32 v52, s89, v60
	v_xor_b32_e32 v53, s88, v59
	v_cmp_ne_u32_e64 s[88:89], 0, v80
	v_and_b32_e32 v52, exec_hi, v52
	v_xor_b32_e32 v80, s89, v15
	v_and_b32_e32 v52, v52, v80
	v_cndmask_b32_e64 v80, 0, 1, s[36:37]
	v_and_b32_e32 v53, exec_lo, v53
	v_xor_b32_e32 v81, s88, v16
	v_cmp_ne_u32_e64 s[88:89], 0, v80
	v_and_b32_e32 v53, v53, v81
	v_xor_b32_e32 v80, s89, v17
	v_xor_b32_e32 v81, s88, v18
	v_and_b32_e32 v52, v52, v80
	v_and_b32_e32 v80, v53, v81
	v_cndmask_b32_e64 v53, 0, 1, s[38:39]
	v_cmp_ne_u32_e64 s[88:89], 0, v53
	v_xor_b32_e32 v53, s89, v19
	v_xor_b32_e32 v81, s88, v20
	; wave barrier
	s_waitcnt lgkmcnt(0)
	ds_read_b32 v0, v74 offset:16
	v_and_b32_e32 v53, v52, v53
	v_and_b32_e32 v52, v80, v81
	v_mbcnt_lo_u32_b32 v80, v52, 0
	v_mbcnt_hi_u32_b32 v80, v53, v80
	v_cmp_eq_u32_e64 s[88:89], 0, v80
	v_cmp_ne_u64_e64 s[90:91], 0, v[52:53]
	s_and_b64 s[90:91], s[90:91], s[88:89]
	; wave barrier
	s_and_saveexec_b64 s[88:89], s[90:91]
	s_cbranch_execz .LBB65_8
; %bb.7:                                ;   in Loop: Header=BB65_2 Depth=1
	v_bcnt_u32_b32 v52, v52, 0
	v_bcnt_u32_b32 v52, v53, v52
	s_waitcnt lgkmcnt(0)
	v_add_u32_e32 v0, v0, v52
	ds_write_b32 v74, v0 offset:16
.LBB65_8:                               ;   in Loop: Header=BB65_2 Depth=1
	s_or_b64 exec, exec, s[88:89]
	v_cndmask_b32_e64 v52, 0, 1, s[40:41]
	v_cmp_ne_u32_e64 s[88:89], 0, v52
	v_cndmask_b32_e64 v80, 0, 1, s[42:43]
	v_xor_b32_e32 v52, s89, v62
	v_xor_b32_e32 v53, s88, v61
	v_cmp_ne_u32_e64 s[88:89], 0, v80
	v_and_b32_e32 v52, exec_hi, v52
	v_xor_b32_e32 v80, s89, v21
	v_and_b32_e32 v52, v52, v80
	v_cndmask_b32_e64 v80, 0, 1, s[44:45]
	v_and_b32_e32 v53, exec_lo, v53
	v_xor_b32_e32 v81, s88, v22
	v_cmp_ne_u32_e64 s[88:89], 0, v80
	v_and_b32_e32 v53, v53, v81
	v_xor_b32_e32 v80, s89, v23
	v_xor_b32_e32 v81, s88, v24
	v_and_b32_e32 v52, v52, v80
	v_and_b32_e32 v80, v53, v81
	v_cndmask_b32_e64 v53, 0, 1, s[46:47]
	v_cmp_ne_u32_e64 s[88:89], 0, v53
	v_xor_b32_e32 v53, s89, v25
	v_xor_b32_e32 v81, s88, v26
	; wave barrier
	s_waitcnt lgkmcnt(0)
	ds_read_b32 v0, v75 offset:16
	v_and_b32_e32 v53, v52, v53
	v_and_b32_e32 v52, v80, v81
	v_mbcnt_lo_u32_b32 v80, v52, 0
	v_mbcnt_hi_u32_b32 v80, v53, v80
	v_cmp_eq_u32_e64 s[88:89], 0, v80
	v_cmp_ne_u64_e64 s[90:91], 0, v[52:53]
	s_and_b64 s[90:91], s[90:91], s[88:89]
	; wave barrier
	s_and_saveexec_b64 s[88:89], s[90:91]
	s_cbranch_execz .LBB65_10
; %bb.9:                                ;   in Loop: Header=BB65_2 Depth=1
	v_bcnt_u32_b32 v52, v52, 0
	v_bcnt_u32_b32 v52, v53, v52
	s_waitcnt lgkmcnt(0)
	v_add_u32_e32 v0, v0, v52
	ds_write_b32 v75, v0 offset:16
.LBB65_10:                              ;   in Loop: Header=BB65_2 Depth=1
	s_or_b64 exec, exec, s[88:89]
	; wave barrier
	s_waitcnt lgkmcnt(0)
	s_barrier
	ds_read_b32 v0, v2 offset:16
	s_waitcnt lgkmcnt(0)
	s_nop 0
	v_mov_b32_dpp v52, v0 row_shr:1 row_mask:0xf bank_mask:0xf
	v_cndmask_b32_e64 v52, v52, 0, s[2:3]
	v_add_u32_e32 v0, v52, v0
	s_nop 1
	v_mov_b32_dpp v52, v0 row_shr:2 row_mask:0xf bank_mask:0xf
	v_cndmask_b32_e64 v52, 0, v52, s[4:5]
	v_add_u32_e32 v0, v0, v52
	;; [unrolled: 4-line block ×4, first 2 shown]
	s_nop 1
	v_mov_b32_dpp v52, v0 row_bcast:15 row_mask:0xf bank_mask:0xf
	v_cndmask_b32_e64 v52, v52, 0, s[10:11]
	v_add_u32_e32 v0, v0, v52
	s_nop 1
	v_mov_b32_dpp v52, v0 row_bcast:31 row_mask:0xf bank_mask:0xf
	v_cndmask_b32_e64 v52, 0, v52, s[78:79]
	v_add_u32_e32 v0, v0, v52
	s_and_saveexec_b64 s[88:89], s[12:13]
	s_xor_b64 s[88:89], exec, s[88:89]
	s_cbranch_execz .LBB65_12
; %bb.11:                               ;   in Loop: Header=BB65_2 Depth=1
	ds_write_b32 v51, v0
.LBB65_12:                              ;   in Loop: Header=BB65_2 Depth=1
	s_or_b64 exec, exec, s[88:89]
	s_waitcnt lgkmcnt(0)
	s_barrier
	s_and_saveexec_b64 s[88:89], vcc
	s_cbranch_execz .LBB65_14
; %bb.13:                               ;   in Loop: Header=BB65_2 Depth=1
	ds_read_b32 v52, v2
	s_waitcnt lgkmcnt(0)
	s_nop 0
	v_mov_b32_dpp v53, v52 row_shr:1 row_mask:0xf bank_mask:0xf
	v_cndmask_b32_e64 v53, v53, 0, s[82:83]
	v_add_u32_e32 v52, v53, v52
	s_nop 1
	v_mov_b32_dpp v53, v52 row_shr:2 row_mask:0xf bank_mask:0xf
	v_cndmask_b32_e64 v53, 0, v53, s[84:85]
	v_add_u32_e32 v52, v52, v53
	ds_write_b32 v2, v52
.LBB65_14:                              ;   in Loop: Header=BB65_2 Depth=1
	s_or_b64 exec, exec, s[88:89]
	v_mov_b32_e32 v52, 0
	s_waitcnt lgkmcnt(0)
	s_barrier
	s_and_saveexec_b64 s[88:89], s[0:1]
	s_cbranch_execz .LBB65_16
; %bb.15:                               ;   in Loop: Header=BB65_2 Depth=1
	ds_read_b32 v52, v54
.LBB65_16:                              ;   in Loop: Header=BB65_2 Depth=1
	s_or_b64 exec, exec, s[88:89]
	s_waitcnt lgkmcnt(0)
	v_add_u32_e32 v0, v52, v0
	ds_bpermute_b32 v0, v79, v0
	v_cndmask_b32_e64 v53, 0, 1, s[50:51]
	s_waitcnt lgkmcnt(0)
	v_cndmask_b32_e64 v0, v0, v52, s[80:81]
	ds_write_b32 v2, v0 offset:16
	v_cndmask_b32_e64 v0, 0, 1, s[48:49]
	v_cmp_ne_u32_e64 s[88:89], 0, v0
	v_xor_b32_e32 v0, s89, v64
	v_xor_b32_e32 v52, s88, v63
	v_cmp_ne_u32_e64 s[88:89], 0, v53
	v_and_b32_e32 v0, exec_hi, v0
	v_xor_b32_e32 v53, s89, v27
	v_and_b32_e32 v0, v0, v53
	v_cndmask_b32_e64 v53, 0, 1, s[52:53]
	v_xor_b32_e32 v80, s88, v28
	v_cmp_ne_u32_e64 s[88:89], 0, v53
	v_xor_b32_e32 v53, s89, v29
	v_and_b32_e32 v52, exec_lo, v52
	v_and_b32_e32 v0, v0, v53
	v_cndmask_b32_e64 v53, 0, 1, s[54:55]
	v_and_b32_e32 v52, v52, v80
	v_xor_b32_e32 v80, s88, v30
	v_cmp_ne_u32_e64 s[88:89], 0, v53
	v_and_b32_e32 v52, v52, v80
	v_xor_b32_e32 v80, s88, v32
	v_xor_b32_e32 v53, s89, v31
	v_and_b32_e32 v52, v52, v80
	v_and_b32_e32 v53, v0, v53
	v_mbcnt_lo_u32_b32 v0, v52, 0
	v_mbcnt_hi_u32_b32 v0, v53, v0
	v_cmp_eq_u32_e64 s[88:89], 0, v0
	v_cmp_ne_u64_e64 s[90:91], 0, v[52:53]
	s_and_b64 s[90:91], s[90:91], s[88:89]
	s_waitcnt lgkmcnt(0)
	s_barrier
	ds_write_b32 v2, v1 offset:16
	s_waitcnt lgkmcnt(0)
	s_barrier
	s_waitcnt lgkmcnt(0)
	; wave barrier
	s_and_saveexec_b64 s[88:89], s[90:91]
	s_cbranch_execz .LBB65_18
; %bb.17:                               ;   in Loop: Header=BB65_2 Depth=1
	v_bcnt_u32_b32 v52, v52, 0
	v_bcnt_u32_b32 v52, v53, v52
	ds_write_b32 v73, v52 offset:16
.LBB65_18:                              ;   in Loop: Header=BB65_2 Depth=1
	s_or_b64 exec, exec, s[88:89]
	v_cndmask_b32_e64 v52, 0, 1, s[56:57]
	v_cmp_ne_u32_e64 s[88:89], 0, v52
	v_cndmask_b32_e64 v81, 0, 1, s[58:59]
	v_xor_b32_e32 v52, s89, v66
	v_xor_b32_e32 v53, s88, v65
	v_cmp_ne_u32_e64 s[88:89], 0, v81
	v_and_b32_e32 v52, exec_hi, v52
	v_xor_b32_e32 v81, s89, v33
	v_and_b32_e32 v52, v52, v81
	v_cndmask_b32_e64 v81, 0, 1, s[60:61]
	v_and_b32_e32 v53, exec_lo, v53
	v_xor_b32_e32 v82, s88, v34
	v_cmp_ne_u32_e64 s[88:89], 0, v81
	v_and_b32_e32 v53, v53, v82
	v_xor_b32_e32 v81, s89, v35
	v_xor_b32_e32 v82, s88, v36
	v_and_b32_e32 v52, v52, v81
	v_and_b32_e32 v81, v53, v82
	v_cndmask_b32_e64 v53, 0, 1, s[62:63]
	v_cmp_ne_u32_e64 s[88:89], 0, v53
	v_xor_b32_e32 v53, s89, v37
	v_xor_b32_e32 v82, s88, v38
	; wave barrier
	ds_read_b32 v80, v76 offset:16
	v_and_b32_e32 v53, v52, v53
	v_and_b32_e32 v52, v81, v82
	v_mbcnt_lo_u32_b32 v81, v52, 0
	v_mbcnt_hi_u32_b32 v81, v53, v81
	v_cmp_eq_u32_e64 s[88:89], 0, v81
	v_cmp_ne_u64_e64 s[90:91], 0, v[52:53]
	s_and_b64 s[90:91], s[90:91], s[88:89]
	; wave barrier
	s_and_saveexec_b64 s[88:89], s[90:91]
	s_cbranch_execz .LBB65_20
; %bb.19:                               ;   in Loop: Header=BB65_2 Depth=1
	v_bcnt_u32_b32 v52, v52, 0
	v_bcnt_u32_b32 v52, v53, v52
	s_waitcnt lgkmcnt(0)
	v_add_u32_e32 v52, v80, v52
	ds_write_b32 v76, v52 offset:16
.LBB65_20:                              ;   in Loop: Header=BB65_2 Depth=1
	s_or_b64 exec, exec, s[88:89]
	v_cndmask_b32_e64 v52, 0, 1, s[64:65]
	v_cmp_ne_u32_e64 s[88:89], 0, v52
	v_cndmask_b32_e64 v83, 0, 1, s[66:67]
	v_xor_b32_e32 v52, s89, v68
	v_xor_b32_e32 v53, s88, v67
	v_cmp_ne_u32_e64 s[88:89], 0, v83
	v_and_b32_e32 v52, exec_hi, v52
	v_xor_b32_e32 v83, s89, v39
	v_and_b32_e32 v52, v52, v83
	v_cndmask_b32_e64 v83, 0, 1, s[68:69]
	v_and_b32_e32 v53, exec_lo, v53
	v_xor_b32_e32 v84, s88, v40
	v_cmp_ne_u32_e64 s[88:89], 0, v83
	v_and_b32_e32 v53, v53, v84
	v_xor_b32_e32 v83, s89, v41
	v_xor_b32_e32 v84, s88, v42
	v_and_b32_e32 v52, v52, v83
	v_and_b32_e32 v83, v53, v84
	v_cndmask_b32_e64 v53, 0, 1, s[70:71]
	v_cmp_ne_u32_e64 s[88:89], 0, v53
	v_xor_b32_e32 v53, s89, v43
	v_xor_b32_e32 v84, s88, v44
	; wave barrier
	ds_read_b32 v82, v77 offset:16
	v_and_b32_e32 v53, v52, v53
	v_and_b32_e32 v52, v83, v84
	v_mbcnt_lo_u32_b32 v83, v52, 0
	v_mbcnt_hi_u32_b32 v83, v53, v83
	v_cmp_eq_u32_e64 s[88:89], 0, v83
	v_cmp_ne_u64_e64 s[90:91], 0, v[52:53]
	s_and_b64 s[90:91], s[90:91], s[88:89]
	; wave barrier
	s_and_saveexec_b64 s[88:89], s[90:91]
	s_cbranch_execz .LBB65_22
; %bb.21:                               ;   in Loop: Header=BB65_2 Depth=1
	v_bcnt_u32_b32 v52, v52, 0
	v_bcnt_u32_b32 v52, v53, v52
	s_waitcnt lgkmcnt(0)
	v_add_u32_e32 v52, v82, v52
	ds_write_b32 v77, v52 offset:16
.LBB65_22:                              ;   in Loop: Header=BB65_2 Depth=1
	;; [unrolled: 42-line block ×3, first 2 shown]
	s_or_b64 exec, exec, s[88:89]
	; wave barrier
	s_waitcnt lgkmcnt(0)
	s_barrier
	ds_read_b32 v52, v2 offset:16
	s_waitcnt lgkmcnt(0)
	s_nop 0
	v_mov_b32_dpp v53, v52 row_shr:1 row_mask:0xf bank_mask:0xf
	v_cndmask_b32_e64 v53, v53, 0, s[2:3]
	v_add_u32_e32 v52, v53, v52
	s_nop 1
	v_mov_b32_dpp v53, v52 row_shr:2 row_mask:0xf bank_mask:0xf
	v_cndmask_b32_e64 v53, 0, v53, s[4:5]
	v_add_u32_e32 v52, v52, v53
	;; [unrolled: 4-line block ×4, first 2 shown]
	s_nop 1
	v_mov_b32_dpp v53, v52 row_bcast:15 row_mask:0xf bank_mask:0xf
	v_cndmask_b32_e64 v53, v53, 0, s[10:11]
	v_add_u32_e32 v52, v52, v53
	s_nop 1
	v_mov_b32_dpp v53, v52 row_bcast:31 row_mask:0xf bank_mask:0xf
	v_cndmask_b32_e64 v53, 0, v53, s[78:79]
	v_add_u32_e32 v52, v52, v53
	s_and_saveexec_b64 s[88:89], s[12:13]
	s_cbranch_execz .LBB65_26
; %bb.25:                               ;   in Loop: Header=BB65_2 Depth=1
	ds_write_b32 v51, v52
.LBB65_26:                              ;   in Loop: Header=BB65_2 Depth=1
	s_or_b64 exec, exec, s[88:89]
	s_waitcnt lgkmcnt(0)
	s_barrier
	s_and_saveexec_b64 s[88:89], vcc
	s_cbranch_execz .LBB65_28
; %bb.27:                               ;   in Loop: Header=BB65_2 Depth=1
	ds_read_b32 v53, v2
	s_waitcnt lgkmcnt(0)
	s_nop 0
	v_mov_b32_dpp v86, v53 row_shr:1 row_mask:0xf bank_mask:0xf
	v_cndmask_b32_e64 v86, v86, 0, s[82:83]
	v_add_u32_e32 v53, v86, v53
	s_nop 1
	v_mov_b32_dpp v86, v53 row_shr:2 row_mask:0xf bank_mask:0xf
	v_cndmask_b32_e64 v86, 0, v86, s[84:85]
	v_add_u32_e32 v53, v53, v86
	ds_write_b32 v2, v53
.LBB65_28:                              ;   in Loop: Header=BB65_2 Depth=1
	s_or_b64 exec, exec, s[88:89]
	v_mov_b32_e32 v53, 0
	s_waitcnt lgkmcnt(0)
	s_barrier
	s_and_saveexec_b64 s[88:89], s[0:1]
	s_cbranch_execz .LBB65_1
; %bb.29:                               ;   in Loop: Header=BB65_2 Depth=1
	ds_read_b32 v53, v54
	s_branch .LBB65_1
.LBB65_30:
	ds_read_b32 v3, v78 offset:16
	ds_read_b32 v4, v77 offset:16
	ds_read_b32 v1, v76 offset:16
	ds_read_b32 v5, v73 offset:16
	s_lshl_b64 s[0:1], s[92:93], 2
	s_add_u32 s0, s94, s0
	s_addc_u32 s1, s95, s1
	v_lshlrev_b32_e32 v6, 2, v2
	s_waitcnt lgkmcnt(1)
	v_add3_u32 v1, v81, v80, v1
	s_waitcnt lgkmcnt(0)
	v_add_u32_e32 v0, v5, v0
	v_add3_u32 v3, v85, v84, v3
	v_add3_u32 v2, v83, v82, v4
	global_store_dwordx4 v6, v[0:3], s[0:1]
	s_endpgm
	.section	.rodata,"a",@progbits
	.p2align	6, 0x0
	.amdhsa_kernel _Z11rank_kernelIhLj4ELb0EL18RadixRankAlgorithm2ELj256ELj4ELj10EEvPKT_Pi
		.amdhsa_group_segment_fixed_size 1040
		.amdhsa_private_segment_fixed_size 0
		.amdhsa_kernarg_size 272
		.amdhsa_user_sgpr_count 6
		.amdhsa_user_sgpr_private_segment_buffer 1
		.amdhsa_user_sgpr_dispatch_ptr 0
		.amdhsa_user_sgpr_queue_ptr 0
		.amdhsa_user_sgpr_kernarg_segment_ptr 1
		.amdhsa_user_sgpr_dispatch_id 0
		.amdhsa_user_sgpr_flat_scratch_init 0
		.amdhsa_user_sgpr_kernarg_preload_length 0
		.amdhsa_user_sgpr_kernarg_preload_offset 0
		.amdhsa_user_sgpr_private_segment_size 0
		.amdhsa_uses_dynamic_stack 0
		.amdhsa_system_sgpr_private_segment_wavefront_offset 0
		.amdhsa_system_sgpr_workgroup_id_x 1
		.amdhsa_system_sgpr_workgroup_id_y 0
		.amdhsa_system_sgpr_workgroup_id_z 0
		.amdhsa_system_sgpr_workgroup_info 0
		.amdhsa_system_vgpr_workitem_id 2
		.amdhsa_next_free_vgpr 87
		.amdhsa_next_free_sgpr 96
		.amdhsa_accum_offset 88
		.amdhsa_reserve_vcc 1
		.amdhsa_reserve_flat_scratch 0
		.amdhsa_float_round_mode_32 0
		.amdhsa_float_round_mode_16_64 0
		.amdhsa_float_denorm_mode_32 3
		.amdhsa_float_denorm_mode_16_64 3
		.amdhsa_dx10_clamp 1
		.amdhsa_ieee_mode 1
		.amdhsa_fp16_overflow 0
		.amdhsa_tg_split 0
		.amdhsa_exception_fp_ieee_invalid_op 0
		.amdhsa_exception_fp_denorm_src 0
		.amdhsa_exception_fp_ieee_div_zero 0
		.amdhsa_exception_fp_ieee_overflow 0
		.amdhsa_exception_fp_ieee_underflow 0
		.amdhsa_exception_fp_ieee_inexact 0
		.amdhsa_exception_int_div_zero 0
	.end_amdhsa_kernel
	.section	.text._Z11rank_kernelIhLj4ELb0EL18RadixRankAlgorithm2ELj256ELj4ELj10EEvPKT_Pi,"axG",@progbits,_Z11rank_kernelIhLj4ELb0EL18RadixRankAlgorithm2ELj256ELj4ELj10EEvPKT_Pi,comdat
.Lfunc_end65:
	.size	_Z11rank_kernelIhLj4ELb0EL18RadixRankAlgorithm2ELj256ELj4ELj10EEvPKT_Pi, .Lfunc_end65-_Z11rank_kernelIhLj4ELb0EL18RadixRankAlgorithm2ELj256ELj4ELj10EEvPKT_Pi
                                        ; -- End function
	.section	.AMDGPU.csdata,"",@progbits
; Kernel info:
; codeLenInByte = 3916
; NumSgprs: 100
; NumVgprs: 87
; NumAgprs: 0
; TotalNumVgprs: 87
; ScratchSize: 0
; MemoryBound: 0
; FloatMode: 240
; IeeeMode: 1
; LDSByteSize: 1040 bytes/workgroup (compile time only)
; SGPRBlocks: 12
; VGPRBlocks: 10
; NumSGPRsForWavesPerEU: 100
; NumVGPRsForWavesPerEU: 87
; AccumOffset: 88
; Occupancy: 5
; WaveLimiterHint : 0
; COMPUTE_PGM_RSRC2:SCRATCH_EN: 0
; COMPUTE_PGM_RSRC2:USER_SGPR: 6
; COMPUTE_PGM_RSRC2:TRAP_HANDLER: 0
; COMPUTE_PGM_RSRC2:TGID_X_EN: 1
; COMPUTE_PGM_RSRC2:TGID_Y_EN: 0
; COMPUTE_PGM_RSRC2:TGID_Z_EN: 0
; COMPUTE_PGM_RSRC2:TIDIG_COMP_CNT: 2
; COMPUTE_PGM_RSRC3_GFX90A:ACCUM_OFFSET: 21
; COMPUTE_PGM_RSRC3_GFX90A:TG_SPLIT: 0
	.section	.text._Z11rank_kernelIhLj4ELb0EL18RadixRankAlgorithm0ELj256ELj8ELj10EEvPKT_Pi,"axG",@progbits,_Z11rank_kernelIhLj4ELb0EL18RadixRankAlgorithm0ELj256ELj8ELj10EEvPKT_Pi,comdat
	.protected	_Z11rank_kernelIhLj4ELb0EL18RadixRankAlgorithm0ELj256ELj8ELj10EEvPKT_Pi ; -- Begin function _Z11rank_kernelIhLj4ELb0EL18RadixRankAlgorithm0ELj256ELj8ELj10EEvPKT_Pi
	.globl	_Z11rank_kernelIhLj4ELb0EL18RadixRankAlgorithm0ELj256ELj8ELj10EEvPKT_Pi
	.p2align	8
	.type	_Z11rank_kernelIhLj4ELb0EL18RadixRankAlgorithm0ELj256ELj8ELj10EEvPKT_Pi,@function
_Z11rank_kernelIhLj4ELb0EL18RadixRankAlgorithm0ELj256ELj8ELj10EEvPKT_Pi: ; @_Z11rank_kernelIhLj4ELb0EL18RadixRankAlgorithm0ELj256ELj8ELj10EEvPKT_Pi
; %bb.0:
	s_load_dwordx4 s[20:23], s[4:5], 0x0
	s_lshl_b32 s24, s6, 11
	v_lshlrev_b32_e32 v2, 3, v0
	v_mbcnt_lo_u32_b32 v1, -1, 0
	v_mbcnt_hi_u32_b32 v1, -1, v1
	s_waitcnt lgkmcnt(0)
	s_add_u32 s0, s20, s24
	s_addc_u32 s1, s21, 0
	global_load_dwordx2 v[4:5], v2, s[0:1]
	v_add_u32_e32 v12, -1, v1
	v_and_b32_e32 v13, 64, v1
	v_or_b32_e32 v8, 63, v0
	v_lshrrev_b32_e32 v9, 4, v0
	v_cmp_lt_i32_e64 s[18:19], v12, v13
	v_and_b32_e32 v10, 15, v1
	v_and_b32_e32 v11, 16, v1
	v_cmp_lt_u32_e64 s[2:3], 31, v1
	v_cmp_eq_u32_e64 s[4:5], v8, v0
	v_cmp_eq_u32_e64 s[6:7], 0, v1
	v_and_b32_e32 v8, 12, v9
	v_and_b32_e32 v9, 3, v1
	v_cndmask_b32_e64 v1, v12, v1, s[18:19]
	s_movk_i32 s26, 0x700
	v_cmp_eq_u32_e64 s[18:19], 0, v9
	v_cmp_lt_u32_e64 s[20:21], 1, v9
	v_lshlrev_b32_e32 v9, 2, v1
	v_cmp_eq_u32_e64 s[8:9], 0, v10
	v_cmp_lt_u32_e64 s[10:11], 1, v10
	v_cmp_lt_u32_e64 s[12:13], 3, v10
	v_cmp_lt_u32_e64 s[14:15], 7, v10
	v_cmp_eq_u32_e64 s[16:17], 0, v11
	s_mov_b32 s25, 0
	v_mov_b32_e32 v3, 0
	v_lshlrev_b32_e32 v6, 5, v0
	v_cmp_gt_u32_e32 vcc, 4, v0
	v_cmp_lt_u32_e64 s[0:1], 63, v0
	v_lshlrev_b32_e32 v7, 2, v0
	s_mov_b32 s33, s25
	s_waitcnt vmcnt(0)
	v_lshrrev_b32_e32 v1, 8, v4
	v_lshlrev_b32_e32 v13, 4, v4
	v_lshrrev_b32_e32 v14, 6, v4
	v_lshrrev_b32_e32 v19, 18, v4
	;; [unrolled: 1-line block ×3, first 2 shown]
	v_and_or_b32 v13, v13, s26, v0
	v_and_b32_e32 v14, 2, v14
	v_and_or_b32 v1, v1, s26, v0
	v_and_b32_e32 v19, 2, v19
	v_and_or_b32 v31, v10, s26, v0
	v_lshl_or_b32 v10, v13, 2, v14
	v_lshl_or_b32 v14, v1, 2, v19
	v_lshrrev_b32_e32 v1, 20, v4
	v_lshrrev_b32_e32 v18, 10, v4
	v_lshlrev_b32_e32 v21, 8, v5
	v_lshrrev_b32_e32 v22, 2, v5
	v_and_or_b32 v1, v1, s26, v0
	v_and_or_b32 v17, v4, s26, v0
	v_and_b32_e32 v18, 2, v18
	v_and_or_b32 v21, v21, s26, v0
	v_and_b32_e32 v22, 2, v22
	v_alignbit_b32 v1, v1, v4, 30
	v_lshlrev_b32_e32 v15, 8, v4
	v_lshrrev_b32_e32 v16, 2, v4
	v_lshrrev_b32_e32 v20, 26, v4
	;; [unrolled: 1-line block ×6, first 2 shown]
	v_lshl_or_b32 v13, v17, 2, v18
	v_lshl_or_b32 v17, v21, 2, v22
	v_and_b32_e32 v22, 0x1ffe, v1
	v_lshlrev_b32_e32 v1, 4, v5
	v_lshrrev_b32_e32 v4, 6, v5
	v_and_or_b32 v1, v1, s26, v0
	v_and_b32_e32 v4, 2, v4
	v_lshrrev_b32_e32 v24, 10, v5
	v_lshl_or_b32 v19, v1, 2, v4
	v_lshrrev_b32_e32 v1, 4, v5
	v_lshrrev_b32_e32 v4, 14, v5
	v_and_or_b32 v23, v5, s26, v0
	v_and_b32_e32 v24, 2, v24
	v_and_or_b32 v1, v1, s26, v0
	v_and_b32_e32 v4, 2, v4
	v_lshl_or_b32 v18, v23, 2, v24
	v_lshl_or_b32 v23, v1, 2, v4
	v_lshrrev_b32_e32 v1, 12, v5
	v_lshrrev_b32_e32 v4, 22, v5
	v_and_or_b32 v1, v1, s26, v0
	v_and_b32_e32 v4, 2, v4
	v_lshl_or_b32 v24, v1, 2, v4
	v_lshrrev_b32_e32 v1, 20, v5
	v_lshrrev_b32_e32 v11, 8, v5
	v_lshrrev_b32_e32 v12, 16, v5
	v_lshrrev_b32_e32 v25, 18, v5
	v_lshrrev_b32_e32 v26, 26, v5
	v_and_or_b32 v1, v1, s26, v0
	v_and_or_b32 v15, v15, s26, v0
	v_and_b32_e32 v16, 2, v16
	v_and_b32_e32 v20, 2, v20
	v_and_or_b32 v32, v11, s26, v0
	v_and_b32_e32 v25, 2, v25
	v_and_or_b32 v12, v12, s26, v0
	;; [unrolled: 2-line block ×4, first 2 shown]
	v_and_b32_e32 v30, 2, v30
	v_alignbit_b32 v1, v1, v5, 30
	v_lshl_or_b32 v11, v15, 2, v16
	v_lshl_or_b32 v16, v31, 2, v20
	;; [unrolled: 1-line block ×6, first 2 shown]
	v_and_b32_e32 v25, 0x1ffe, v1
	v_or_b32_e32 v1, 0x100, v0
	s_branch .LBB66_2
.LBB66_1:                               ;   in Loop: Header=BB66_2 Depth=1
	s_or_b64 exec, exec, s[26:27]
	s_waitcnt lgkmcnt(0)
	v_add_u32_e32 v32, v33, v32
	ds_bpermute_b32 v32, v9, v32
	ds_read_b32 v34, v3 offset:8204
	s_add_i32 s33, s33, 1
	s_cmp_eq_u32 s33, 10
	s_waitcnt lgkmcnt(1)
	v_cndmask_b32_e64 v35, v32, v33, s[6:7]
	ds_read2_b32 v[32:33], v6 offset1:1
	s_waitcnt lgkmcnt(1)
	v_lshl_add_u32 v38, v34, 16, v35
	ds_read2_b32 v[34:35], v6 offset0:2 offset1:3
	ds_read2_b32 v[36:37], v6 offset0:4 offset1:5
	ds_read_b32 v39, v6 offset:24
	s_waitcnt lgkmcnt(3)
	v_add_u32_e32 v32, v38, v32
	ds_write2_b32 v6, v38, v32 offset1:1
	v_add_u32_e32 v32, v33, v32
	s_waitcnt lgkmcnt(3)
	v_add_u32_e32 v33, v34, v32
	ds_write2_b32 v6, v32, v33 offset0:2 offset1:3
	v_add_u32_e32 v32, v35, v33
	s_waitcnt lgkmcnt(3)
	v_add_u32_e32 v33, v36, v32
	ds_write2_b32 v6, v32, v33 offset0:4 offset1:5
	;; [unrolled: 4-line block ×3, first 2 shown]
	s_waitcnt lgkmcnt(0)
	s_barrier
	s_cbranch_scc1 .LBB66_26
.LBB66_2:                               ; =>This Loop Header: Depth=1
                                        ;     Child Loop BB66_4 Depth 2
                                        ;     Child Loop BB66_16 Depth 2
	s_mov_b64 s[26:27], 0
	s_mov_b32 s34, 0
	v_pk_mov_b32 v[4:5], v[0:1], v[0:1] op_sel:[0,1]
	s_branch .LBB66_4
.LBB66_3:                               ;   in Loop: Header=BB66_4 Depth=2
	s_or_b64 exec, exec, s[30:31]
	s_add_i32 s34, s34, 2
	v_cmp_eq_u32_e64 s[28:29], 8, s34
	v_add_u32_e32 v5, 0x200, v5
	s_or_b64 s[26:27], s[28:29], s[26:27]
	v_add_u32_e32 v4, 0x200, v4
	s_andn2_b64 exec, exec, s[26:27]
	s_cbranch_execz .LBB66_8
.LBB66_4:                               ;   Parent Loop BB66_2 Depth=1
                                        ; =>  This Inner Loop Header: Depth=2
	s_or_b32 s28, s34, 1
	v_cmp_le_u32_e64 s[28:29], s28, 7
	v_cmp_le_u32_e64 s[36:37], s34, 7
	s_and_saveexec_b64 s[30:31], s[36:37]
	s_cbranch_execz .LBB66_6
; %bb.5:                                ;   in Loop: Header=BB66_4 Depth=2
	v_lshlrev_b32_e32 v26, 2, v4
	ds_write_b32 v26, v3
.LBB66_6:                               ;   in Loop: Header=BB66_4 Depth=2
	s_or_b64 exec, exec, s[30:31]
	s_and_saveexec_b64 s[30:31], s[28:29]
	s_cbranch_execz .LBB66_3
; %bb.7:                                ;   in Loop: Header=BB66_4 Depth=2
	v_lshlrev_b32_e32 v26, 2, v5
	ds_write_b32 v26, v3
	s_branch .LBB66_3
.LBB66_8:                               ;   in Loop: Header=BB66_2 Depth=1
	s_or_b64 exec, exec, s[26:27]
	ds_read_u16 v4, v11
	s_waitcnt lgkmcnt(0)
	v_add_u16_e32 v4, 1, v4
	ds_write_b16 v11, v4
	ds_read_u16 v4, v13
	s_waitcnt lgkmcnt(0)
	v_add_u16_e32 v4, 1, v4
	ds_write_b16 v13, v4
	;; [unrolled: 4-line block ×8, first 2 shown]
	s_waitcnt lgkmcnt(0)
	s_barrier
	ds_read2_b32 v[4:5], v6 offset1:1
	ds_read2_b32 v[26:27], v6 offset0:2 offset1:3
	ds_read2_b32 v[28:29], v6 offset0:4 offset1:5
	;; [unrolled: 1-line block ×3, first 2 shown]
	s_waitcnt lgkmcnt(3)
	v_add_u32_e32 v4, v5, v4
	s_waitcnt lgkmcnt(2)
	v_add3_u32 v4, v4, v26, v27
	s_waitcnt lgkmcnt(1)
	v_add3_u32 v4, v4, v28, v29
	s_waitcnt lgkmcnt(0)
	v_add3_u32 v4, v4, v30, v31
	s_nop 1
	v_mov_b32_dpp v5, v4 row_shr:1 row_mask:0xf bank_mask:0xf
	v_cndmask_b32_e64 v5, v5, 0, s[8:9]
	v_add_u32_e32 v4, v5, v4
	s_nop 1
	v_mov_b32_dpp v5, v4 row_shr:2 row_mask:0xf bank_mask:0xf
	v_cndmask_b32_e64 v5, 0, v5, s[10:11]
	v_add_u32_e32 v4, v4, v5
	;; [unrolled: 4-line block ×4, first 2 shown]
	s_nop 1
	v_mov_b32_dpp v5, v4 row_bcast:15 row_mask:0xf bank_mask:0xf
	v_cndmask_b32_e64 v5, v5, 0, s[16:17]
	v_add_u32_e32 v4, v4, v5
	s_nop 1
	v_mov_b32_dpp v5, v4 row_bcast:31 row_mask:0xf bank_mask:0xf
	v_cndmask_b32_e64 v5, 0, v5, s[2:3]
	v_add_u32_e32 v4, v4, v5
	s_and_saveexec_b64 s[26:27], s[4:5]
	s_cbranch_execz .LBB66_10
; %bb.9:                                ;   in Loop: Header=BB66_2 Depth=1
	ds_write_b32 v8, v4 offset:8192
.LBB66_10:                              ;   in Loop: Header=BB66_2 Depth=1
	s_or_b64 exec, exec, s[26:27]
	s_waitcnt lgkmcnt(0)
	s_barrier
	s_and_saveexec_b64 s[26:27], vcc
	s_cbranch_execz .LBB66_12
; %bb.11:                               ;   in Loop: Header=BB66_2 Depth=1
	ds_read_b32 v5, v7 offset:8192
	s_waitcnt lgkmcnt(0)
	s_nop 0
	v_mov_b32_dpp v26, v5 row_shr:1 row_mask:0xf bank_mask:0xf
	v_cndmask_b32_e64 v26, v26, 0, s[18:19]
	v_add_u32_e32 v5, v26, v5
	s_nop 1
	v_mov_b32_dpp v26, v5 row_shr:2 row_mask:0xf bank_mask:0xf
	v_cndmask_b32_e64 v26, 0, v26, s[20:21]
	v_add_u32_e32 v5, v5, v26
	ds_write_b32 v7, v5 offset:8192
.LBB66_12:                              ;   in Loop: Header=BB66_2 Depth=1
	s_or_b64 exec, exec, s[26:27]
	v_mov_b32_e32 v5, 0
	s_waitcnt lgkmcnt(0)
	s_barrier
	s_and_saveexec_b64 s[26:27], s[0:1]
	s_cbranch_execz .LBB66_14
; %bb.13:                               ;   in Loop: Header=BB66_2 Depth=1
	ds_read_b32 v5, v8 offset:8188
.LBB66_14:                              ;   in Loop: Header=BB66_2 Depth=1
	s_or_b64 exec, exec, s[26:27]
	s_waitcnt lgkmcnt(0)
	v_add_u32_e32 v4, v5, v4
	ds_bpermute_b32 v4, v9, v4
	ds_read_b32 v26, v3 offset:8204
	s_mov_b32 s34, 0
	s_mov_b64 s[26:27], 0
	s_waitcnt lgkmcnt(1)
	v_cndmask_b32_e64 v27, v4, v5, s[6:7]
	ds_read2_b32 v[4:5], v6 offset1:1
	s_waitcnt lgkmcnt(1)
	v_lshl_add_u32 v30, v26, 16, v27
	ds_read2_b32 v[26:27], v6 offset0:2 offset1:3
	ds_read2_b32 v[28:29], v6 offset0:4 offset1:5
	ds_read_b32 v31, v6 offset:24
	s_waitcnt lgkmcnt(3)
	v_add_u32_e32 v4, v30, v4
	ds_write2_b32 v6, v30, v4 offset1:1
	v_add_u32_e32 v4, v5, v4
	s_waitcnt lgkmcnt(3)
	v_add_u32_e32 v5, v26, v4
	ds_write2_b32 v6, v4, v5 offset0:2 offset1:3
	v_add_u32_e32 v4, v27, v5
	s_waitcnt lgkmcnt(3)
	v_add_u32_e32 v5, v28, v4
	ds_write2_b32 v6, v4, v5 offset0:4 offset1:5
	;; [unrolled: 4-line block ×3, first 2 shown]
	v_pk_mov_b32 v[4:5], v[0:1], v[0:1] op_sel:[0,1]
	s_waitcnt lgkmcnt(0)
	s_barrier
	s_branch .LBB66_16
.LBB66_15:                              ;   in Loop: Header=BB66_16 Depth=2
	s_or_b64 exec, exec, s[30:31]
	s_add_i32 s34, s34, 2
	v_cmp_eq_u32_e64 s[28:29], 8, s34
	v_add_u32_e32 v5, 0x200, v5
	s_or_b64 s[26:27], s[28:29], s[26:27]
	v_add_u32_e32 v4, 0x200, v4
	s_andn2_b64 exec, exec, s[26:27]
	s_cbranch_execz .LBB66_20
.LBB66_16:                              ;   Parent Loop BB66_2 Depth=1
                                        ; =>  This Inner Loop Header: Depth=2
	s_or_b32 s28, s34, 1
	v_cmp_le_u32_e64 s[28:29], s28, 7
	v_cmp_le_u32_e64 s[36:37], s34, 7
	s_and_saveexec_b64 s[30:31], s[36:37]
	s_cbranch_execz .LBB66_18
; %bb.17:                               ;   in Loop: Header=BB66_16 Depth=2
	v_lshlrev_b32_e32 v26, 2, v4
	ds_write_b32 v26, v3
.LBB66_18:                              ;   in Loop: Header=BB66_16 Depth=2
	s_or_b64 exec, exec, s[30:31]
	s_and_saveexec_b64 s[30:31], s[28:29]
	s_cbranch_execz .LBB66_15
; %bb.19:                               ;   in Loop: Header=BB66_16 Depth=2
	v_lshlrev_b32_e32 v26, 2, v5
	ds_write_b32 v26, v3
	s_branch .LBB66_15
.LBB66_20:                              ;   in Loop: Header=BB66_2 Depth=1
	s_or_b64 exec, exec, s[26:27]
	ds_read_u16 v4, v10
	s_waitcnt lgkmcnt(0)
	v_add_u16_e32 v5, 1, v4
	ds_write_b16 v10, v5
	ds_read_u16 v5, v12
	s_waitcnt lgkmcnt(0)
	v_add_u16_e32 v26, 1, v5
	ds_write_b16 v12, v26
	;; [unrolled: 4-line block ×8, first 2 shown]
	s_waitcnt lgkmcnt(0)
	s_barrier
	ds_read2_b32 v[32:33], v6 offset1:1
	ds_read2_b32 v[34:35], v6 offset0:2 offset1:3
	ds_read2_b32 v[36:37], v6 offset0:4 offset1:5
	;; [unrolled: 1-line block ×3, first 2 shown]
	s_waitcnt lgkmcnt(3)
	v_add_u32_e32 v32, v33, v32
	s_waitcnt lgkmcnt(2)
	v_add3_u32 v32, v32, v34, v35
	s_waitcnt lgkmcnt(1)
	v_add3_u32 v32, v32, v36, v37
	;; [unrolled: 2-line block ×3, first 2 shown]
	s_nop 1
	v_mov_b32_dpp v33, v32 row_shr:1 row_mask:0xf bank_mask:0xf
	v_cndmask_b32_e64 v33, v33, 0, s[8:9]
	v_add_u32_e32 v32, v33, v32
	s_nop 1
	v_mov_b32_dpp v33, v32 row_shr:2 row_mask:0xf bank_mask:0xf
	v_cndmask_b32_e64 v33, 0, v33, s[10:11]
	v_add_u32_e32 v32, v32, v33
	;; [unrolled: 4-line block ×4, first 2 shown]
	s_nop 1
	v_mov_b32_dpp v33, v32 row_bcast:15 row_mask:0xf bank_mask:0xf
	v_cndmask_b32_e64 v33, v33, 0, s[16:17]
	v_add_u32_e32 v32, v32, v33
	s_nop 1
	v_mov_b32_dpp v33, v32 row_bcast:31 row_mask:0xf bank_mask:0xf
	v_cndmask_b32_e64 v33, 0, v33, s[2:3]
	v_add_u32_e32 v32, v32, v33
	s_and_saveexec_b64 s[26:27], s[4:5]
	s_cbranch_execz .LBB66_22
; %bb.21:                               ;   in Loop: Header=BB66_2 Depth=1
	ds_write_b32 v8, v32 offset:8192
.LBB66_22:                              ;   in Loop: Header=BB66_2 Depth=1
	s_or_b64 exec, exec, s[26:27]
	s_waitcnt lgkmcnt(0)
	s_barrier
	s_and_saveexec_b64 s[26:27], vcc
	s_cbranch_execz .LBB66_24
; %bb.23:                               ;   in Loop: Header=BB66_2 Depth=1
	ds_read_b32 v33, v7 offset:8192
	s_waitcnt lgkmcnt(0)
	s_nop 0
	v_mov_b32_dpp v34, v33 row_shr:1 row_mask:0xf bank_mask:0xf
	v_cndmask_b32_e64 v34, v34, 0, s[18:19]
	v_add_u32_e32 v33, v34, v33
	s_nop 1
	v_mov_b32_dpp v34, v33 row_shr:2 row_mask:0xf bank_mask:0xf
	v_cndmask_b32_e64 v34, 0, v34, s[20:21]
	v_add_u32_e32 v33, v33, v34
	ds_write_b32 v7, v33 offset:8192
.LBB66_24:                              ;   in Loop: Header=BB66_2 Depth=1
	s_or_b64 exec, exec, s[26:27]
	v_mov_b32_e32 v33, 0
	s_waitcnt lgkmcnt(0)
	s_barrier
	s_and_saveexec_b64 s[26:27], s[0:1]
	s_cbranch_execz .LBB66_1
; %bb.25:                               ;   in Loop: Header=BB66_2 Depth=1
	ds_read_b32 v33, v8 offset:8188
	s_branch .LBB66_1
.LBB66_26:
	ds_read_u16 v0, v22
	ds_read_u16 v1, v15
	;; [unrolled: 1-line block ×8, first 2 shown]
	s_lshl_b64 s[0:1], s[24:25], 2
	s_add_u32 s0, s22, s0
	s_waitcnt lgkmcnt(4)
	v_add_u32_sdwa v4, v6, v4 dst_sel:DWORD dst_unused:UNUSED_PAD src0_sel:DWORD src1_sel:WORD_0
	v_add_u32_sdwa v5, v3, v5 dst_sel:DWORD dst_unused:UNUSED_PAD src0_sel:DWORD src1_sel:WORD_0
	;; [unrolled: 1-line block ×4, first 2 shown]
	s_addc_u32 s1, s23, s1
	v_lshlrev_b32_e32 v0, 2, v2
	s_waitcnt lgkmcnt(0)
	v_add_u32_sdwa v8, v8, v28 dst_sel:DWORD dst_unused:UNUSED_PAD src0_sel:DWORD src1_sel:WORD_0
	v_add_u32_sdwa v9, v9, v29 dst_sel:DWORD dst_unused:UNUSED_PAD src0_sel:DWORD src1_sel:WORD_0
	;; [unrolled: 1-line block ×4, first 2 shown]
	global_store_dwordx4 v0, v[4:7], s[0:1]
	global_store_dwordx4 v0, v[8:11], s[0:1] offset:16
	s_endpgm
	.section	.rodata,"a",@progbits
	.p2align	6, 0x0
	.amdhsa_kernel _Z11rank_kernelIhLj4ELb0EL18RadixRankAlgorithm0ELj256ELj8ELj10EEvPKT_Pi
		.amdhsa_group_segment_fixed_size 8208
		.amdhsa_private_segment_fixed_size 0
		.amdhsa_kernarg_size 16
		.amdhsa_user_sgpr_count 6
		.amdhsa_user_sgpr_private_segment_buffer 1
		.amdhsa_user_sgpr_dispatch_ptr 0
		.amdhsa_user_sgpr_queue_ptr 0
		.amdhsa_user_sgpr_kernarg_segment_ptr 1
		.amdhsa_user_sgpr_dispatch_id 0
		.amdhsa_user_sgpr_flat_scratch_init 0
		.amdhsa_user_sgpr_kernarg_preload_length 0
		.amdhsa_user_sgpr_kernarg_preload_offset 0
		.amdhsa_user_sgpr_private_segment_size 0
		.amdhsa_uses_dynamic_stack 0
		.amdhsa_system_sgpr_private_segment_wavefront_offset 0
		.amdhsa_system_sgpr_workgroup_id_x 1
		.amdhsa_system_sgpr_workgroup_id_y 0
		.amdhsa_system_sgpr_workgroup_id_z 0
		.amdhsa_system_sgpr_workgroup_info 0
		.amdhsa_system_vgpr_workitem_id 0
		.amdhsa_next_free_vgpr 40
		.amdhsa_next_free_sgpr 38
		.amdhsa_accum_offset 40
		.amdhsa_reserve_vcc 1
		.amdhsa_reserve_flat_scratch 0
		.amdhsa_float_round_mode_32 0
		.amdhsa_float_round_mode_16_64 0
		.amdhsa_float_denorm_mode_32 3
		.amdhsa_float_denorm_mode_16_64 3
		.amdhsa_dx10_clamp 1
		.amdhsa_ieee_mode 1
		.amdhsa_fp16_overflow 0
		.amdhsa_tg_split 0
		.amdhsa_exception_fp_ieee_invalid_op 0
		.amdhsa_exception_fp_denorm_src 0
		.amdhsa_exception_fp_ieee_div_zero 0
		.amdhsa_exception_fp_ieee_overflow 0
		.amdhsa_exception_fp_ieee_underflow 0
		.amdhsa_exception_fp_ieee_inexact 0
		.amdhsa_exception_int_div_zero 0
	.end_amdhsa_kernel
	.section	.text._Z11rank_kernelIhLj4ELb0EL18RadixRankAlgorithm0ELj256ELj8ELj10EEvPKT_Pi,"axG",@progbits,_Z11rank_kernelIhLj4ELb0EL18RadixRankAlgorithm0ELj256ELj8ELj10EEvPKT_Pi,comdat
.Lfunc_end66:
	.size	_Z11rank_kernelIhLj4ELb0EL18RadixRankAlgorithm0ELj256ELj8ELj10EEvPKT_Pi, .Lfunc_end66-_Z11rank_kernelIhLj4ELb0EL18RadixRankAlgorithm0ELj256ELj8ELj10EEvPKT_Pi
                                        ; -- End function
	.section	.AMDGPU.csdata,"",@progbits
; Kernel info:
; codeLenInByte = 2584
; NumSgprs: 42
; NumVgprs: 40
; NumAgprs: 0
; TotalNumVgprs: 40
; ScratchSize: 0
; MemoryBound: 0
; FloatMode: 240
; IeeeMode: 1
; LDSByteSize: 8208 bytes/workgroup (compile time only)
; SGPRBlocks: 5
; VGPRBlocks: 4
; NumSGPRsForWavesPerEU: 42
; NumVGPRsForWavesPerEU: 40
; AccumOffset: 40
; Occupancy: 7
; WaveLimiterHint : 0
; COMPUTE_PGM_RSRC2:SCRATCH_EN: 0
; COMPUTE_PGM_RSRC2:USER_SGPR: 6
; COMPUTE_PGM_RSRC2:TRAP_HANDLER: 0
; COMPUTE_PGM_RSRC2:TGID_X_EN: 1
; COMPUTE_PGM_RSRC2:TGID_Y_EN: 0
; COMPUTE_PGM_RSRC2:TGID_Z_EN: 0
; COMPUTE_PGM_RSRC2:TIDIG_COMP_CNT: 0
; COMPUTE_PGM_RSRC3_GFX90A:ACCUM_OFFSET: 9
; COMPUTE_PGM_RSRC3_GFX90A:TG_SPLIT: 0
	.section	.text._Z11rank_kernelIhLj4ELb0EL18RadixRankAlgorithm1ELj256ELj8ELj10EEvPKT_Pi,"axG",@progbits,_Z11rank_kernelIhLj4ELb0EL18RadixRankAlgorithm1ELj256ELj8ELj10EEvPKT_Pi,comdat
	.protected	_Z11rank_kernelIhLj4ELb0EL18RadixRankAlgorithm1ELj256ELj8ELj10EEvPKT_Pi ; -- Begin function _Z11rank_kernelIhLj4ELb0EL18RadixRankAlgorithm1ELj256ELj8ELj10EEvPKT_Pi
	.globl	_Z11rank_kernelIhLj4ELb0EL18RadixRankAlgorithm1ELj256ELj8ELj10EEvPKT_Pi
	.p2align	8
	.type	_Z11rank_kernelIhLj4ELb0EL18RadixRankAlgorithm1ELj256ELj8ELj10EEvPKT_Pi,@function
_Z11rank_kernelIhLj4ELb0EL18RadixRankAlgorithm1ELj256ELj8ELj10EEvPKT_Pi: ; @_Z11rank_kernelIhLj4ELb0EL18RadixRankAlgorithm1ELj256ELj8ELj10EEvPKT_Pi
; %bb.0:
	s_load_dwordx4 s[20:23], s[4:5], 0x0
	s_lshl_b32 s24, s6, 11
	v_lshlrev_b32_e32 v2, 3, v0
	v_mbcnt_lo_u32_b32 v1, -1, 0
	v_mbcnt_hi_u32_b32 v1, -1, v1
	s_waitcnt lgkmcnt(0)
	s_add_u32 s0, s20, s24
	s_addc_u32 s1, s21, 0
	global_load_dwordx2 v[4:5], v2, s[0:1]
	v_or_b32_e32 v6, 63, v0
	v_cmp_eq_u32_e64 s[4:5], v6, v0
	v_add_u32_e32 v6, -1, v1
	v_and_b32_e32 v10, 64, v1
	v_lshrrev_b32_e32 v7, 4, v0
	v_cmp_lt_i32_e64 s[18:19], v6, v10
	v_and_b32_e32 v8, 15, v1
	v_and_b32_e32 v9, 16, v1
	v_cmp_lt_u32_e64 s[2:3], 31, v1
	v_cmp_eq_u32_e64 s[6:7], 0, v1
	v_and_b32_e32 v14, 12, v7
	v_and_b32_e32 v7, 3, v1
	v_cndmask_b32_e64 v1, v6, v1, s[18:19]
	s_movk_i32 s26, 0x700
	v_lshlrev_b32_e32 v15, 2, v1
	v_cmp_eq_u32_e64 s[16:17], 0, v9
	v_cmp_eq_u32_e64 s[18:19], 0, v7
	v_cmp_lt_u32_e64 s[20:21], 1, v7
	v_cmp_eq_u32_e64 s[8:9], 0, v8
	v_cmp_lt_u32_e64 s[10:11], 1, v8
	v_cmp_lt_u32_e64 s[12:13], 3, v8
	;; [unrolled: 1-line block ×3, first 2 shown]
	s_mov_b32 s25, 0
	v_mov_b32_e32 v3, 0
	v_lshlrev_b32_e32 v12, 5, v0
	v_cmp_gt_u32_e32 vcc, 4, v0
	v_cmp_lt_u32_e64 s[0:1], 63, v0
	v_lshlrev_b32_e32 v13, 2, v0
	s_mov_b32 s33, s25
	s_waitcnt vmcnt(0)
	v_lshrrev_b32_e32 v1, 8, v4
	v_lshrrev_b32_e32 v19, 18, v4
	;; [unrolled: 1-line block ×3, first 2 shown]
	v_and_or_b32 v1, v1, s26, v0
	v_and_b32_e32 v33, 2, v19
	v_and_b32_e32 v34, 2, v20
	v_lshl_or_b32 v20, v1, 2, v33
	v_lshrrev_b32_e32 v1, 20, v4
	v_lshrrev_b32_e32 v17, 10, v4
	;; [unrolled: 1-line block ×4, first 2 shown]
	v_and_or_b32 v1, v1, s26, v0
	v_and_or_b32 v18, v4, s26, v0
	v_and_b32_e32 v32, 2, v17
	v_and_or_b32 v38, v27, s26, v0
	v_and_b32_e32 v28, 2, v28
	v_alignbit_b32 v1, v1, v4, 30
	v_lshrrev_b32_e32 v6, 16, v4
	v_lshrrev_b32_e32 v7, 8, v5
	v_lshlrev_b32_e32 v9, 4, v4
	v_lshrrev_b32_e32 v10, 6, v4
	v_lshlrev_b32_e32 v11, 8, v4
	v_lshrrev_b32_e32 v16, 2, v4
	v_lshrrev_b32_e32 v25, 18, v5
	;; [unrolled: 1-line block ×4, first 2 shown]
	v_lshl_or_b32 v19, v18, 2, v32
	v_lshl_or_b32 v18, v38, 2, v28
	v_and_b32_e32 v28, 0x1ffe, v1
	v_lshlrev_b32_e32 v1, 4, v5
	v_lshrrev_b32_e32 v4, 6, v5
	v_lshrrev_b32_e32 v26, 26, v5
	v_and_or_b32 v7, v7, s26, v0
	v_and_b32_e32 v25, 2, v25
	v_and_or_b32 v1, v1, s26, v0
	v_and_b32_e32 v4, 2, v4
	v_lshlrev_b32_e32 v21, 8, v5
	v_lshrrev_b32_e32 v22, 2, v5
	v_and_b32_e32 v37, 2, v26
	v_lshl_or_b32 v26, v7, 2, v25
	v_lshl_or_b32 v25, v1, 2, v4
	v_lshrrev_b32_e32 v1, 4, v5
	v_lshrrev_b32_e32 v4, 14, v5
	;; [unrolled: 1-line block ×3, first 2 shown]
	v_and_or_b32 v21, v21, s26, v0
	v_and_b32_e32 v35, 2, v22
	v_and_or_b32 v29, v29, s26, v0
	v_and_b32_e32 v30, 2, v30
	;; [unrolled: 2-line block ×3, first 2 shown]
	v_and_b32_e32 v36, 2, v23
	v_lshl_or_b32 v23, v21, 2, v35
	v_lshl_or_b32 v21, v29, 2, v30
	;; [unrolled: 1-line block ×3, first 2 shown]
	v_lshrrev_b32_e32 v1, 12, v5
	v_lshrrev_b32_e32 v4, 22, v5
	v_and_or_b32 v1, v1, s26, v0
	v_and_b32_e32 v4, 2, v4
	v_lshl_or_b32 v30, v1, 2, v4
	v_lshrrev_b32_e32 v1, 20, v5
	v_lshrrev_b32_e32 v8, 16, v5
	v_and_or_b32 v1, v1, s26, v0
	v_and_or_b32 v24, v5, s26, v0
	;; [unrolled: 1-line block ×3, first 2 shown]
	v_and_b32_e32 v10, 2, v10
	v_and_or_b32 v11, v11, s26, v0
	v_and_b32_e32 v31, 2, v16
	v_and_or_b32 v6, v6, s26, v0
	v_and_or_b32 v8, v8, s26, v0
	v_alignbit_b32 v1, v1, v5, 30
	v_lshl_or_b32 v16, v9, 2, v10
	v_lshl_or_b32 v17, v11, 2, v31
	;; [unrolled: 1-line block ×5, first 2 shown]
	v_and_b32_e32 v31, 0x1ffe, v1
	v_or_b32_e32 v1, 0x100, v0
	s_branch .LBB67_2
.LBB67_1:                               ;   in Loop: Header=BB67_2 Depth=1
	s_or_b64 exec, exec, s[26:27]
	s_waitcnt lgkmcnt(0)
	v_add_u32_e32 v5, v40, v5
	ds_bpermute_b32 v5, v15, v5
	ds_read_b32 v41, v3 offset:8204
	s_add_i32 s33, s33, 1
	s_cmp_eq_u32 s33, 10
	s_waitcnt lgkmcnt(1)
	v_cndmask_b32_e64 v5, v5, v40, s[6:7]
	s_waitcnt lgkmcnt(0)
	v_lshl_add_u32 v5, v41, 16, v5
	v_add_u32_e32 v10, v5, v10
	v_add_u32_e32 v11, v10, v11
	ds_write2_b32 v12, v5, v10 offset1:1
	v_add_u32_e32 v5, v11, v8
	v_add_u32_e32 v8, v5, v9
	ds_write2_b32 v12, v11, v5 offset0:2 offset1:3
	v_add_u32_e32 v5, v8, v6
	v_add_u32_e32 v6, v5, v7
	;; [unrolled: 1-line block ×3, first 2 shown]
	ds_write2_b32 v12, v8, v5 offset0:4 offset1:5
	ds_write2_b32 v12, v6, v4 offset0:6 offset1:7
	s_waitcnt lgkmcnt(0)
	s_barrier
	s_cbranch_scc1 .LBB67_26
.LBB67_2:                               ; =>This Loop Header: Depth=1
                                        ;     Child Loop BB67_4 Depth 2
                                        ;     Child Loop BB67_16 Depth 2
	s_mov_b64 s[26:27], 0
	s_mov_b32 s34, 0
	v_pk_mov_b32 v[4:5], v[0:1], v[0:1] op_sel:[0,1]
	s_branch .LBB67_4
.LBB67_3:                               ;   in Loop: Header=BB67_4 Depth=2
	s_or_b64 exec, exec, s[30:31]
	s_add_i32 s34, s34, 2
	v_cmp_eq_u32_e64 s[28:29], 8, s34
	v_add_u32_e32 v5, 0x200, v5
	s_or_b64 s[26:27], s[28:29], s[26:27]
	v_add_u32_e32 v4, 0x200, v4
	s_andn2_b64 exec, exec, s[26:27]
	s_cbranch_execz .LBB67_8
.LBB67_4:                               ;   Parent Loop BB67_2 Depth=1
                                        ; =>  This Inner Loop Header: Depth=2
	s_or_b32 s28, s34, 1
	v_cmp_le_u32_e64 s[28:29], s28, 7
	v_cmp_le_u32_e64 s[36:37], s34, 7
	s_and_saveexec_b64 s[30:31], s[36:37]
	s_cbranch_execz .LBB67_6
; %bb.5:                                ;   in Loop: Header=BB67_4 Depth=2
	v_lshlrev_b32_e32 v6, 2, v4
	ds_write_b32 v6, v3
.LBB67_6:                               ;   in Loop: Header=BB67_4 Depth=2
	s_or_b64 exec, exec, s[30:31]
	s_and_saveexec_b64 s[30:31], s[28:29]
	s_cbranch_execz .LBB67_3
; %bb.7:                                ;   in Loop: Header=BB67_4 Depth=2
	v_lshlrev_b32_e32 v6, 2, v5
	ds_write_b32 v6, v3
	s_branch .LBB67_3
.LBB67_8:                               ;   in Loop: Header=BB67_2 Depth=1
	s_or_b64 exec, exec, s[26:27]
	ds_read_u16 v4, v17
	s_waitcnt lgkmcnt(0)
	v_add_u16_e32 v4, 1, v4
	ds_write_b16 v17, v4
	ds_read_u16 v4, v19
	s_waitcnt lgkmcnt(0)
	v_add_u16_e32 v4, 1, v4
	ds_write_b16 v19, v4
	;; [unrolled: 4-line block ×8, first 2 shown]
	s_waitcnt lgkmcnt(0)
	s_barrier
	ds_read2_b32 v[10:11], v12 offset1:1
	ds_read2_b32 v[8:9], v12 offset0:2 offset1:3
	ds_read2_b32 v[6:7], v12 offset0:4 offset1:5
	;; [unrolled: 1-line block ×3, first 2 shown]
	s_waitcnt lgkmcnt(3)
	v_add_u32_e32 v32, v11, v10
	s_waitcnt lgkmcnt(2)
	v_add3_u32 v32, v32, v8, v9
	s_waitcnt lgkmcnt(1)
	v_add3_u32 v32, v32, v6, v7
	;; [unrolled: 2-line block ×3, first 2 shown]
	s_nop 1
	v_mov_b32_dpp v32, v5 row_shr:1 row_mask:0xf bank_mask:0xf
	v_cndmask_b32_e64 v32, v32, 0, s[8:9]
	v_add_u32_e32 v5, v32, v5
	s_nop 1
	v_mov_b32_dpp v32, v5 row_shr:2 row_mask:0xf bank_mask:0xf
	v_cndmask_b32_e64 v32, 0, v32, s[10:11]
	v_add_u32_e32 v5, v5, v32
	;; [unrolled: 4-line block ×4, first 2 shown]
	s_nop 1
	v_mov_b32_dpp v32, v5 row_bcast:15 row_mask:0xf bank_mask:0xf
	v_cndmask_b32_e64 v32, v32, 0, s[16:17]
	v_add_u32_e32 v5, v5, v32
	s_nop 1
	v_mov_b32_dpp v32, v5 row_bcast:31 row_mask:0xf bank_mask:0xf
	v_cndmask_b32_e64 v32, 0, v32, s[2:3]
	v_add_u32_e32 v5, v5, v32
	s_and_saveexec_b64 s[26:27], s[4:5]
	s_cbranch_execz .LBB67_10
; %bb.9:                                ;   in Loop: Header=BB67_2 Depth=1
	ds_write_b32 v14, v5 offset:8192
.LBB67_10:                              ;   in Loop: Header=BB67_2 Depth=1
	s_or_b64 exec, exec, s[26:27]
	s_waitcnt lgkmcnt(0)
	s_barrier
	s_and_saveexec_b64 s[26:27], vcc
	s_cbranch_execz .LBB67_12
; %bb.11:                               ;   in Loop: Header=BB67_2 Depth=1
	ds_read_b32 v32, v13 offset:8192
	s_waitcnt lgkmcnt(0)
	s_nop 0
	v_mov_b32_dpp v33, v32 row_shr:1 row_mask:0xf bank_mask:0xf
	v_cndmask_b32_e64 v33, v33, 0, s[18:19]
	v_add_u32_e32 v32, v33, v32
	s_nop 1
	v_mov_b32_dpp v33, v32 row_shr:2 row_mask:0xf bank_mask:0xf
	v_cndmask_b32_e64 v33, 0, v33, s[20:21]
	v_add_u32_e32 v32, v32, v33
	ds_write_b32 v13, v32 offset:8192
.LBB67_12:                              ;   in Loop: Header=BB67_2 Depth=1
	s_or_b64 exec, exec, s[26:27]
	v_mov_b32_e32 v32, 0
	s_waitcnt lgkmcnt(0)
	s_barrier
	s_and_saveexec_b64 s[26:27], s[0:1]
	s_cbranch_execz .LBB67_14
; %bb.13:                               ;   in Loop: Header=BB67_2 Depth=1
	ds_read_b32 v32, v14 offset:8188
.LBB67_14:                              ;   in Loop: Header=BB67_2 Depth=1
	s_or_b64 exec, exec, s[26:27]
	s_waitcnt lgkmcnt(0)
	v_add_u32_e32 v5, v32, v5
	ds_bpermute_b32 v5, v15, v5
	ds_read_b32 v33, v3 offset:8204
	s_mov_b32 s34, 0
	s_mov_b64 s[26:27], 0
	s_waitcnt lgkmcnt(1)
	v_cndmask_b32_e64 v5, v5, v32, s[6:7]
	s_waitcnt lgkmcnt(0)
	v_lshl_add_u32 v5, v33, 16, v5
	v_add_u32_e32 v10, v5, v10
	v_add_u32_e32 v11, v10, v11
	ds_write2_b32 v12, v5, v10 offset1:1
	v_add_u32_e32 v5, v11, v8
	v_add_u32_e32 v8, v5, v9
	ds_write2_b32 v12, v11, v5 offset0:2 offset1:3
	v_add_u32_e32 v5, v8, v6
	v_add_u32_e32 v6, v5, v7
	;; [unrolled: 1-line block ×3, first 2 shown]
	ds_write2_b32 v12, v8, v5 offset0:4 offset1:5
	ds_write2_b32 v12, v6, v4 offset0:6 offset1:7
	v_pk_mov_b32 v[4:5], v[0:1], v[0:1] op_sel:[0,1]
	s_waitcnt lgkmcnt(0)
	s_barrier
	s_branch .LBB67_16
.LBB67_15:                              ;   in Loop: Header=BB67_16 Depth=2
	s_or_b64 exec, exec, s[30:31]
	s_add_i32 s34, s34, 2
	v_cmp_eq_u32_e64 s[28:29], 8, s34
	v_add_u32_e32 v5, 0x200, v5
	s_or_b64 s[26:27], s[28:29], s[26:27]
	v_add_u32_e32 v4, 0x200, v4
	s_andn2_b64 exec, exec, s[26:27]
	s_cbranch_execz .LBB67_20
.LBB67_16:                              ;   Parent Loop BB67_2 Depth=1
                                        ; =>  This Inner Loop Header: Depth=2
	s_or_b32 s28, s34, 1
	v_cmp_le_u32_e64 s[28:29], s28, 7
	v_cmp_le_u32_e64 s[36:37], s34, 7
	s_and_saveexec_b64 s[30:31], s[36:37]
	s_cbranch_execz .LBB67_18
; %bb.17:                               ;   in Loop: Header=BB67_16 Depth=2
	v_lshlrev_b32_e32 v6, 2, v4
	ds_write_b32 v6, v3
.LBB67_18:                              ;   in Loop: Header=BB67_16 Depth=2
	s_or_b64 exec, exec, s[30:31]
	s_and_saveexec_b64 s[30:31], s[28:29]
	s_cbranch_execz .LBB67_15
; %bb.19:                               ;   in Loop: Header=BB67_16 Depth=2
	v_lshlrev_b32_e32 v6, 2, v5
	ds_write_b32 v6, v3
	s_branch .LBB67_15
.LBB67_20:                              ;   in Loop: Header=BB67_2 Depth=1
	s_or_b64 exec, exec, s[26:27]
	ds_read_u16 v32, v16
	s_waitcnt lgkmcnt(0)
	v_add_u16_e32 v4, 1, v32
	ds_write_b16 v16, v4
	ds_read_u16 v33, v18
	s_waitcnt lgkmcnt(0)
	v_add_u16_e32 v4, 1, v33
	ds_write_b16 v18, v4
	ds_read_u16 v34, v21
	s_waitcnt lgkmcnt(0)
	v_add_u16_e32 v4, 1, v34
	ds_write_b16 v21, v4
	ds_read_u16 v35, v28
	s_waitcnt lgkmcnt(0)
	v_add_u16_e32 v4, 1, v35
	ds_write_b16 v28, v4
	ds_read_u16 v36, v25
	s_waitcnt lgkmcnt(0)
	v_add_u16_e32 v4, 1, v36
	ds_write_b16 v25, v4
	ds_read_u16 v37, v29
	s_waitcnt lgkmcnt(0)
	v_add_u16_e32 v4, 1, v37
	ds_write_b16 v29, v4
	ds_read_u16 v38, v30
	s_waitcnt lgkmcnt(0)
	v_add_u16_e32 v4, 1, v38
	ds_write_b16 v30, v4
	ds_read_u16 v39, v31
	s_waitcnt lgkmcnt(0)
	v_add_u16_e32 v4, 1, v39
	ds_write_b16 v31, v4
	s_waitcnt lgkmcnt(0)
	s_barrier
	ds_read2_b32 v[10:11], v12 offset1:1
	ds_read2_b32 v[8:9], v12 offset0:2 offset1:3
	ds_read2_b32 v[6:7], v12 offset0:4 offset1:5
	;; [unrolled: 1-line block ×3, first 2 shown]
	s_waitcnt lgkmcnt(3)
	v_add_u32_e32 v40, v11, v10
	s_waitcnt lgkmcnt(2)
	v_add3_u32 v40, v40, v8, v9
	s_waitcnt lgkmcnt(1)
	v_add3_u32 v40, v40, v6, v7
	;; [unrolled: 2-line block ×3, first 2 shown]
	s_nop 1
	v_mov_b32_dpp v40, v5 row_shr:1 row_mask:0xf bank_mask:0xf
	v_cndmask_b32_e64 v40, v40, 0, s[8:9]
	v_add_u32_e32 v5, v40, v5
	s_nop 1
	v_mov_b32_dpp v40, v5 row_shr:2 row_mask:0xf bank_mask:0xf
	v_cndmask_b32_e64 v40, 0, v40, s[10:11]
	v_add_u32_e32 v5, v5, v40
	;; [unrolled: 4-line block ×4, first 2 shown]
	s_nop 1
	v_mov_b32_dpp v40, v5 row_bcast:15 row_mask:0xf bank_mask:0xf
	v_cndmask_b32_e64 v40, v40, 0, s[16:17]
	v_add_u32_e32 v5, v5, v40
	s_nop 1
	v_mov_b32_dpp v40, v5 row_bcast:31 row_mask:0xf bank_mask:0xf
	v_cndmask_b32_e64 v40, 0, v40, s[2:3]
	v_add_u32_e32 v5, v5, v40
	s_and_saveexec_b64 s[26:27], s[4:5]
	s_cbranch_execz .LBB67_22
; %bb.21:                               ;   in Loop: Header=BB67_2 Depth=1
	ds_write_b32 v14, v5 offset:8192
.LBB67_22:                              ;   in Loop: Header=BB67_2 Depth=1
	s_or_b64 exec, exec, s[26:27]
	s_waitcnt lgkmcnt(0)
	s_barrier
	s_and_saveexec_b64 s[26:27], vcc
	s_cbranch_execz .LBB67_24
; %bb.23:                               ;   in Loop: Header=BB67_2 Depth=1
	ds_read_b32 v40, v13 offset:8192
	s_waitcnt lgkmcnt(0)
	s_nop 0
	v_mov_b32_dpp v41, v40 row_shr:1 row_mask:0xf bank_mask:0xf
	v_cndmask_b32_e64 v41, v41, 0, s[18:19]
	v_add_u32_e32 v40, v41, v40
	s_nop 1
	v_mov_b32_dpp v41, v40 row_shr:2 row_mask:0xf bank_mask:0xf
	v_cndmask_b32_e64 v41, 0, v41, s[20:21]
	v_add_u32_e32 v40, v40, v41
	ds_write_b32 v13, v40 offset:8192
.LBB67_24:                              ;   in Loop: Header=BB67_2 Depth=1
	s_or_b64 exec, exec, s[26:27]
	v_mov_b32_e32 v40, 0
	s_waitcnt lgkmcnt(0)
	s_barrier
	s_and_saveexec_b64 s[26:27], s[0:1]
	s_cbranch_execz .LBB67_1
; %bb.25:                               ;   in Loop: Header=BB67_2 Depth=1
	ds_read_b32 v40, v14 offset:8188
	s_branch .LBB67_1
.LBB67_26:
	ds_read_u16 v0, v28
	ds_read_u16 v1, v21
	;; [unrolled: 1-line block ×8, first 2 shown]
	s_lshl_b64 s[0:1], s[24:25], 2
	s_add_u32 s0, s22, s0
	s_waitcnt lgkmcnt(4)
	v_add_u32_sdwa v4, v4, v32 dst_sel:DWORD dst_unused:UNUSED_PAD src0_sel:DWORD src1_sel:WORD_0
	v_add_u32_sdwa v5, v3, v33 dst_sel:DWORD dst_unused:UNUSED_PAD src0_sel:DWORD src1_sel:WORD_0
	;; [unrolled: 1-line block ×4, first 2 shown]
	s_addc_u32 s1, s23, s1
	v_lshlrev_b32_e32 v0, 2, v2
	s_waitcnt lgkmcnt(0)
	v_add_u32_sdwa v8, v8, v36 dst_sel:DWORD dst_unused:UNUSED_PAD src0_sel:DWORD src1_sel:WORD_0
	v_add_u32_sdwa v9, v9, v37 dst_sel:DWORD dst_unused:UNUSED_PAD src0_sel:DWORD src1_sel:WORD_0
	;; [unrolled: 1-line block ×4, first 2 shown]
	global_store_dwordx4 v0, v[4:7], s[0:1]
	global_store_dwordx4 v0, v[8:11], s[0:1] offset:16
	s_endpgm
	.section	.rodata,"a",@progbits
	.p2align	6, 0x0
	.amdhsa_kernel _Z11rank_kernelIhLj4ELb0EL18RadixRankAlgorithm1ELj256ELj8ELj10EEvPKT_Pi
		.amdhsa_group_segment_fixed_size 8208
		.amdhsa_private_segment_fixed_size 0
		.amdhsa_kernarg_size 16
		.amdhsa_user_sgpr_count 6
		.amdhsa_user_sgpr_private_segment_buffer 1
		.amdhsa_user_sgpr_dispatch_ptr 0
		.amdhsa_user_sgpr_queue_ptr 0
		.amdhsa_user_sgpr_kernarg_segment_ptr 1
		.amdhsa_user_sgpr_dispatch_id 0
		.amdhsa_user_sgpr_flat_scratch_init 0
		.amdhsa_user_sgpr_kernarg_preload_length 0
		.amdhsa_user_sgpr_kernarg_preload_offset 0
		.amdhsa_user_sgpr_private_segment_size 0
		.amdhsa_uses_dynamic_stack 0
		.amdhsa_system_sgpr_private_segment_wavefront_offset 0
		.amdhsa_system_sgpr_workgroup_id_x 1
		.amdhsa_system_sgpr_workgroup_id_y 0
		.amdhsa_system_sgpr_workgroup_id_z 0
		.amdhsa_system_sgpr_workgroup_info 0
		.amdhsa_system_vgpr_workitem_id 0
		.amdhsa_next_free_vgpr 42
		.amdhsa_next_free_sgpr 38
		.amdhsa_accum_offset 44
		.amdhsa_reserve_vcc 1
		.amdhsa_reserve_flat_scratch 0
		.amdhsa_float_round_mode_32 0
		.amdhsa_float_round_mode_16_64 0
		.amdhsa_float_denorm_mode_32 3
		.amdhsa_float_denorm_mode_16_64 3
		.amdhsa_dx10_clamp 1
		.amdhsa_ieee_mode 1
		.amdhsa_fp16_overflow 0
		.amdhsa_tg_split 0
		.amdhsa_exception_fp_ieee_invalid_op 0
		.amdhsa_exception_fp_denorm_src 0
		.amdhsa_exception_fp_ieee_div_zero 0
		.amdhsa_exception_fp_ieee_overflow 0
		.amdhsa_exception_fp_ieee_underflow 0
		.amdhsa_exception_fp_ieee_inexact 0
		.amdhsa_exception_int_div_zero 0
	.end_amdhsa_kernel
	.section	.text._Z11rank_kernelIhLj4ELb0EL18RadixRankAlgorithm1ELj256ELj8ELj10EEvPKT_Pi,"axG",@progbits,_Z11rank_kernelIhLj4ELb0EL18RadixRankAlgorithm1ELj256ELj8ELj10EEvPKT_Pi,comdat
.Lfunc_end67:
	.size	_Z11rank_kernelIhLj4ELb0EL18RadixRankAlgorithm1ELj256ELj8ELj10EEvPKT_Pi, .Lfunc_end67-_Z11rank_kernelIhLj4ELb0EL18RadixRankAlgorithm1ELj256ELj8ELj10EEvPKT_Pi
                                        ; -- End function
	.section	.AMDGPU.csdata,"",@progbits
; Kernel info:
; codeLenInByte = 2488
; NumSgprs: 42
; NumVgprs: 42
; NumAgprs: 0
; TotalNumVgprs: 42
; ScratchSize: 0
; MemoryBound: 0
; FloatMode: 240
; IeeeMode: 1
; LDSByteSize: 8208 bytes/workgroup (compile time only)
; SGPRBlocks: 5
; VGPRBlocks: 5
; NumSGPRsForWavesPerEU: 42
; NumVGPRsForWavesPerEU: 42
; AccumOffset: 44
; Occupancy: 7
; WaveLimiterHint : 0
; COMPUTE_PGM_RSRC2:SCRATCH_EN: 0
; COMPUTE_PGM_RSRC2:USER_SGPR: 6
; COMPUTE_PGM_RSRC2:TRAP_HANDLER: 0
; COMPUTE_PGM_RSRC2:TGID_X_EN: 1
; COMPUTE_PGM_RSRC2:TGID_Y_EN: 0
; COMPUTE_PGM_RSRC2:TGID_Z_EN: 0
; COMPUTE_PGM_RSRC2:TIDIG_COMP_CNT: 0
; COMPUTE_PGM_RSRC3_GFX90A:ACCUM_OFFSET: 10
; COMPUTE_PGM_RSRC3_GFX90A:TG_SPLIT: 0
	.section	.text._Z11rank_kernelIhLj4ELb0EL18RadixRankAlgorithm2ELj256ELj8ELj10EEvPKT_Pi,"axG",@progbits,_Z11rank_kernelIhLj4ELb0EL18RadixRankAlgorithm2ELj256ELj8ELj10EEvPKT_Pi,comdat
	.protected	_Z11rank_kernelIhLj4ELb0EL18RadixRankAlgorithm2ELj256ELj8ELj10EEvPKT_Pi ; -- Begin function _Z11rank_kernelIhLj4ELb0EL18RadixRankAlgorithm2ELj256ELj8ELj10EEvPKT_Pi
	.globl	_Z11rank_kernelIhLj4ELb0EL18RadixRankAlgorithm2ELj256ELj8ELj10EEvPKT_Pi
	.p2align	8
	.type	_Z11rank_kernelIhLj4ELb0EL18RadixRankAlgorithm2ELj256ELj8ELj10EEvPKT_Pi,@function
_Z11rank_kernelIhLj4ELb0EL18RadixRankAlgorithm2ELj256ELj8ELj10EEvPKT_Pi: ; @_Z11rank_kernelIhLj4ELb0EL18RadixRankAlgorithm2ELj256ELj8ELj10EEvPKT_Pi
; %bb.0:
	s_load_dwordx4 s[8:11], s[4:5], 0x0
	s_load_dword s2, s[4:5], 0x1c
	s_lshl_b32 s6, s6, 11
	v_and_b32_e32 v100, 0x3ff, v0
                                        ; implicit-def: $vgpr173 : SGPR spill to VGPR lane
	v_lshlrev_b32_e32 v2, 3, v100
	s_waitcnt lgkmcnt(0)
	s_add_u32 s0, s8, s6
	v_writelane_b32 v173, s8, 0
	s_addc_u32 s1, s9, 0
	global_load_dwordx2 v[6:7], v2, s[0:1]
	v_bfe_u32 v3, v0, 10, 10
	v_bfe_u32 v0, v0, 20, 10
	s_lshr_b32 s0, s2, 16
	v_writelane_b32 v173, s9, 1
	s_and_b32 s1, s2, 0xffff
	v_mad_u32_u24 v0, v0, s0, v3
	v_writelane_b32 v173, s10, 2
	v_mov_b32_e32 v4, 0
	v_mad_u64_u32 v[90:91], s[0:1], v0, s1, v[100:101]
	v_writelane_b32 v173, s11, 3
	v_mbcnt_lo_u32_b32 v1, -1, 0
	v_mbcnt_hi_u32_b32 v85, -1, v1
	v_mov_b32_e32 v8, 30
	v_mov_b32_e32 v10, 29
	;; [unrolled: 1-line block ×3, first 2 shown]
	s_mov_b32 s7, 0
                                        ; implicit-def: $vgpr172 : SGPR spill to VGPR lane
	v_and_b32_e32 v168, 15, v85
	v_and_b32_e32 v169, 16, v85
	v_or_b32_e32 v170, 63, v100
	v_and_b32_e32 v171, 3, v85
	v_writelane_b32 v172, s6, 0
	v_lshlrev_b32_e32 v134, 2, v100
	v_writelane_b32 v172, s7, 1
	v_cmp_eq_u32_e64 s[94:95], v170, v100
	v_cmp_lt_u32_e64 s[2:3], 63, v100
	v_cmp_eq_u32_e64 s[4:5], 0, v168
	v_cmp_lt_u32_e64 s[6:7], 1, v168
	v_cmp_lt_u32_e64 s[8:9], 3, v168
	;; [unrolled: 1-line block ×3, first 2 shown]
	v_cmp_eq_u32_e64 s[12:13], 0, v169
	v_cmp_lt_u32_e64 s[14:15], 31, v85
	v_cmp_eq_u32_e64 s[56:57], 0, v85
	v_cmp_eq_u32_e64 s[16:17], 0, v171
	v_cmp_lt_u32_e64 s[18:19], 1, v171
	s_mov_b32 s33, 10
	s_waitcnt vmcnt(0)
	v_lshlrev_b32_e32 v5, 30, v6
	v_and_b32_e32 v87, 1, v6
	v_cmp_gt_i64_e64 s[0:1], 0, v[4:5]
	v_bfe_u32 v1, v6, 8, 1
	v_writelane_b32 v173, s0, 4
	v_add_co_u32_e32 v99, vcc, -1, v87
	v_bfe_u32 v3, v6, 16, 1
	v_writelane_b32 v173, s1, 5
	v_addc_co_u32_e64 v102, s[0:1], 0, -1, vcc
	v_add_co_u32_e32 v103, vcc, -1, v1
	v_bfe_u32 v9, v6, 24, 1
	v_addc_co_u32_e64 v104, s[0:1], 0, -1, vcc
	v_add_co_u32_e32 v105, vcc, -1, v3
	v_and_b32_e32 v91, 1, v7
	v_addc_co_u32_e64 v106, s[0:1], 0, -1, vcc
	v_add_co_u32_e32 v107, vcc, -1, v9
	v_bfe_u32 v11, v7, 8, 1
	v_addc_co_u32_e64 v108, s[0:1], 0, -1, vcc
	v_add_co_u32_e32 v109, vcc, -1, v91
	v_addc_co_u32_e64 v110, s[0:1], 0, -1, vcc
	v_add_co_u32_e32 v111, vcc, -1, v11
	v_not_b32_e32 v0, v5
	v_lshlrev_b32_e32 v5, 29, v6
	v_addc_co_u32_e64 v112, s[0:1], 0, -1, vcc
	v_cmp_gt_i64_e64 s[0:1], 0, v[4:5]
	v_writelane_b32 v173, s0, 6
	v_not_b32_e32 v1, v5
	v_lshlrev_b32_e32 v5, 28, v6
	v_lshrrev_b32_e32 v13, 8, v6
	v_writelane_b32 v173, s1, 7
	v_cmp_gt_i64_e64 s[0:1], 0, v[4:5]
	v_writelane_b32 v173, s0, 8
	v_not_b32_e32 v3, v5
	v_lshlrev_b32_e32 v5, 30, v13
	v_writelane_b32 v173, s1, 9
	v_cmp_gt_i64_e64 s[0:1], 0, v[4:5]
	v_writelane_b32 v173, s0, 10
	v_not_b32_e32 v9, v5
	v_lshlrev_b32_e32 v5, 29, v13
	;; [unrolled: 5-line block ×3, first 2 shown]
	v_writelane_b32 v173, s1, 13
	v_cmp_gt_i64_e64 s[0:1], 0, v[4:5]
	v_writelane_b32 v173, s0, 14
	v_not_b32_e32 v13, v5
	v_lshlrev_b32_sdwa v5, v8, v6 dst_sel:DWORD dst_unused:UNUSED_PAD src0_sel:DWORD src1_sel:WORD_1
	v_writelane_b32 v173, s1, 15
	v_cmp_gt_i64_e64 s[0:1], 0, v[4:5]
	v_writelane_b32 v173, s0, 16
	v_not_b32_e32 v15, v5
	v_lshlrev_b32_sdwa v5, v10, v6 dst_sel:DWORD dst_unused:UNUSED_PAD src0_sel:DWORD src1_sel:WORD_1
	;; [unrolled: 5-line block ×3, first 2 shown]
	v_writelane_b32 v173, s1, 19
	v_cmp_gt_i64_e64 s[0:1], 0, v[4:5]
	v_writelane_b32 v173, s0, 20
	v_not_b32_e32 v19, v5
	v_lshlrev_b32_sdwa v5, v8, v6 dst_sel:DWORD dst_unused:UNUSED_PAD src0_sel:DWORD src1_sel:BYTE_3
	v_writelane_b32 v173, s1, 21
	v_cmp_gt_i64_e64 s[0:1], 0, v[4:5]
	v_writelane_b32 v173, s0, 22
	v_not_b32_e32 v21, v5
	v_lshlrev_b32_sdwa v5, v10, v6 dst_sel:DWORD dst_unused:UNUSED_PAD src0_sel:DWORD src1_sel:BYTE_3
	;; [unrolled: 5-line block ×3, first 2 shown]
	v_writelane_b32 v173, s1, 25
	v_cmp_gt_i64_e64 s[0:1], 0, v[4:5]
	v_writelane_b32 v173, s0, 26
	v_not_b32_e32 v25, v5
	v_lshlrev_b32_e32 v5, 30, v7
	v_writelane_b32 v173, s1, 27
	v_cmp_gt_i64_e64 s[0:1], 0, v[4:5]
	v_writelane_b32 v173, s0, 28
	v_not_b32_e32 v27, v5
	v_lshlrev_b32_e32 v5, 29, v7
	;; [unrolled: 5-line block ×3, first 2 shown]
	v_lshrrev_b32_e32 v14, 8, v7
	v_writelane_b32 v173, s1, 31
	v_cmp_gt_i64_e64 s[0:1], 0, v[4:5]
	v_writelane_b32 v173, s0, 32
	v_not_b32_e32 v31, v5
	v_lshlrev_b32_e32 v5, 30, v14
	v_writelane_b32 v173, s1, 33
	v_cmp_gt_i64_e64 s[0:1], 0, v[4:5]
	v_writelane_b32 v173, s0, 34
	v_not_b32_e32 v33, v5
	v_lshlrev_b32_e32 v5, 29, v14
	v_writelane_b32 v173, s1, 35
	v_cmp_gt_i64_e64 s[0:1], 0, v[4:5]
	v_writelane_b32 v173, s0, 36
	v_not_b32_e32 v35, v5
	v_lshlrev_b32_e32 v5, 28, v14
	v_writelane_b32 v173, s1, 37
	v_cmp_gt_i64_e64 s[0:1], 0, v[4:5]
	v_writelane_b32 v173, s0, 38
	v_not_b32_e32 v37, v5
	v_lshlrev_b32_sdwa v5, v8, v7 dst_sel:DWORD dst_unused:UNUSED_PAD src0_sel:DWORD src1_sel:WORD_1
	v_writelane_b32 v173, s1, 39
	v_cmp_gt_i64_e64 s[0:1], 0, v[4:5]
	v_writelane_b32 v173, s0, 40
	v_not_b32_e32 v39, v5
	v_lshlrev_b32_sdwa v5, v10, v7 dst_sel:DWORD dst_unused:UNUSED_PAD src0_sel:DWORD src1_sel:WORD_1
	;; [unrolled: 5-line block ×3, first 2 shown]
	v_writelane_b32 v173, s1, 43
	v_cmp_gt_i64_e64 s[0:1], 0, v[4:5]
	v_writelane_b32 v173, s0, 44
	v_not_b32_e32 v43, v5
	v_lshlrev_b32_sdwa v5, v8, v7 dst_sel:DWORD dst_unused:UNUSED_PAD src0_sel:DWORD src1_sel:BYTE_3
	v_writelane_b32 v173, s1, 45
	v_cmp_gt_i64_e64 s[0:1], 0, v[4:5]
	v_writelane_b32 v173, s0, 46
	v_not_b32_e32 v45, v5
	v_lshlrev_b32_sdwa v5, v10, v7 dst_sel:DWORD dst_unused:UNUSED_PAD src0_sel:DWORD src1_sel:BYTE_3
	;; [unrolled: 5-line block ×3, first 2 shown]
	v_writelane_b32 v173, s1, 49
	v_cmp_gt_i64_e64 s[0:1], 0, v[4:5]
	v_lshrrev_b32_e32 v8, 4, v6
	v_writelane_b32 v173, s0, 50
	v_not_b32_e32 v49, v5
	v_lshlrev_b32_e32 v5, 30, v8
	v_writelane_b32 v173, s1, 51
	v_cmp_gt_i64_e64 s[0:1], 0, v[4:5]
	v_writelane_b32 v173, s0, 52
	v_not_b32_e32 v51, v5
	v_lshlrev_b32_e32 v5, 29, v8
	v_writelane_b32 v173, s1, 53
	v_cmp_gt_i64_e64 s[0:1], 0, v[4:5]
	;; [unrolled: 5-line block ×3, first 2 shown]
	v_lshrrev_b32_e32 v8, 12, v6
	v_writelane_b32 v173, s0, 56
	v_not_b32_e32 v55, v5
	v_lshlrev_b32_e32 v5, 30, v8
	v_writelane_b32 v173, s1, 57
	v_cmp_gt_i64_e64 s[0:1], 0, v[4:5]
	v_writelane_b32 v173, s0, 58
	v_not_b32_e32 v57, v5
	v_lshlrev_b32_e32 v5, 29, v8
	v_writelane_b32 v173, s1, 59
	v_cmp_gt_i64_e64 s[0:1], 0, v[4:5]
	v_writelane_b32 v173, s0, 60
	v_not_b32_e32 v59, v5
	v_lshlrev_b32_e32 v5, 28, v8
	v_lshrrev_b32_e32 v8, 20, v6
	v_writelane_b32 v173, s1, 61
	v_cmp_gt_i64_e64 s[0:1], 0, v[4:5]
	v_not_b32_e32 v61, v5
	v_lshlrev_b32_e32 v5, 30, v8
	v_cmp_gt_i64_e64 s[60:61], 0, v[4:5]
	v_not_b32_e32 v63, v5
	v_lshlrev_b32_e32 v5, 29, v8
	;; [unrolled: 3-line block ×3, first 2 shown]
	v_lshrrev_b32_e32 v69, 28, v6
	v_cmp_gt_i64_e64 s[64:65], 0, v[4:5]
	v_not_b32_e32 v67, v5
	v_lshlrev_b32_e32 v5, 30, v69
	v_cmp_gt_i64_e64 s[66:67], 0, v[4:5]
	v_not_b32_e32 v70, v5
	v_lshlrev_b32_e32 v5, 29, v69
	v_cmp_gt_i64_e64 s[68:69], 0, v[4:5]
	v_not_b32_e32 v71, v5
	v_and_b32_e32 v5, 0xf0000000, v6
	v_lshrrev_b32_e32 v8, 4, v7
	v_bfe_u32 v14, v7, 16, 1
	v_cmp_gt_i64_e64 s[70:71], 0, v[4:5]
	v_not_b32_e32 v73, v5
	v_lshlrev_b32_e32 v5, 30, v8
	v_writelane_b32 v173, s0, 62
	v_add_co_u32_e32 v113, vcc, -1, v14
	v_cmp_gt_i64_e64 s[72:73], 0, v[4:5]
	v_not_b32_e32 v75, v5
	v_lshlrev_b32_e32 v5, 29, v8
	v_bfe_u32 v12, v7, 24, 1
	v_writelane_b32 v173, s1, 63
	v_addc_co_u32_e64 v114, s[0:1], 0, -1, vcc
	v_add_u32_e32 v10, -1, v85
	v_cmp_gt_i64_e64 s[74:75], 0, v[4:5]
	v_not_b32_e32 v77, v5
	v_lshlrev_b32_e32 v5, 28, v8
	v_and_b32_e32 v8, 64, v85
	v_add_co_u32_e32 v115, vcc, -1, v12
	v_addc_co_u32_e64 v116, s[0:1], 0, -1, vcc
	v_cmp_lt_i32_e32 vcc, v10, v8
	v_bfe_u32 v8, v6, 4, 1
	v_cndmask_b32_e32 v79, v10, v85, vcc
	v_add_co_u32_e32 v117, vcc, -1, v8
	v_bfe_u32 v8, v6, 12, 1
	v_addc_co_u32_e64 v118, s[0:1], 0, -1, vcc
	v_add_co_u32_e32 v119, vcc, -1, v8
	v_bfe_u32 v8, v6, 20, 1
	v_addc_co_u32_e64 v120, s[0:1], 0, -1, vcc
	;; [unrolled: 3-line block ×7, first 2 shown]
	v_add_co_u32_e32 v131, vcc, -1, v8
	v_lshrrev_b32_e32 v8, 12, v7
	v_cmp_gt_i64_e64 s[76:77], 0, v[4:5]
	v_not_b32_e32 v80, v5
	v_lshlrev_b32_e32 v5, 30, v8
	v_not_b32_e32 v81, v5
	v_cmp_gt_i64_e64 s[78:79], 0, v[4:5]
	v_lshlrev_b32_e32 v5, 29, v8
	v_not_b32_e32 v83, v5
	v_cmp_gt_i64_e64 s[80:81], 0, v[4:5]
	v_lshlrev_b32_e32 v5, 28, v8
	v_lshrrev_b32_e32 v8, 20, v7
	v_not_b32_e32 v86, v5
	v_cmp_gt_i64_e64 s[82:83], 0, v[4:5]
	v_lshlrev_b32_e32 v5, 30, v8
	v_not_b32_e32 v88, v5
	v_cmp_gt_i64_e64 s[84:85], 0, v[4:5]
	v_lshlrev_b32_e32 v5, 29, v8
	v_and_b32_e32 v92, 15, v6
	v_bfe_u32 v93, v6, 8, 4
	v_bfe_u32 v94, v6, 16, 4
	;; [unrolled: 1-line block ×6, first 2 shown]
	v_and_b32_e32 v155, 0x100, v6
	v_and_b32_e32 v156, 0x10000, v6
	;; [unrolled: 1-line block ×7, first 2 shown]
	v_lshrrev_b32_e32 v6, 4, v100
	v_not_b32_e32 v89, v5
	v_cmp_gt_i64_e64 s[86:87], 0, v[4:5]
	v_lshlrev_b32_e32 v5, 28, v8
	v_and_b32_e32 v133, 12, v6
	v_ashrrev_i32_e32 v6, 31, v1
	v_ashrrev_i32_e32 v8, 31, v3
	v_lshrrev_b32_e32 v1, 6, v90
	v_mul_u32_u24_e32 v3, 5, v92
	v_add_lshl_u32 v136, v1, v3, 2
	v_mul_u32_u24_e32 v3, 5, v93
	v_add_lshl_u32 v137, v1, v3, 2
	v_mul_u32_u24_e32 v3, 5, v94
	v_and_b32_e32 v96, 15, v7
	v_add_lshl_u32 v138, v1, v3, 2
	v_mul_u32_u24_e32 v3, 5, v95
	v_bfe_u32 v97, v7, 8, 4
	v_add_lshl_u32 v139, v1, v3, 2
	v_mul_u32_u24_e32 v3, 5, v96
	v_bfe_u32 v98, v7, 16, 4
	;; [unrolled: 3-line block ×3, first 2 shown]
	v_add_lshl_u32 v142, v1, v3, 2
	v_mul_u32_u24_e32 v3, 5, v98
	v_add_lshl_u32 v144, v1, v3, 2
	v_mul_u32_u24_e32 v3, 5, v101
	;; [unrolled: 2-line block ×4, first 2 shown]
	v_lshrrev_b32_e32 v151, 28, v7
	v_add_lshl_u32 v143, v1, v3, 2
	v_mul_u32_u24_e32 v3, 5, v145
	v_bfe_u32 v148, v7, 4, 4
	v_not_b32_e32 v152, v5
	v_cmp_gt_i64_e64 s[88:89], 0, v[4:5]
	v_lshlrev_b32_e32 v5, 30, v151
	v_add_lshl_u32 v145, v1, v3, 2
	v_mul_u32_u24_e32 v3, 5, v69
	v_bfe_u32 v149, v7, 12, 4
	v_not_b32_e32 v153, v5
	v_cmp_gt_i64_e64 s[90:91], 0, v[4:5]
	v_lshlrev_b32_e32 v5, 29, v151
	v_add_lshl_u32 v147, v1, v3, 2
	v_mul_u32_u24_e32 v3, 5, v148
	v_bfe_u32 v150, v7, 20, 4
	v_not_b32_e32 v154, v5
	v_add_lshl_u32 v148, v1, v3, 2
	v_mul_u32_u24_e32 v3, 5, v149
	v_cmp_gt_i64_e64 s[92:93], 0, v[4:5]
	v_and_b32_e32 v5, 0xf0000000, v7
	v_ashrrev_i32_e32 v82, 31, v81
	v_add_lshl_u32 v149, v1, v3, 2
	v_mul_u32_u24_e32 v3, 5, v150
	v_not_b32_e32 v81, v5
	v_addc_co_u32_e64 v132, s[0:1], 0, -1, vcc
	v_and_b32_e32 v158, 0x100, v7
	v_and_b32_e32 v159, 0x10000, v7
	;; [unrolled: 1-line block ×6, first 2 shown]
	v_ashrrev_i32_e32 v0, 31, v0
	v_ashrrev_i32_e32 v10, 31, v9
	;; [unrolled: 1-line block ×40, first 2 shown]
	v_add_lshl_u32 v150, v1, v3, 2
	v_mul_u32_u24_e32 v3, 5, v151
	v_ashrrev_i32_e32 v90, 31, v89
	v_ashrrev_i32_e32 v92, 31, v152
	;; [unrolled: 1-line block ×4, first 2 shown]
	v_and_b32_e32 v101, 0x10000000, v7
	v_ashrrev_i32_e32 v98, 31, v81
	v_add_u32_e32 v135, -4, v133
	v_add_lshl_u32 v151, v1, v3, 2
	v_lshlrev_b32_e32 v152, 2, v79
	v_mov_b32_e32 v1, v0
	v_mov_b32_e32 v3, v6
	;; [unrolled: 1-line block ×39, first 2 shown]
	v_cmp_gt_u32_e64 s[0:1], 4, v100
	v_mov_b32_e32 v81, v82
	v_mov_b32_e32 v83, v84
	;; [unrolled: 1-line block ×3, first 2 shown]
	v_cmp_eq_u32_e64 s[20:21], 1, v87
	v_cmp_ne_u32_e64 s[22:23], 0, v155
	v_mov_b32_e32 v87, v88
	v_cmp_ne_u32_e64 s[24:25], 0, v156
	v_cmp_ne_u32_e64 s[26:27], 0, v157
	v_mov_b32_e32 v89, v90
	v_cmp_eq_u32_e64 s[28:29], 1, v91
	v_cmp_ne_u32_e64 s[30:31], 0, v158
	v_mov_b32_e32 v91, v92
	v_cmp_ne_u32_e64 s[34:35], 0, v159
	v_cmp_ne_u32_e64 s[36:37], 0, v160
	v_mov_b32_e32 v93, v94
	v_cmp_ne_u32_e64 s[38:39], 0, v161
	;; [unrolled: 3-line block ×4, first 2 shown]
	v_cmp_ne_u32_e64 s[48:49], 0, v166
	v_cmp_ne_u32_e64 s[50:51], 0, v167
	;; [unrolled: 1-line block ×3, first 2 shown]
	v_cmp_gt_i64_e64 s[54:55], 0, v[4:5]
	s_branch .LBB68_2
.LBB68_1:                               ;   in Loop: Header=BB68_2 Depth=1
	s_or_b64 exec, exec, s[58:59]
	s_waitcnt lgkmcnt(0)
	v_add_u32_e32 v100, v101, v100
	ds_bpermute_b32 v100, v152, v100
	s_add_i32 s33, s33, -1
	s_cmp_eq_u32 s33, 0
	s_waitcnt lgkmcnt(0)
	v_cndmask_b32_e64 v100, v100, v101, s[56:57]
	ds_write_b32 v134, v100 offset:16
	s_waitcnt lgkmcnt(0)
	s_barrier
	s_cbranch_scc1 .LBB68_46
.LBB68_2:                               ; =>This Inner Loop Header: Depth=1
	v_readlane_b32 s58, v173, 4
	v_cndmask_b32_e64 v5, 0, 1, s[20:21]
	v_readlane_b32 s59, v173, 5
	v_cmp_ne_u32_e32 vcc, 0, v5
	v_cndmask_b32_e64 v101, 0, 1, s[58:59]
	v_xor_b32_e32 v5, vcc_hi, v102
	v_xor_b32_e32 v100, vcc_lo, v99
	v_cmp_ne_u32_e32 vcc, 0, v101
	v_readlane_b32 s58, v173, 6
	v_and_b32_e32 v5, exec_hi, v5
	v_xor_b32_e32 v101, vcc_hi, v1
	v_readlane_b32 s59, v173, 7
	v_and_b32_e32 v5, v5, v101
	v_cndmask_b32_e64 v101, 0, 1, s[58:59]
	v_xor_b32_e32 v153, vcc_lo, v0
	v_cmp_ne_u32_e32 vcc, 0, v101
	v_readlane_b32 s58, v173, 8
	v_xor_b32_e32 v101, vcc_hi, v3
	v_readlane_b32 s59, v173, 9
	v_and_b32_e32 v100, exec_lo, v100
	v_and_b32_e32 v5, v5, v101
	v_cndmask_b32_e64 v101, 0, 1, s[58:59]
	v_and_b32_e32 v100, v100, v153
	v_xor_b32_e32 v153, vcc_lo, v6
	v_cmp_ne_u32_e32 vcc, 0, v101
	v_and_b32_e32 v100, v100, v153
	v_xor_b32_e32 v153, vcc_lo, v8
	v_xor_b32_e32 v101, vcc_hi, v7
	v_and_b32_e32 v100, v100, v153
	v_and_b32_e32 v101, v5, v101
	v_mbcnt_lo_u32_b32 v5, v100, 0
	v_mbcnt_hi_u32_b32 v5, v101, v5
	v_cmp_eq_u32_e64 s[58:59], 0, v5
	v_cmp_ne_u64_e32 vcc, 0, v[100:101]
	s_and_b64 vcc, vcc, s[58:59]
	ds_write_b32 v134, v4 offset:16
	s_waitcnt lgkmcnt(0)
	s_barrier
	s_waitcnt lgkmcnt(0)
	; wave barrier
	s_and_saveexec_b64 s[58:59], vcc
	s_cbranch_execz .LBB68_4
; %bb.3:                                ;   in Loop: Header=BB68_2 Depth=1
	v_bcnt_u32_b32 v5, v100, 0
	v_bcnt_u32_b32 v5, v101, v5
	ds_write_b32 v136, v5 offset:16
.LBB68_4:                               ;   in Loop: Header=BB68_2 Depth=1
	s_or_b64 exec, exec, s[58:59]
	v_readlane_b32 s58, v173, 10
	v_cndmask_b32_e64 v100, 0, 1, s[22:23]
	v_readlane_b32 s59, v173, 11
	v_cmp_ne_u32_e32 vcc, 0, v100
	v_cndmask_b32_e64 v153, 0, 1, s[58:59]
	v_xor_b32_e32 v100, vcc_hi, v104
	v_xor_b32_e32 v101, vcc_lo, v103
	v_cmp_ne_u32_e32 vcc, 0, v153
	v_readlane_b32 s58, v173, 12
	v_and_b32_e32 v100, exec_hi, v100
	v_xor_b32_e32 v153, vcc_hi, v9
	v_readlane_b32 s59, v173, 13
	v_and_b32_e32 v100, v100, v153
	v_cndmask_b32_e64 v153, 0, 1, s[58:59]
	v_and_b32_e32 v101, exec_lo, v101
	v_xor_b32_e32 v154, vcc_lo, v10
	v_cmp_ne_u32_e32 vcc, 0, v153
	v_readlane_b32 s58, v173, 14
	v_and_b32_e32 v101, v101, v154
	v_xor_b32_e32 v153, vcc_hi, v11
	v_xor_b32_e32 v154, vcc_lo, v12
	v_readlane_b32 s59, v173, 15
	v_and_b32_e32 v100, v100, v153
	v_and_b32_e32 v153, v101, v154
	v_cndmask_b32_e64 v101, 0, 1, s[58:59]
	v_cmp_ne_u32_e32 vcc, 0, v101
	v_xor_b32_e32 v101, vcc_hi, v13
	v_xor_b32_e32 v154, vcc_lo, v14
	; wave barrier
	ds_read_b32 v5, v137 offset:16
	v_and_b32_e32 v101, v100, v101
	v_and_b32_e32 v100, v153, v154
	v_mbcnt_lo_u32_b32 v153, v100, 0
	v_mbcnt_hi_u32_b32 v153, v101, v153
	v_cmp_eq_u32_e32 vcc, 0, v153
	v_cmp_ne_u64_e64 s[58:59], 0, v[100:101]
	s_and_b64 vcc, s[58:59], vcc
	; wave barrier
	s_and_saveexec_b64 s[58:59], vcc
	s_cbranch_execz .LBB68_6
; %bb.5:                                ;   in Loop: Header=BB68_2 Depth=1
	v_bcnt_u32_b32 v100, v100, 0
	v_bcnt_u32_b32 v100, v101, v100
	s_waitcnt lgkmcnt(0)
	v_add_u32_e32 v5, v5, v100
	ds_write_b32 v137, v5 offset:16
.LBB68_6:                               ;   in Loop: Header=BB68_2 Depth=1
	s_or_b64 exec, exec, s[58:59]
	v_readlane_b32 s58, v173, 16
	v_cndmask_b32_e64 v100, 0, 1, s[24:25]
	v_readlane_b32 s59, v173, 17
	v_cmp_ne_u32_e32 vcc, 0, v100
	v_cndmask_b32_e64 v153, 0, 1, s[58:59]
	v_xor_b32_e32 v100, vcc_hi, v106
	v_xor_b32_e32 v101, vcc_lo, v105
	v_cmp_ne_u32_e32 vcc, 0, v153
	v_readlane_b32 s58, v173, 18
	v_and_b32_e32 v100, exec_hi, v100
	v_xor_b32_e32 v153, vcc_hi, v15
	v_readlane_b32 s59, v173, 19
	v_and_b32_e32 v100, v100, v153
	v_cndmask_b32_e64 v153, 0, 1, s[58:59]
	v_and_b32_e32 v101, exec_lo, v101
	v_xor_b32_e32 v154, vcc_lo, v16
	v_cmp_ne_u32_e32 vcc, 0, v153
	v_readlane_b32 s58, v173, 20
	v_and_b32_e32 v101, v101, v154
	v_xor_b32_e32 v153, vcc_hi, v17
	v_xor_b32_e32 v154, vcc_lo, v18
	v_readlane_b32 s59, v173, 21
	v_and_b32_e32 v100, v100, v153
	v_and_b32_e32 v153, v101, v154
	v_cndmask_b32_e64 v101, 0, 1, s[58:59]
	v_cmp_ne_u32_e32 vcc, 0, v101
	v_xor_b32_e32 v101, vcc_hi, v19
	v_xor_b32_e32 v154, vcc_lo, v20
	; wave barrier
	s_waitcnt lgkmcnt(0)
	ds_read_b32 v5, v138 offset:16
	v_and_b32_e32 v101, v100, v101
	v_and_b32_e32 v100, v153, v154
	v_mbcnt_lo_u32_b32 v153, v100, 0
	v_mbcnt_hi_u32_b32 v153, v101, v153
	v_cmp_eq_u32_e32 vcc, 0, v153
	v_cmp_ne_u64_e64 s[58:59], 0, v[100:101]
	s_and_b64 vcc, s[58:59], vcc
	; wave barrier
	s_and_saveexec_b64 s[58:59], vcc
	s_cbranch_execz .LBB68_8
; %bb.7:                                ;   in Loop: Header=BB68_2 Depth=1
	v_bcnt_u32_b32 v100, v100, 0
	v_bcnt_u32_b32 v100, v101, v100
	s_waitcnt lgkmcnt(0)
	v_add_u32_e32 v5, v5, v100
	ds_write_b32 v138, v5 offset:16
.LBB68_8:                               ;   in Loop: Header=BB68_2 Depth=1
	s_or_b64 exec, exec, s[58:59]
	v_readlane_b32 s58, v173, 22
	v_cndmask_b32_e64 v100, 0, 1, s[26:27]
	v_readlane_b32 s59, v173, 23
	v_cmp_ne_u32_e32 vcc, 0, v100
	v_cndmask_b32_e64 v153, 0, 1, s[58:59]
	v_xor_b32_e32 v100, vcc_hi, v108
	v_xor_b32_e32 v101, vcc_lo, v107
	v_cmp_ne_u32_e32 vcc, 0, v153
	v_readlane_b32 s58, v173, 24
	v_and_b32_e32 v100, exec_hi, v100
	v_xor_b32_e32 v153, vcc_hi, v21
	v_readlane_b32 s59, v173, 25
	v_and_b32_e32 v100, v100, v153
	v_cndmask_b32_e64 v153, 0, 1, s[58:59]
	v_and_b32_e32 v101, exec_lo, v101
	v_xor_b32_e32 v154, vcc_lo, v22
	v_cmp_ne_u32_e32 vcc, 0, v153
	v_readlane_b32 s58, v173, 26
	v_and_b32_e32 v101, v101, v154
	v_xor_b32_e32 v153, vcc_hi, v23
	v_xor_b32_e32 v154, vcc_lo, v24
	v_readlane_b32 s59, v173, 27
	v_and_b32_e32 v100, v100, v153
	v_and_b32_e32 v153, v101, v154
	v_cndmask_b32_e64 v101, 0, 1, s[58:59]
	v_cmp_ne_u32_e32 vcc, 0, v101
	v_xor_b32_e32 v101, vcc_hi, v25
	v_xor_b32_e32 v154, vcc_lo, v26
	; wave barrier
	s_waitcnt lgkmcnt(0)
	ds_read_b32 v5, v139 offset:16
	v_and_b32_e32 v101, v100, v101
	v_and_b32_e32 v100, v153, v154
	v_mbcnt_lo_u32_b32 v153, v100, 0
	v_mbcnt_hi_u32_b32 v153, v101, v153
	v_cmp_eq_u32_e32 vcc, 0, v153
	v_cmp_ne_u64_e64 s[58:59], 0, v[100:101]
	s_and_b64 vcc, s[58:59], vcc
	; wave barrier
	s_and_saveexec_b64 s[58:59], vcc
	s_cbranch_execz .LBB68_10
; %bb.9:                                ;   in Loop: Header=BB68_2 Depth=1
	v_bcnt_u32_b32 v100, v100, 0
	v_bcnt_u32_b32 v100, v101, v100
	s_waitcnt lgkmcnt(0)
	v_add_u32_e32 v5, v5, v100
	ds_write_b32 v139, v5 offset:16
.LBB68_10:                              ;   in Loop: Header=BB68_2 Depth=1
	s_or_b64 exec, exec, s[58:59]
	v_readlane_b32 s58, v173, 28
	v_cndmask_b32_e64 v100, 0, 1, s[28:29]
	v_readlane_b32 s59, v173, 29
	v_cmp_ne_u32_e32 vcc, 0, v100
	v_cndmask_b32_e64 v153, 0, 1, s[58:59]
	v_xor_b32_e32 v100, vcc_hi, v110
	v_xor_b32_e32 v101, vcc_lo, v109
	v_cmp_ne_u32_e32 vcc, 0, v153
	v_readlane_b32 s58, v173, 30
	v_and_b32_e32 v100, exec_hi, v100
	v_xor_b32_e32 v153, vcc_hi, v27
	v_readlane_b32 s59, v173, 31
	v_and_b32_e32 v100, v100, v153
	v_cndmask_b32_e64 v153, 0, 1, s[58:59]
	v_and_b32_e32 v101, exec_lo, v101
	v_xor_b32_e32 v154, vcc_lo, v28
	v_cmp_ne_u32_e32 vcc, 0, v153
	v_readlane_b32 s58, v173, 32
	v_and_b32_e32 v101, v101, v154
	v_xor_b32_e32 v153, vcc_hi, v29
	v_xor_b32_e32 v154, vcc_lo, v30
	v_readlane_b32 s59, v173, 33
	v_and_b32_e32 v100, v100, v153
	v_and_b32_e32 v153, v101, v154
	v_cndmask_b32_e64 v101, 0, 1, s[58:59]
	v_cmp_ne_u32_e32 vcc, 0, v101
	v_xor_b32_e32 v101, vcc_hi, v31
	v_xor_b32_e32 v154, vcc_lo, v32
	; wave barrier
	s_waitcnt lgkmcnt(0)
	ds_read_b32 v5, v141 offset:16
	v_and_b32_e32 v101, v100, v101
	v_and_b32_e32 v100, v153, v154
	v_mbcnt_lo_u32_b32 v153, v100, 0
	v_mbcnt_hi_u32_b32 v153, v101, v153
	v_cmp_eq_u32_e32 vcc, 0, v153
	v_cmp_ne_u64_e64 s[58:59], 0, v[100:101]
	s_and_b64 vcc, s[58:59], vcc
	; wave barrier
	s_and_saveexec_b64 s[58:59], vcc
	s_cbranch_execz .LBB68_12
; %bb.11:                               ;   in Loop: Header=BB68_2 Depth=1
	v_bcnt_u32_b32 v100, v100, 0
	v_bcnt_u32_b32 v100, v101, v100
	s_waitcnt lgkmcnt(0)
	v_add_u32_e32 v5, v5, v100
	ds_write_b32 v141, v5 offset:16
.LBB68_12:                              ;   in Loop: Header=BB68_2 Depth=1
	s_or_b64 exec, exec, s[58:59]
	v_readlane_b32 s58, v173, 34
	v_cndmask_b32_e64 v100, 0, 1, s[30:31]
	v_readlane_b32 s59, v173, 35
	v_cmp_ne_u32_e32 vcc, 0, v100
	v_cndmask_b32_e64 v153, 0, 1, s[58:59]
	v_xor_b32_e32 v100, vcc_hi, v112
	v_xor_b32_e32 v101, vcc_lo, v111
	v_cmp_ne_u32_e32 vcc, 0, v153
	v_readlane_b32 s58, v173, 36
	v_and_b32_e32 v100, exec_hi, v100
	v_xor_b32_e32 v153, vcc_hi, v33
	v_readlane_b32 s59, v173, 37
	v_and_b32_e32 v100, v100, v153
	v_cndmask_b32_e64 v153, 0, 1, s[58:59]
	v_and_b32_e32 v101, exec_lo, v101
	v_xor_b32_e32 v154, vcc_lo, v34
	v_cmp_ne_u32_e32 vcc, 0, v153
	v_readlane_b32 s58, v173, 38
	v_and_b32_e32 v101, v101, v154
	v_xor_b32_e32 v153, vcc_hi, v35
	v_xor_b32_e32 v154, vcc_lo, v36
	v_readlane_b32 s59, v173, 39
	v_and_b32_e32 v100, v100, v153
	v_and_b32_e32 v153, v101, v154
	v_cndmask_b32_e64 v101, 0, 1, s[58:59]
	v_cmp_ne_u32_e32 vcc, 0, v101
	v_xor_b32_e32 v101, vcc_hi, v37
	v_xor_b32_e32 v154, vcc_lo, v38
	; wave barrier
	s_waitcnt lgkmcnt(0)
	ds_read_b32 v5, v142 offset:16
	v_and_b32_e32 v101, v100, v101
	v_and_b32_e32 v100, v153, v154
	v_mbcnt_lo_u32_b32 v153, v100, 0
	v_mbcnt_hi_u32_b32 v153, v101, v153
	v_cmp_eq_u32_e32 vcc, 0, v153
	v_cmp_ne_u64_e64 s[58:59], 0, v[100:101]
	s_and_b64 vcc, s[58:59], vcc
	; wave barrier
	s_and_saveexec_b64 s[58:59], vcc
	s_cbranch_execz .LBB68_14
; %bb.13:                               ;   in Loop: Header=BB68_2 Depth=1
	v_bcnt_u32_b32 v100, v100, 0
	v_bcnt_u32_b32 v100, v101, v100
	s_waitcnt lgkmcnt(0)
	v_add_u32_e32 v5, v5, v100
	ds_write_b32 v142, v5 offset:16
.LBB68_14:                              ;   in Loop: Header=BB68_2 Depth=1
	;; [unrolled: 49-line block ×4, first 2 shown]
	s_or_b64 exec, exec, s[58:59]
	; wave barrier
	s_waitcnt lgkmcnt(0)
	s_barrier
	ds_read_b32 v5, v134 offset:16
	s_waitcnt lgkmcnt(0)
	s_nop 0
	v_mov_b32_dpp v100, v5 row_shr:1 row_mask:0xf bank_mask:0xf
	v_cndmask_b32_e64 v100, v100, 0, s[4:5]
	v_add_u32_e32 v5, v100, v5
	s_nop 1
	v_mov_b32_dpp v100, v5 row_shr:2 row_mask:0xf bank_mask:0xf
	v_cndmask_b32_e64 v100, 0, v100, s[6:7]
	v_add_u32_e32 v5, v5, v100
	;; [unrolled: 4-line block ×4, first 2 shown]
	s_nop 1
	v_mov_b32_dpp v100, v5 row_bcast:15 row_mask:0xf bank_mask:0xf
	v_cndmask_b32_e64 v100, v100, 0, s[12:13]
	v_add_u32_e32 v5, v5, v100
	s_nop 1
	v_mov_b32_dpp v100, v5 row_bcast:31 row_mask:0xf bank_mask:0xf
	v_cndmask_b32_e64 v100, 0, v100, s[14:15]
	v_add_u32_e32 v5, v5, v100
	s_and_saveexec_b64 s[58:59], s[94:95]
	s_xor_b64 s[58:59], exec, s[58:59]
	s_cbranch_execz .LBB68_20
; %bb.19:                               ;   in Loop: Header=BB68_2 Depth=1
	ds_write_b32 v133, v5
.LBB68_20:                              ;   in Loop: Header=BB68_2 Depth=1
	s_or_b64 exec, exec, s[58:59]
	s_waitcnt lgkmcnt(0)
	s_barrier
	s_and_saveexec_b64 s[58:59], s[0:1]
	s_cbranch_execz .LBB68_22
; %bb.21:                               ;   in Loop: Header=BB68_2 Depth=1
	ds_read_b32 v100, v134
	s_waitcnt lgkmcnt(0)
	s_nop 0
	v_mov_b32_dpp v101, v100 row_shr:1 row_mask:0xf bank_mask:0xf
	v_cndmask_b32_e64 v101, v101, 0, s[16:17]
	v_add_u32_e32 v100, v101, v100
	s_nop 1
	v_mov_b32_dpp v101, v100 row_shr:2 row_mask:0xf bank_mask:0xf
	v_cndmask_b32_e64 v101, 0, v101, s[18:19]
	v_add_u32_e32 v100, v100, v101
	ds_write_b32 v134, v100
.LBB68_22:                              ;   in Loop: Header=BB68_2 Depth=1
	s_or_b64 exec, exec, s[58:59]
	v_mov_b32_e32 v100, 0
	s_waitcnt lgkmcnt(0)
	s_barrier
	s_and_saveexec_b64 s[58:59], s[2:3]
	s_cbranch_execz .LBB68_24
; %bb.23:                               ;   in Loop: Header=BB68_2 Depth=1
	ds_read_b32 v100, v135
.LBB68_24:                              ;   in Loop: Header=BB68_2 Depth=1
	s_or_b64 exec, exec, s[58:59]
	s_waitcnt lgkmcnt(0)
	v_add_u32_e32 v5, v100, v5
	ds_bpermute_b32 v5, v152, v5
	v_readlane_b32 s58, v173, 52
	v_readlane_b32 s59, v173, 53
	v_cndmask_b32_e64 v101, 0, 1, s[58:59]
	v_readlane_b32 s58, v173, 54
	s_waitcnt lgkmcnt(0)
	v_cndmask_b32_e64 v5, v5, v100, s[56:57]
	ds_write_b32 v134, v5 offset:16
	v_cndmask_b32_e64 v5, 0, 1, s[38:39]
	v_cmp_ne_u32_e32 vcc, 0, v5
	v_xor_b32_e32 v5, vcc_hi, v118
	v_xor_b32_e32 v100, vcc_lo, v117
	v_cmp_ne_u32_e32 vcc, 0, v101
	v_and_b32_e32 v5, exec_hi, v5
	v_xor_b32_e32 v101, vcc_hi, v51
	v_readlane_b32 s59, v173, 55
	v_and_b32_e32 v5, v5, v101
	v_cndmask_b32_e64 v101, 0, 1, s[58:59]
	v_xor_b32_e32 v153, vcc_lo, v52
	v_cmp_ne_u32_e32 vcc, 0, v101
	v_readlane_b32 s58, v173, 56
	v_xor_b32_e32 v101, vcc_hi, v53
	v_readlane_b32 s59, v173, 57
	v_and_b32_e32 v100, exec_lo, v100
	v_and_b32_e32 v5, v5, v101
	v_cndmask_b32_e64 v101, 0, 1, s[58:59]
	v_and_b32_e32 v100, v100, v153
	v_xor_b32_e32 v153, vcc_lo, v54
	v_cmp_ne_u32_e32 vcc, 0, v101
	v_and_b32_e32 v100, v100, v153
	v_xor_b32_e32 v153, vcc_lo, v56
	v_xor_b32_e32 v101, vcc_hi, v55
	v_and_b32_e32 v100, v100, v153
	v_and_b32_e32 v101, v5, v101
	v_mbcnt_lo_u32_b32 v5, v100, 0
	v_mbcnt_hi_u32_b32 v5, v101, v5
	v_cmp_eq_u32_e32 vcc, 0, v5
	v_cmp_ne_u64_e64 s[58:59], 0, v[100:101]
	s_and_b64 vcc, s[58:59], vcc
	s_waitcnt lgkmcnt(0)
	s_barrier
	ds_write_b32 v134, v4 offset:16
	s_waitcnt lgkmcnt(0)
	s_barrier
	s_waitcnt lgkmcnt(0)
	; wave barrier
	s_and_saveexec_b64 s[58:59], vcc
	s_cbranch_execz .LBB68_26
; %bb.25:                               ;   in Loop: Header=BB68_2 Depth=1
	v_bcnt_u32_b32 v100, v100, 0
	v_bcnt_u32_b32 v100, v101, v100
	ds_write_b32 v140, v100 offset:16
.LBB68_26:                              ;   in Loop: Header=BB68_2 Depth=1
	s_or_b64 exec, exec, s[58:59]
	v_readlane_b32 s58, v173, 58
	v_cndmask_b32_e64 v100, 0, 1, s[40:41]
	v_readlane_b32 s59, v173, 59
	v_cmp_ne_u32_e32 vcc, 0, v100
	v_cndmask_b32_e64 v154, 0, 1, s[58:59]
	v_xor_b32_e32 v100, vcc_hi, v120
	v_xor_b32_e32 v101, vcc_lo, v119
	v_cmp_ne_u32_e32 vcc, 0, v154
	v_readlane_b32 s58, v173, 60
	v_and_b32_e32 v100, exec_hi, v100
	v_xor_b32_e32 v154, vcc_hi, v57
	v_readlane_b32 s59, v173, 61
	v_and_b32_e32 v100, v100, v154
	v_cndmask_b32_e64 v154, 0, 1, s[58:59]
	v_and_b32_e32 v101, exec_lo, v101
	v_xor_b32_e32 v155, vcc_lo, v58
	v_cmp_ne_u32_e32 vcc, 0, v154
	v_readlane_b32 s58, v173, 62
	v_and_b32_e32 v101, v101, v155
	v_xor_b32_e32 v154, vcc_hi, v59
	v_xor_b32_e32 v155, vcc_lo, v60
	v_readlane_b32 s59, v173, 63
	v_and_b32_e32 v100, v100, v154
	v_and_b32_e32 v154, v101, v155
	v_cndmask_b32_e64 v101, 0, 1, s[58:59]
	v_cmp_ne_u32_e32 vcc, 0, v101
	v_xor_b32_e32 v101, vcc_hi, v61
	v_xor_b32_e32 v155, vcc_lo, v62
	; wave barrier
	ds_read_b32 v153, v143 offset:16
	v_and_b32_e32 v101, v100, v101
	v_and_b32_e32 v100, v154, v155
	v_mbcnt_lo_u32_b32 v154, v100, 0
	v_mbcnt_hi_u32_b32 v154, v101, v154
	v_cmp_eq_u32_e32 vcc, 0, v154
	v_cmp_ne_u64_e64 s[58:59], 0, v[100:101]
	s_and_b64 vcc, s[58:59], vcc
	; wave barrier
	s_and_saveexec_b64 s[58:59], vcc
	s_cbranch_execz .LBB68_28
; %bb.27:                               ;   in Loop: Header=BB68_2 Depth=1
	v_bcnt_u32_b32 v100, v100, 0
	v_bcnt_u32_b32 v100, v101, v100
	s_waitcnt lgkmcnt(0)
	v_add_u32_e32 v100, v153, v100
	ds_write_b32 v143, v100 offset:16
.LBB68_28:                              ;   in Loop: Header=BB68_2 Depth=1
	s_or_b64 exec, exec, s[58:59]
	v_cndmask_b32_e64 v100, 0, 1, s[42:43]
	v_cmp_ne_u32_e32 vcc, 0, v100
	v_cndmask_b32_e64 v156, 0, 1, s[60:61]
	v_xor_b32_e32 v100, vcc_hi, v122
	v_xor_b32_e32 v101, vcc_lo, v121
	v_cmp_ne_u32_e32 vcc, 0, v156
	v_and_b32_e32 v100, exec_hi, v100
	v_xor_b32_e32 v156, vcc_hi, v63
	v_and_b32_e32 v100, v100, v156
	v_cndmask_b32_e64 v156, 0, 1, s[62:63]
	v_and_b32_e32 v101, exec_lo, v101
	v_xor_b32_e32 v157, vcc_lo, v64
	v_cmp_ne_u32_e32 vcc, 0, v156
	v_and_b32_e32 v101, v101, v157
	v_xor_b32_e32 v156, vcc_hi, v65
	v_xor_b32_e32 v157, vcc_lo, v66
	v_and_b32_e32 v100, v100, v156
	v_and_b32_e32 v156, v101, v157
	v_cndmask_b32_e64 v101, 0, 1, s[64:65]
	v_cmp_ne_u32_e32 vcc, 0, v101
	v_xor_b32_e32 v101, vcc_hi, v67
	v_xor_b32_e32 v157, vcc_lo, v68
	; wave barrier
	ds_read_b32 v155, v145 offset:16
	v_and_b32_e32 v101, v100, v101
	v_and_b32_e32 v100, v156, v157
	v_mbcnt_lo_u32_b32 v156, v100, 0
	v_mbcnt_hi_u32_b32 v156, v101, v156
	v_cmp_eq_u32_e32 vcc, 0, v156
	v_cmp_ne_u64_e64 s[58:59], 0, v[100:101]
	s_and_b64 vcc, s[58:59], vcc
	; wave barrier
	s_and_saveexec_b64 s[58:59], vcc
	s_cbranch_execz .LBB68_30
; %bb.29:                               ;   in Loop: Header=BB68_2 Depth=1
	v_bcnt_u32_b32 v100, v100, 0
	v_bcnt_u32_b32 v100, v101, v100
	s_waitcnt lgkmcnt(0)
	v_add_u32_e32 v100, v155, v100
	ds_write_b32 v145, v100 offset:16
.LBB68_30:                              ;   in Loop: Header=BB68_2 Depth=1
	s_or_b64 exec, exec, s[58:59]
	v_cndmask_b32_e64 v100, 0, 1, s[44:45]
	v_cmp_ne_u32_e32 vcc, 0, v100
	v_cndmask_b32_e64 v158, 0, 1, s[66:67]
	v_xor_b32_e32 v100, vcc_hi, v124
	v_xor_b32_e32 v101, vcc_lo, v123
	v_cmp_ne_u32_e32 vcc, 0, v158
	v_and_b32_e32 v100, exec_hi, v100
	v_xor_b32_e32 v158, vcc_hi, v69
	v_and_b32_e32 v100, v100, v158
	v_cndmask_b32_e64 v158, 0, 1, s[68:69]
	v_and_b32_e32 v101, exec_lo, v101
	v_xor_b32_e32 v159, vcc_lo, v70
	v_cmp_ne_u32_e32 vcc, 0, v158
	v_and_b32_e32 v101, v101, v159
	v_xor_b32_e32 v158, vcc_hi, v71
	v_xor_b32_e32 v159, vcc_lo, v72
	;; [unrolled: 42-line block ×6, first 2 shown]
	v_and_b32_e32 v100, v100, v166
	v_and_b32_e32 v166, v101, v167
	v_cndmask_b32_e64 v101, 0, 1, s[54:55]
	v_cmp_ne_u32_e32 vcc, 0, v101
	v_xor_b32_e32 v101, vcc_hi, v97
	v_xor_b32_e32 v167, vcc_lo, v98
	; wave barrier
	ds_read_b32 v165, v151 offset:16
	v_and_b32_e32 v101, v100, v101
	v_and_b32_e32 v100, v166, v167
	v_mbcnt_lo_u32_b32 v166, v100, 0
	v_mbcnt_hi_u32_b32 v166, v101, v166
	v_cmp_eq_u32_e32 vcc, 0, v166
	v_cmp_ne_u64_e64 s[58:59], 0, v[100:101]
	s_and_b64 vcc, s[58:59], vcc
	; wave barrier
	s_and_saveexec_b64 s[58:59], vcc
	s_cbranch_execz .LBB68_40
; %bb.39:                               ;   in Loop: Header=BB68_2 Depth=1
	v_bcnt_u32_b32 v100, v100, 0
	v_bcnt_u32_b32 v100, v101, v100
	s_waitcnt lgkmcnt(0)
	v_add_u32_e32 v100, v165, v100
	ds_write_b32 v151, v100 offset:16
.LBB68_40:                              ;   in Loop: Header=BB68_2 Depth=1
	s_or_b64 exec, exec, s[58:59]
	; wave barrier
	s_waitcnt lgkmcnt(0)
	s_barrier
	ds_read_b32 v100, v134 offset:16
	s_waitcnt lgkmcnt(0)
	s_nop 0
	v_mov_b32_dpp v101, v100 row_shr:1 row_mask:0xf bank_mask:0xf
	v_cndmask_b32_e64 v101, v101, 0, s[4:5]
	v_add_u32_e32 v100, v101, v100
	s_nop 1
	v_mov_b32_dpp v101, v100 row_shr:2 row_mask:0xf bank_mask:0xf
	v_cndmask_b32_e64 v101, 0, v101, s[6:7]
	v_add_u32_e32 v100, v100, v101
	;; [unrolled: 4-line block ×4, first 2 shown]
	s_nop 1
	v_mov_b32_dpp v101, v100 row_bcast:15 row_mask:0xf bank_mask:0xf
	v_cndmask_b32_e64 v101, v101, 0, s[12:13]
	v_add_u32_e32 v100, v100, v101
	s_nop 1
	v_mov_b32_dpp v101, v100 row_bcast:31 row_mask:0xf bank_mask:0xf
	v_cndmask_b32_e64 v101, 0, v101, s[14:15]
	v_add_u32_e32 v100, v100, v101
	s_and_saveexec_b64 s[58:59], s[94:95]
	s_cbranch_execz .LBB68_42
; %bb.41:                               ;   in Loop: Header=BB68_2 Depth=1
	ds_write_b32 v133, v100
.LBB68_42:                              ;   in Loop: Header=BB68_2 Depth=1
	s_or_b64 exec, exec, s[58:59]
	s_waitcnt lgkmcnt(0)
	s_barrier
	s_and_saveexec_b64 s[58:59], s[0:1]
	s_cbranch_execz .LBB68_44
; %bb.43:                               ;   in Loop: Header=BB68_2 Depth=1
	ds_read_b32 v101, v134
	s_waitcnt lgkmcnt(0)
	s_nop 0
	v_mov_b32_dpp v167, v101 row_shr:1 row_mask:0xf bank_mask:0xf
	v_cndmask_b32_e64 v167, v167, 0, s[16:17]
	v_add_u32_e32 v101, v167, v101
	s_nop 1
	v_mov_b32_dpp v167, v101 row_shr:2 row_mask:0xf bank_mask:0xf
	v_cndmask_b32_e64 v167, 0, v167, s[18:19]
	v_add_u32_e32 v101, v101, v167
	ds_write_b32 v134, v101
.LBB68_44:                              ;   in Loop: Header=BB68_2 Depth=1
	s_or_b64 exec, exec, s[58:59]
	v_mov_b32_e32 v101, 0
	s_waitcnt lgkmcnt(0)
	s_barrier
	s_and_saveexec_b64 s[58:59], s[2:3]
	s_cbranch_execz .LBB68_1
; %bb.45:                               ;   in Loop: Header=BB68_2 Depth=1
	ds_read_b32 v101, v135
	s_branch .LBB68_1
.LBB68_46:
	ds_read_b32 v4, v151 offset:16
	ds_read_b32 v6, v150 offset:16
	;; [unrolled: 1-line block ×8, first 2 shown]
	v_readlane_b32 s0, v172, 0
	v_readlane_b32 s4, v173, 0
	;; [unrolled: 1-line block ×5, first 2 shown]
	s_lshl_b64 s[0:1], s[0:1], 2
	s_mov_b64 s[2:3], s[6:7]
	s_add_u32 s0, s2, s0
	s_addc_u32 s1, s3, s1
	v_lshlrev_b32_e32 v11, 2, v2
	s_waitcnt lgkmcnt(1)
	v_add3_u32 v1, v154, v153, v0
	s_waitcnt lgkmcnt(0)
	v_add_u32_e32 v0, v10, v5
	v_add3_u32 v3, v158, v157, v3
	v_add3_u32 v2, v156, v155, v9
	global_store_dwordx4 v11, v[0:3], s[0:1]
	v_readlane_b32 s5, v173, 1
	v_add3_u32 v1, v162, v161, v7
	v_add3_u32 v0, v160, v159, v8
	;; [unrolled: 1-line block ×4, first 2 shown]
	global_store_dwordx4 v11, v[0:3], s[0:1] offset:16
	s_endpgm
	.section	.rodata,"a",@progbits
	.p2align	6, 0x0
	.amdhsa_kernel _Z11rank_kernelIhLj4ELb0EL18RadixRankAlgorithm2ELj256ELj8ELj10EEvPKT_Pi
		.amdhsa_group_segment_fixed_size 1040
		.amdhsa_private_segment_fixed_size 0
		.amdhsa_kernarg_size 272
		.amdhsa_user_sgpr_count 6
		.amdhsa_user_sgpr_private_segment_buffer 1
		.amdhsa_user_sgpr_dispatch_ptr 0
		.amdhsa_user_sgpr_queue_ptr 0
		.amdhsa_user_sgpr_kernarg_segment_ptr 1
		.amdhsa_user_sgpr_dispatch_id 0
		.amdhsa_user_sgpr_flat_scratch_init 0
		.amdhsa_user_sgpr_kernarg_preload_length 0
		.amdhsa_user_sgpr_kernarg_preload_offset 0
		.amdhsa_user_sgpr_private_segment_size 0
		.amdhsa_uses_dynamic_stack 0
		.amdhsa_system_sgpr_private_segment_wavefront_offset 0
		.amdhsa_system_sgpr_workgroup_id_x 1
		.amdhsa_system_sgpr_workgroup_id_y 0
		.amdhsa_system_sgpr_workgroup_id_z 0
		.amdhsa_system_sgpr_workgroup_info 0
		.amdhsa_system_vgpr_workitem_id 2
		.amdhsa_next_free_vgpr 174
		.amdhsa_next_free_sgpr 96
		.amdhsa_accum_offset 176
		.amdhsa_reserve_vcc 1
		.amdhsa_reserve_flat_scratch 0
		.amdhsa_float_round_mode_32 0
		.amdhsa_float_round_mode_16_64 0
		.amdhsa_float_denorm_mode_32 3
		.amdhsa_float_denorm_mode_16_64 3
		.amdhsa_dx10_clamp 1
		.amdhsa_ieee_mode 1
		.amdhsa_fp16_overflow 0
		.amdhsa_tg_split 0
		.amdhsa_exception_fp_ieee_invalid_op 0
		.amdhsa_exception_fp_denorm_src 0
		.amdhsa_exception_fp_ieee_div_zero 0
		.amdhsa_exception_fp_ieee_overflow 0
		.amdhsa_exception_fp_ieee_underflow 0
		.amdhsa_exception_fp_ieee_inexact 0
		.amdhsa_exception_int_div_zero 0
	.end_amdhsa_kernel
	.section	.text._Z11rank_kernelIhLj4ELb0EL18RadixRankAlgorithm2ELj256ELj8ELj10EEvPKT_Pi,"axG",@progbits,_Z11rank_kernelIhLj4ELb0EL18RadixRankAlgorithm2ELj256ELj8ELj10EEvPKT_Pi,comdat
.Lfunc_end68:
	.size	_Z11rank_kernelIhLj4ELb0EL18RadixRankAlgorithm2ELj256ELj8ELj10EEvPKT_Pi, .Lfunc_end68-_Z11rank_kernelIhLj4ELb0EL18RadixRankAlgorithm2ELj256ELj8ELj10EEvPKT_Pi
                                        ; -- End function
	.section	.AMDGPU.csdata,"",@progbits
; Kernel info:
; codeLenInByte = 7496
; NumSgprs: 100
; NumVgprs: 174
; NumAgprs: 0
; TotalNumVgprs: 174
; ScratchSize: 0
; MemoryBound: 0
; FloatMode: 240
; IeeeMode: 1
; LDSByteSize: 1040 bytes/workgroup (compile time only)
; SGPRBlocks: 12
; VGPRBlocks: 21
; NumSGPRsForWavesPerEU: 100
; NumVGPRsForWavesPerEU: 174
; AccumOffset: 176
; Occupancy: 2
; WaveLimiterHint : 0
; COMPUTE_PGM_RSRC2:SCRATCH_EN: 0
; COMPUTE_PGM_RSRC2:USER_SGPR: 6
; COMPUTE_PGM_RSRC2:TRAP_HANDLER: 0
; COMPUTE_PGM_RSRC2:TGID_X_EN: 1
; COMPUTE_PGM_RSRC2:TGID_Y_EN: 0
; COMPUTE_PGM_RSRC2:TGID_Z_EN: 0
; COMPUTE_PGM_RSRC2:TIDIG_COMP_CNT: 2
; COMPUTE_PGM_RSRC3_GFX90A:ACCUM_OFFSET: 43
; COMPUTE_PGM_RSRC3_GFX90A:TG_SPLIT: 0
	.section	.text._Z11rank_kernelIhLj4ELb0EL18RadixRankAlgorithm0ELj256ELj16ELj10EEvPKT_Pi,"axG",@progbits,_Z11rank_kernelIhLj4ELb0EL18RadixRankAlgorithm0ELj256ELj16ELj10EEvPKT_Pi,comdat
	.protected	_Z11rank_kernelIhLj4ELb0EL18RadixRankAlgorithm0ELj256ELj16ELj10EEvPKT_Pi ; -- Begin function _Z11rank_kernelIhLj4ELb0EL18RadixRankAlgorithm0ELj256ELj16ELj10EEvPKT_Pi
	.globl	_Z11rank_kernelIhLj4ELb0EL18RadixRankAlgorithm0ELj256ELj16ELj10EEvPKT_Pi
	.p2align	8
	.type	_Z11rank_kernelIhLj4ELb0EL18RadixRankAlgorithm0ELj256ELj16ELj10EEvPKT_Pi,@function
_Z11rank_kernelIhLj4ELb0EL18RadixRankAlgorithm0ELj256ELj16ELj10EEvPKT_Pi: ; @_Z11rank_kernelIhLj4ELb0EL18RadixRankAlgorithm0ELj256ELj16ELj10EEvPKT_Pi
; %bb.0:
	s_load_dwordx4 s[24:27], s[4:5], 0x0
	s_lshl_b32 s28, s6, 12
	v_lshlrev_b32_e32 v6, 4, v0
	v_mbcnt_lo_u32_b32 v1, -1, 0
	v_mbcnt_hi_u32_b32 v1, -1, v1
	s_waitcnt lgkmcnt(0)
	s_add_u32 s0, s24, s28
	s_addc_u32 s1, s25, 0
	global_load_dwordx4 v[2:5], v6, s[0:1]
	v_and_b32_e32 v8, 15, v1
	v_cmp_eq_u32_e64 s[0:1], 0, v8
	v_cmp_lt_u32_e64 s[2:3], 1, v8
	v_cmp_lt_u32_e64 s[4:5], 3, v8
	;; [unrolled: 1-line block ×3, first 2 shown]
	v_and_b32_e32 v8, 16, v1
	v_cmp_eq_u32_e64 s[8:9], 0, v8
	v_or_b32_e32 v8, 63, v0
	v_cmp_eq_u32_e64 s[12:13], v8, v0
	v_add_u32_e32 v8, -1, v1
	v_and_b32_e32 v9, 64, v1
	v_cmp_lt_i32_e32 vcc, v8, v9
	v_cndmask_b32_e32 v8, v8, v1, vcc
	s_mov_b32 s29, 0
	v_cmp_lt_u32_e64 s[10:11], 31, v1
	v_lshlrev_b32_e32 v11, 2, v8
	v_cmp_eq_u32_e64 s[18:19], 0, v1
	v_lshrrev_b32_e32 v8, 4, v0
	v_and_b32_e32 v1, 3, v1
	v_mov_b32_e32 v7, 0
	v_lshlrev_b32_e32 v10, 5, v0
	v_cmp_gt_u32_e64 s[14:15], 4, v0
	v_cmp_lt_u32_e64 s[16:17], 63, v0
	v_and_b32_e32 v12, 12, v8
	v_lshlrev_b32_e32 v13, 2, v0
	v_cmp_eq_u32_e64 s[20:21], 0, v1
	v_cmp_lt_u32_e64 s[22:23], 1, v1
	v_or_b32_e32 v1, 0x100, v0
	s_movk_i32 s33, 0x700
	s_mov_b32 s38, s29
	s_branch .LBB69_2
.LBB69_1:                               ;   in Loop: Header=BB69_2 Depth=1
	s_add_i32 s38, s38, 1
	s_cmp_eq_u32 s38, 10
	s_cbranch_scc1 .LBB69_16
.LBB69_2:                               ; =>This Loop Header: Depth=1
                                        ;     Child Loop BB69_4 Depth 2
                                        ;       Child Loop BB69_6 Depth 3
	s_mov_b32 s39, 28
	s_mov_b64 s[24:25], -1
	s_branch .LBB69_4
.LBB69_3:                               ;   in Loop: Header=BB69_4 Depth=2
	s_or_b64 exec, exec, s[30:31]
	s_waitcnt lgkmcnt(0)
	v_add_u32_e32 v44, v45, v44
	ds_bpermute_b32 v44, v11, v44
	ds_read_b32 v46, v7 offset:8204
	s_mov_b32 s39, 24
	s_andn2_b64 vcc, exec, s[24:25]
	s_mov_b64 s[24:25], 0
	s_waitcnt lgkmcnt(1)
	v_cndmask_b32_e64 v47, v44, v45, s[18:19]
	ds_read2_b32 v[44:45], v10 offset1:1
	s_waitcnt lgkmcnt(1)
	v_lshl_add_u32 v50, v46, 16, v47
	ds_read2_b32 v[46:47], v10 offset0:2 offset1:3
	ds_read2_b32 v[48:49], v10 offset0:4 offset1:5
	ds_read_b32 v51, v10 offset:24
	s_waitcnt lgkmcnt(3)
	v_add_u32_e32 v44, v50, v44
	ds_write2_b32 v10, v50, v44 offset1:1
	v_add_u32_e32 v44, v45, v44
	s_waitcnt lgkmcnt(3)
	v_add_u32_e32 v45, v46, v44
	ds_write2_b32 v10, v44, v45 offset0:2 offset1:3
	v_add_u32_e32 v44, v47, v45
	s_waitcnt lgkmcnt(3)
	v_add_u32_e32 v45, v48, v44
	ds_write2_b32 v10, v44, v45 offset0:4 offset1:5
	;; [unrolled: 4-line block ×3, first 2 shown]
	s_waitcnt lgkmcnt(0)
	s_barrier
	s_cbranch_vccz .LBB69_1
.LBB69_4:                               ;   Parent Loop BB69_2 Depth=1
                                        ; =>  This Loop Header: Depth=2
                                        ;       Child Loop BB69_6 Depth 3
	s_xor_b64 s[24:25], s[24:25], -1
	s_mov_b32 s40, 0
	s_mov_b64 s[30:31], 0
	v_pk_mov_b32 v[8:9], v[0:1], v[0:1] op_sel:[0,1]
	s_branch .LBB69_6
.LBB69_5:                               ;   in Loop: Header=BB69_6 Depth=3
	s_or_b64 exec, exec, s[36:37]
	s_add_i32 s40, s40, 2
	v_cmp_eq_u32_e64 s[34:35], 8, s40
	v_add_u32_e32 v9, 0x200, v9
	s_or_b64 s[30:31], s[34:35], s[30:31]
	v_add_u32_e32 v8, 0x200, v8
	s_andn2_b64 exec, exec, s[30:31]
	s_cbranch_execz .LBB69_10
.LBB69_6:                               ;   Parent Loop BB69_2 Depth=1
                                        ;     Parent Loop BB69_4 Depth=2
                                        ; =>    This Inner Loop Header: Depth=3
	s_or_b32 s34, s40, 1
	v_cmp_le_u32_e64 s[34:35], s34, 7
	v_cmp_le_u32_e64 s[42:43], s40, 7
	s_and_saveexec_b64 s[36:37], s[42:43]
	s_cbranch_execz .LBB69_8
; %bb.7:                                ;   in Loop: Header=BB69_6 Depth=3
	v_lshlrev_b32_e32 v14, 2, v8
	ds_write_b32 v14, v7
.LBB69_8:                               ;   in Loop: Header=BB69_6 Depth=3
	s_or_b64 exec, exec, s[36:37]
	s_and_saveexec_b64 s[36:37], s[34:35]
	s_cbranch_execz .LBB69_5
; %bb.9:                                ;   in Loop: Header=BB69_6 Depth=3
	v_lshlrev_b32_e32 v14, 2, v9
	ds_write_b32 v14, v7
	s_branch .LBB69_5
.LBB69_10:                              ;   in Loop: Header=BB69_4 Depth=2
	s_or_b64 exec, exec, s[30:31]
	s_waitcnt vmcnt(0)
	v_lshlrev_b32_sdwa v8, s39, v2 dst_sel:DWORD dst_unused:UNUSED_PAD src0_sel:DWORD src1_sel:BYTE_0
	v_lshrrev_b32_e32 v9, 20, v8
	v_and_or_b32 v9, v9, s33, v0
	v_alignbit_b32 v8, v9, v8, 31
	v_lshlrev_b32_e32 v14, 1, v8
	ds_read_u16 v8, v14
	v_lshlrev_b32_sdwa v9, s39, v2 dst_sel:DWORD dst_unused:UNUSED_PAD src0_sel:DWORD src1_sel:BYTE_1
	v_lshrrev_b32_e32 v15, 20, v9
	v_and_or_b32 v15, v15, s33, v0
	v_alignbit_b32 v9, v15, v9, 31
	s_waitcnt lgkmcnt(0)
	v_add_u16_e32 v15, 1, v8
	ds_write_b16 v14, v15
	v_lshlrev_b32_e32 v16, 1, v9
	ds_read_u16 v9, v16
	v_lshlrev_b32_sdwa v15, s39, v2 dst_sel:DWORD dst_unused:UNUSED_PAD src0_sel:DWORD src1_sel:BYTE_2
	v_lshrrev_b32_e32 v17, 20, v15
	v_and_or_b32 v17, v17, s33, v0
	v_alignbit_b32 v15, v17, v15, 31
	s_waitcnt lgkmcnt(0)
	v_add_u16_e32 v18, 1, v9
	ds_write_b16 v16, v18
	v_lshlrev_b32_e32 v18, 1, v15
	ds_read_u16 v15, v18
	v_lshlrev_b32_sdwa v17, s39, v2 dst_sel:DWORD dst_unused:UNUSED_PAD src0_sel:DWORD src1_sel:BYTE_3
	v_lshrrev_b32_e32 v19, 20, v17
	v_and_or_b32 v19, v19, s33, v0
	v_alignbit_b32 v17, v19, v17, 31
	s_waitcnt lgkmcnt(0)
	v_add_u16_e32 v20, 1, v15
	ds_write_b16 v18, v20
	v_lshlrev_b32_e32 v20, 1, v17
	ds_read_u16 v17, v20
	v_lshlrev_b32_sdwa v19, s39, v3 dst_sel:DWORD dst_unused:UNUSED_PAD src0_sel:DWORD src1_sel:BYTE_0
	s_waitcnt lgkmcnt(0)
	v_add_u16_e32 v21, 1, v17
	ds_write_b16 v20, v21
	v_lshrrev_b32_e32 v21, 20, v19
	v_and_or_b32 v21, v21, s33, v0
	v_alignbit_b32 v19, v21, v19, 31
	v_lshlrev_b32_e32 v22, 1, v19
	ds_read_u16 v19, v22
	s_waitcnt lgkmcnt(0)
	v_add_u16_e32 v21, 1, v19
	ds_write_b16 v22, v21
	v_lshlrev_b32_sdwa v21, s39, v3 dst_sel:DWORD dst_unused:UNUSED_PAD src0_sel:DWORD src1_sel:BYTE_1
	v_lshrrev_b32_e32 v23, 20, v21
	v_and_or_b32 v23, v23, s33, v0
	v_alignbit_b32 v21, v23, v21, 31
	v_lshlrev_b32_e32 v24, 1, v21
	ds_read_u16 v21, v24
	s_waitcnt lgkmcnt(0)
	v_add_u16_e32 v23, 1, v21
	ds_write_b16 v24, v23
	v_lshlrev_b32_sdwa v23, s39, v3 dst_sel:DWORD dst_unused:UNUSED_PAD src0_sel:DWORD src1_sel:BYTE_2
	v_lshrrev_b32_e32 v25, 20, v23
	v_and_or_b32 v25, v25, s33, v0
	v_alignbit_b32 v23, v25, v23, 31
	v_lshlrev_b32_e32 v26, 1, v23
	ds_read_u16 v23, v26
	s_waitcnt lgkmcnt(0)
	v_add_u16_e32 v25, 1, v23
	ds_write_b16 v26, v25
	v_lshlrev_b32_sdwa v25, s39, v3 dst_sel:DWORD dst_unused:UNUSED_PAD src0_sel:DWORD src1_sel:BYTE_3
	v_lshrrev_b32_e32 v27, 20, v25
	v_and_or_b32 v27, v27, s33, v0
	v_alignbit_b32 v25, v27, v25, 31
	v_lshlrev_b32_e32 v28, 1, v25
	ds_read_u16 v25, v28
	s_waitcnt lgkmcnt(0)
	v_add_u16_e32 v27, 1, v25
	ds_write_b16 v28, v27
	v_lshlrev_b32_sdwa v27, s39, v4 dst_sel:DWORD dst_unused:UNUSED_PAD src0_sel:DWORD src1_sel:BYTE_0
	v_lshrrev_b32_e32 v29, 20, v27
	v_and_or_b32 v29, v29, s33, v0
	v_alignbit_b32 v27, v29, v27, 31
	v_lshlrev_b32_e32 v30, 1, v27
	ds_read_u16 v27, v30
	s_waitcnt lgkmcnt(0)
	v_add_u16_e32 v29, 1, v27
	ds_write_b16 v30, v29
	v_lshlrev_b32_sdwa v29, s39, v4 dst_sel:DWORD dst_unused:UNUSED_PAD src0_sel:DWORD src1_sel:BYTE_1
	v_lshrrev_b32_e32 v31, 20, v29
	v_and_or_b32 v31, v31, s33, v0
	v_alignbit_b32 v29, v31, v29, 31
	v_lshlrev_b32_e32 v32, 1, v29
	ds_read_u16 v29, v32
	s_waitcnt lgkmcnt(0)
	v_add_u16_e32 v31, 1, v29
	ds_write_b16 v32, v31
	v_lshlrev_b32_sdwa v31, s39, v4 dst_sel:DWORD dst_unused:UNUSED_PAD src0_sel:DWORD src1_sel:BYTE_2
	v_lshrrev_b32_e32 v33, 20, v31
	v_and_or_b32 v33, v33, s33, v0
	v_alignbit_b32 v31, v33, v31, 31
	v_lshlrev_b32_e32 v34, 1, v31
	ds_read_u16 v31, v34
	s_waitcnt lgkmcnt(0)
	v_add_u16_e32 v33, 1, v31
	ds_write_b16 v34, v33
	v_lshlrev_b32_sdwa v33, s39, v4 dst_sel:DWORD dst_unused:UNUSED_PAD src0_sel:DWORD src1_sel:BYTE_3
	v_lshrrev_b32_e32 v35, 20, v33
	v_and_or_b32 v35, v35, s33, v0
	v_alignbit_b32 v33, v35, v33, 31
	v_lshlrev_b32_e32 v36, 1, v33
	ds_read_u16 v33, v36
	s_waitcnt lgkmcnt(0)
	v_add_u16_e32 v35, 1, v33
	ds_write_b16 v36, v35
	v_lshlrev_b32_sdwa v35, s39, v5 dst_sel:DWORD dst_unused:UNUSED_PAD src0_sel:DWORD src1_sel:BYTE_0
	v_lshrrev_b32_e32 v37, 20, v35
	v_and_or_b32 v37, v37, s33, v0
	v_alignbit_b32 v35, v37, v35, 31
	v_lshlrev_b32_e32 v38, 1, v35
	ds_read_u16 v35, v38
	s_waitcnt lgkmcnt(0)
	v_add_u16_e32 v37, 1, v35
	ds_write_b16 v38, v37
	v_lshlrev_b32_sdwa v37, s39, v5 dst_sel:DWORD dst_unused:UNUSED_PAD src0_sel:DWORD src1_sel:BYTE_1
	v_lshrrev_b32_e32 v39, 20, v37
	v_and_or_b32 v39, v39, s33, v0
	v_alignbit_b32 v37, v39, v37, 31
	v_lshlrev_b32_e32 v40, 1, v37
	ds_read_u16 v37, v40
	s_waitcnt lgkmcnt(0)
	v_add_u16_e32 v39, 1, v37
	ds_write_b16 v40, v39
	v_lshlrev_b32_sdwa v39, s39, v5 dst_sel:DWORD dst_unused:UNUSED_PAD src0_sel:DWORD src1_sel:BYTE_2
	v_lshrrev_b32_e32 v41, 20, v39
	v_and_or_b32 v41, v41, s33, v0
	v_alignbit_b32 v39, v41, v39, 31
	v_lshlrev_b32_e32 v42, 1, v39
	ds_read_u16 v39, v42
	s_waitcnt lgkmcnt(0)
	v_add_u16_e32 v41, 1, v39
	ds_write_b16 v42, v41
	v_lshlrev_b32_sdwa v41, s39, v5 dst_sel:DWORD dst_unused:UNUSED_PAD src0_sel:DWORD src1_sel:BYTE_3
	v_lshrrev_b32_e32 v43, 20, v41
	v_and_or_b32 v43, v43, s33, v0
	v_alignbit_b32 v41, v43, v41, 31
	v_lshlrev_b32_e32 v43, 1, v41
	ds_read_u16 v41, v43
	s_waitcnt lgkmcnt(0)
	v_add_u16_e32 v44, 1, v41
	ds_write_b16 v43, v44
	s_waitcnt lgkmcnt(0)
	s_barrier
	ds_read2_b32 v[44:45], v10 offset1:1
	ds_read2_b32 v[46:47], v10 offset0:2 offset1:3
	ds_read2_b32 v[48:49], v10 offset0:4 offset1:5
	;; [unrolled: 1-line block ×3, first 2 shown]
	s_waitcnt lgkmcnt(3)
	v_add_u32_e32 v44, v45, v44
	s_waitcnt lgkmcnt(2)
	v_add3_u32 v44, v44, v46, v47
	s_waitcnt lgkmcnt(1)
	v_add3_u32 v44, v44, v48, v49
	s_waitcnt lgkmcnt(0)
	v_add3_u32 v44, v44, v50, v51
	s_nop 1
	v_mov_b32_dpp v45, v44 row_shr:1 row_mask:0xf bank_mask:0xf
	v_cndmask_b32_e64 v45, v45, 0, s[0:1]
	v_add_u32_e32 v44, v45, v44
	s_nop 1
	v_mov_b32_dpp v45, v44 row_shr:2 row_mask:0xf bank_mask:0xf
	v_cndmask_b32_e64 v45, 0, v45, s[2:3]
	v_add_u32_e32 v44, v44, v45
	;; [unrolled: 4-line block ×4, first 2 shown]
	s_nop 1
	v_mov_b32_dpp v45, v44 row_bcast:15 row_mask:0xf bank_mask:0xf
	v_cndmask_b32_e64 v45, v45, 0, s[8:9]
	v_add_u32_e32 v44, v44, v45
	s_nop 1
	v_mov_b32_dpp v45, v44 row_bcast:31 row_mask:0xf bank_mask:0xf
	v_cndmask_b32_e64 v45, 0, v45, s[10:11]
	v_add_u32_e32 v44, v44, v45
	s_and_saveexec_b64 s[30:31], s[12:13]
	s_cbranch_execz .LBB69_12
; %bb.11:                               ;   in Loop: Header=BB69_4 Depth=2
	ds_write_b32 v12, v44 offset:8192
.LBB69_12:                              ;   in Loop: Header=BB69_4 Depth=2
	s_or_b64 exec, exec, s[30:31]
	s_waitcnt lgkmcnt(0)
	s_barrier
	s_and_saveexec_b64 s[30:31], s[14:15]
	s_cbranch_execz .LBB69_14
; %bb.13:                               ;   in Loop: Header=BB69_4 Depth=2
	ds_read_b32 v45, v13 offset:8192
	s_waitcnt lgkmcnt(0)
	s_nop 0
	v_mov_b32_dpp v46, v45 row_shr:1 row_mask:0xf bank_mask:0xf
	v_cndmask_b32_e64 v46, v46, 0, s[20:21]
	v_add_u32_e32 v45, v46, v45
	s_nop 1
	v_mov_b32_dpp v46, v45 row_shr:2 row_mask:0xf bank_mask:0xf
	v_cndmask_b32_e64 v46, 0, v46, s[22:23]
	v_add_u32_e32 v45, v45, v46
	ds_write_b32 v13, v45 offset:8192
.LBB69_14:                              ;   in Loop: Header=BB69_4 Depth=2
	s_or_b64 exec, exec, s[30:31]
	v_mov_b32_e32 v45, 0
	s_waitcnt lgkmcnt(0)
	s_barrier
	s_and_saveexec_b64 s[30:31], s[16:17]
	s_cbranch_execz .LBB69_3
; %bb.15:                               ;   in Loop: Header=BB69_4 Depth=2
	ds_read_b32 v45, v12 offset:8188
	s_branch .LBB69_3
.LBB69_16:
	ds_read_u16 v0, v43
	ds_read_u16 v1, v42
	;; [unrolled: 1-line block ×16, first 2 shown]
	s_lshl_b64 s[0:1], s[28:29], 2
	s_add_u32 s0, s26, s0
	s_waitcnt lgkmcnt(14)
	v_add_u32_sdwa v2, v1, v39 dst_sel:DWORD dst_unused:UNUSED_PAD src0_sel:DWORD src1_sel:WORD_0
	s_waitcnt lgkmcnt(13)
	v_add_u32_sdwa v1, v4, v37 dst_sel:DWORD dst_unused:UNUSED_PAD src0_sel:DWORD src1_sel:WORD_0
	;; [unrolled: 2-line block ×6, first 2 shown]
	s_addc_u32 s1, s27, s1
	v_lshlrev_b32_e32 v4, 2, v6
	v_add_u32_sdwa v3, v0, v41 dst_sel:DWORD dst_unused:UNUSED_PAD src0_sel:DWORD src1_sel:WORD_0
	v_add_u32_sdwa v0, v5, v35 dst_sel:DWORD dst_unused:UNUSED_PAD src0_sel:DWORD src1_sel:WORD_0
	;; [unrolled: 1-line block ×10, first 2 shown]
	global_store_dwordx4 v4, v[14:17], s[0:1]
	global_store_dwordx4 v4, v[22:25], s[0:1] offset:16
	global_store_dwordx4 v4, v[10:13], s[0:1] offset:32
	;; [unrolled: 1-line block ×3, first 2 shown]
	s_endpgm
	.section	.rodata,"a",@progbits
	.p2align	6, 0x0
	.amdhsa_kernel _Z11rank_kernelIhLj4ELb0EL18RadixRankAlgorithm0ELj256ELj16ELj10EEvPKT_Pi
		.amdhsa_group_segment_fixed_size 8208
		.amdhsa_private_segment_fixed_size 0
		.amdhsa_kernarg_size 16
		.amdhsa_user_sgpr_count 6
		.amdhsa_user_sgpr_private_segment_buffer 1
		.amdhsa_user_sgpr_dispatch_ptr 0
		.amdhsa_user_sgpr_queue_ptr 0
		.amdhsa_user_sgpr_kernarg_segment_ptr 1
		.amdhsa_user_sgpr_dispatch_id 0
		.amdhsa_user_sgpr_flat_scratch_init 0
		.amdhsa_user_sgpr_kernarg_preload_length 0
		.amdhsa_user_sgpr_kernarg_preload_offset 0
		.amdhsa_user_sgpr_private_segment_size 0
		.amdhsa_uses_dynamic_stack 0
		.amdhsa_system_sgpr_private_segment_wavefront_offset 0
		.amdhsa_system_sgpr_workgroup_id_x 1
		.amdhsa_system_sgpr_workgroup_id_y 0
		.amdhsa_system_sgpr_workgroup_id_z 0
		.amdhsa_system_sgpr_workgroup_info 0
		.amdhsa_system_vgpr_workitem_id 0
		.amdhsa_next_free_vgpr 52
		.amdhsa_next_free_sgpr 44
		.amdhsa_accum_offset 52
		.amdhsa_reserve_vcc 1
		.amdhsa_reserve_flat_scratch 0
		.amdhsa_float_round_mode_32 0
		.amdhsa_float_round_mode_16_64 0
		.amdhsa_float_denorm_mode_32 3
		.amdhsa_float_denorm_mode_16_64 3
		.amdhsa_dx10_clamp 1
		.amdhsa_ieee_mode 1
		.amdhsa_fp16_overflow 0
		.amdhsa_tg_split 0
		.amdhsa_exception_fp_ieee_invalid_op 0
		.amdhsa_exception_fp_denorm_src 0
		.amdhsa_exception_fp_ieee_div_zero 0
		.amdhsa_exception_fp_ieee_overflow 0
		.amdhsa_exception_fp_ieee_underflow 0
		.amdhsa_exception_fp_ieee_inexact 0
		.amdhsa_exception_int_div_zero 0
	.end_amdhsa_kernel
	.section	.text._Z11rank_kernelIhLj4ELb0EL18RadixRankAlgorithm0ELj256ELj16ELj10EEvPKT_Pi,"axG",@progbits,_Z11rank_kernelIhLj4ELb0EL18RadixRankAlgorithm0ELj256ELj16ELj10EEvPKT_Pi,comdat
.Lfunc_end69:
	.size	_Z11rank_kernelIhLj4ELb0EL18RadixRankAlgorithm0ELj256ELj16ELj10EEvPKT_Pi, .Lfunc_end69-_Z11rank_kernelIhLj4ELb0EL18RadixRankAlgorithm0ELj256ELj16ELj10EEvPKT_Pi
                                        ; -- End function
	.section	.AMDGPU.csdata,"",@progbits
; Kernel info:
; codeLenInByte = 2176
; NumSgprs: 48
; NumVgprs: 52
; NumAgprs: 0
; TotalNumVgprs: 52
; ScratchSize: 0
; MemoryBound: 0
; FloatMode: 240
; IeeeMode: 1
; LDSByteSize: 8208 bytes/workgroup (compile time only)
; SGPRBlocks: 5
; VGPRBlocks: 6
; NumSGPRsForWavesPerEU: 48
; NumVGPRsForWavesPerEU: 52
; AccumOffset: 52
; Occupancy: 7
; WaveLimiterHint : 0
; COMPUTE_PGM_RSRC2:SCRATCH_EN: 0
; COMPUTE_PGM_RSRC2:USER_SGPR: 6
; COMPUTE_PGM_RSRC2:TRAP_HANDLER: 0
; COMPUTE_PGM_RSRC2:TGID_X_EN: 1
; COMPUTE_PGM_RSRC2:TGID_Y_EN: 0
; COMPUTE_PGM_RSRC2:TGID_Z_EN: 0
; COMPUTE_PGM_RSRC2:TIDIG_COMP_CNT: 0
; COMPUTE_PGM_RSRC3_GFX90A:ACCUM_OFFSET: 12
; COMPUTE_PGM_RSRC3_GFX90A:TG_SPLIT: 0
	.section	.text._Z11rank_kernelIhLj4ELb0EL18RadixRankAlgorithm1ELj256ELj16ELj10EEvPKT_Pi,"axG",@progbits,_Z11rank_kernelIhLj4ELb0EL18RadixRankAlgorithm1ELj256ELj16ELj10EEvPKT_Pi,comdat
	.protected	_Z11rank_kernelIhLj4ELb0EL18RadixRankAlgorithm1ELj256ELj16ELj10EEvPKT_Pi ; -- Begin function _Z11rank_kernelIhLj4ELb0EL18RadixRankAlgorithm1ELj256ELj16ELj10EEvPKT_Pi
	.globl	_Z11rank_kernelIhLj4ELb0EL18RadixRankAlgorithm1ELj256ELj16ELj10EEvPKT_Pi
	.p2align	8
	.type	_Z11rank_kernelIhLj4ELb0EL18RadixRankAlgorithm1ELj256ELj16ELj10EEvPKT_Pi,@function
_Z11rank_kernelIhLj4ELb0EL18RadixRankAlgorithm1ELj256ELj16ELj10EEvPKT_Pi: ; @_Z11rank_kernelIhLj4ELb0EL18RadixRankAlgorithm1ELj256ELj16ELj10EEvPKT_Pi
; %bb.0:
	s_load_dwordx4 s[24:27], s[4:5], 0x0
	s_lshl_b32 s28, s6, 12
	v_lshlrev_b32_e32 v6, 4, v0
	v_mbcnt_lo_u32_b32 v1, -1, 0
	v_mbcnt_hi_u32_b32 v1, -1, v1
	s_waitcnt lgkmcnt(0)
	s_add_u32 s0, s24, s28
	s_addc_u32 s1, s25, 0
	global_load_dwordx4 v[2:5], v6, s[0:1]
	v_and_b32_e32 v8, 15, v1
	v_cmp_eq_u32_e64 s[0:1], 0, v8
	v_cmp_lt_u32_e64 s[2:3], 1, v8
	v_cmp_lt_u32_e64 s[4:5], 3, v8
	;; [unrolled: 1-line block ×3, first 2 shown]
	v_and_b32_e32 v8, 16, v1
	v_cmp_eq_u32_e64 s[8:9], 0, v8
	v_or_b32_e32 v8, 63, v0
	v_cmp_eq_u32_e64 s[12:13], v8, v0
	v_add_u32_e32 v8, -1, v1
	v_and_b32_e32 v9, 64, v1
	v_cmp_lt_i32_e32 vcc, v8, v9
	v_cndmask_b32_e32 v8, v8, v1, vcc
	s_mov_b32 s29, 0
	v_cmp_lt_u32_e64 s[10:11], 31, v1
	v_lshlrev_b32_e32 v17, 2, v8
	v_cmp_eq_u32_e64 s[18:19], 0, v1
	v_lshrrev_b32_e32 v8, 4, v0
	v_and_b32_e32 v1, 3, v1
	v_mov_b32_e32 v7, 0
	v_lshlrev_b32_e32 v16, 5, v0
	v_cmp_gt_u32_e64 s[14:15], 4, v0
	v_cmp_lt_u32_e64 s[16:17], 63, v0
	v_and_b32_e32 v18, 12, v8
	v_lshlrev_b32_e32 v19, 2, v0
	v_cmp_eq_u32_e64 s[20:21], 0, v1
	v_cmp_lt_u32_e64 s[22:23], 1, v1
	v_or_b32_e32 v1, 0x100, v0
	s_movk_i32 s33, 0x700
	s_mov_b32 s38, s29
	s_branch .LBB70_2
.LBB70_1:                               ;   in Loop: Header=BB70_2 Depth=1
	s_add_i32 s38, s38, 1
	s_cmp_eq_u32 s38, 10
	s_cbranch_scc1 .LBB70_16
.LBB70_2:                               ; =>This Loop Header: Depth=1
                                        ;     Child Loop BB70_4 Depth 2
                                        ;       Child Loop BB70_6 Depth 3
	s_mov_b32 s39, 28
	s_mov_b64 s[24:25], -1
	s_branch .LBB70_4
.LBB70_3:                               ;   in Loop: Header=BB70_4 Depth=2
	s_or_b64 exec, exec, s[30:31]
	s_waitcnt lgkmcnt(0)
	v_add_u32_e32 v9, v52, v9
	ds_bpermute_b32 v9, v17, v9
	ds_read_b32 v53, v7 offset:8204
	s_mov_b32 s39, 24
	s_andn2_b64 vcc, exec, s[24:25]
	s_mov_b64 s[24:25], 0
	s_waitcnt lgkmcnt(1)
	v_cndmask_b32_e64 v9, v9, v52, s[18:19]
	s_waitcnt lgkmcnt(0)
	v_lshl_add_u32 v9, v53, 16, v9
	v_add_u32_e32 v14, v9, v14
	v_add_u32_e32 v15, v14, v15
	ds_write2_b32 v16, v9, v14 offset1:1
	v_add_u32_e32 v9, v15, v12
	v_add_u32_e32 v12, v9, v13
	ds_write2_b32 v16, v15, v9 offset0:2 offset1:3
	v_add_u32_e32 v9, v12, v10
	v_add_u32_e32 v10, v9, v11
	;; [unrolled: 1-line block ×3, first 2 shown]
	ds_write2_b32 v16, v12, v9 offset0:4 offset1:5
	ds_write2_b32 v16, v10, v8 offset0:6 offset1:7
	s_waitcnt lgkmcnt(0)
	s_barrier
	s_cbranch_vccz .LBB70_1
.LBB70_4:                               ;   Parent Loop BB70_2 Depth=1
                                        ; =>  This Loop Header: Depth=2
                                        ;       Child Loop BB70_6 Depth 3
	s_xor_b64 s[24:25], s[24:25], -1
	s_mov_b32 s40, 0
	s_mov_b64 s[30:31], 0
	v_pk_mov_b32 v[8:9], v[0:1], v[0:1] op_sel:[0,1]
	s_branch .LBB70_6
.LBB70_5:                               ;   in Loop: Header=BB70_6 Depth=3
	s_or_b64 exec, exec, s[36:37]
	s_add_i32 s40, s40, 2
	v_cmp_eq_u32_e64 s[34:35], 8, s40
	v_add_u32_e32 v9, 0x200, v9
	s_or_b64 s[30:31], s[34:35], s[30:31]
	v_add_u32_e32 v8, 0x200, v8
	s_andn2_b64 exec, exec, s[30:31]
	s_cbranch_execz .LBB70_10
.LBB70_6:                               ;   Parent Loop BB70_2 Depth=1
                                        ;     Parent Loop BB70_4 Depth=2
                                        ; =>    This Inner Loop Header: Depth=3
	s_or_b32 s34, s40, 1
	v_cmp_le_u32_e64 s[34:35], s34, 7
	v_cmp_le_u32_e64 s[42:43], s40, 7
	s_and_saveexec_b64 s[36:37], s[42:43]
	s_cbranch_execz .LBB70_8
; %bb.7:                                ;   in Loop: Header=BB70_6 Depth=3
	v_lshlrev_b32_e32 v10, 2, v8
	ds_write_b32 v10, v7
.LBB70_8:                               ;   in Loop: Header=BB70_6 Depth=3
	s_or_b64 exec, exec, s[36:37]
	s_and_saveexec_b64 s[36:37], s[34:35]
	s_cbranch_execz .LBB70_5
; %bb.9:                                ;   in Loop: Header=BB70_6 Depth=3
	v_lshlrev_b32_e32 v10, 2, v9
	ds_write_b32 v10, v7
	s_branch .LBB70_5
.LBB70_10:                              ;   in Loop: Header=BB70_4 Depth=2
	s_or_b64 exec, exec, s[30:31]
	s_waitcnt vmcnt(0)
	v_lshlrev_b32_sdwa v8, s39, v2 dst_sel:DWORD dst_unused:UNUSED_PAD src0_sel:DWORD src1_sel:BYTE_0
	v_lshrrev_b32_e32 v9, 20, v8
	v_and_or_b32 v9, v9, s33, v0
	v_alignbit_b32 v8, v9, v8, 31
	v_lshlrev_b32_e32 v22, 1, v8
	ds_read_u16 v20, v22
	v_lshlrev_b32_sdwa v8, s39, v2 dst_sel:DWORD dst_unused:UNUSED_PAD src0_sel:DWORD src1_sel:BYTE_1
	v_lshrrev_b32_e32 v9, 20, v8
	v_and_or_b32 v9, v9, s33, v0
	v_alignbit_b32 v8, v9, v8, 31
	s_waitcnt lgkmcnt(0)
	v_add_u16_e32 v9, 1, v20
	ds_write_b16 v22, v9
	v_lshlrev_b32_e32 v24, 1, v8
	ds_read_u16 v21, v24
	v_lshlrev_b32_sdwa v8, s39, v2 dst_sel:DWORD dst_unused:UNUSED_PAD src0_sel:DWORD src1_sel:BYTE_2
	v_lshrrev_b32_e32 v9, 20, v8
	v_and_or_b32 v9, v9, s33, v0
	v_alignbit_b32 v8, v9, v8, 31
	s_waitcnt lgkmcnt(0)
	v_add_u16_e32 v10, 1, v21
	ds_write_b16 v24, v10
	v_lshlrev_b32_e32 v26, 1, v8
	ds_read_u16 v23, v26
	v_lshlrev_b32_sdwa v8, s39, v2 dst_sel:DWORD dst_unused:UNUSED_PAD src0_sel:DWORD src1_sel:BYTE_3
	v_lshrrev_b32_e32 v9, 20, v8
	v_and_or_b32 v9, v9, s33, v0
	v_alignbit_b32 v8, v9, v8, 31
	s_waitcnt lgkmcnt(0)
	v_add_u16_e32 v10, 1, v23
	ds_write_b16 v26, v10
	v_lshlrev_b32_e32 v28, 1, v8
	ds_read_u16 v25, v28
	v_lshlrev_b32_sdwa v8, s39, v3 dst_sel:DWORD dst_unused:UNUSED_PAD src0_sel:DWORD src1_sel:BYTE_0
	s_waitcnt lgkmcnt(0)
	v_add_u16_e32 v9, 1, v25
	ds_write_b16 v28, v9
	v_lshrrev_b32_e32 v9, 20, v8
	v_and_or_b32 v9, v9, s33, v0
	v_alignbit_b32 v8, v9, v8, 31
	v_lshlrev_b32_e32 v30, 1, v8
	ds_read_u16 v27, v30
	s_waitcnt lgkmcnt(0)
	v_add_u16_e32 v8, 1, v27
	ds_write_b16 v30, v8
	v_lshlrev_b32_sdwa v8, s39, v3 dst_sel:DWORD dst_unused:UNUSED_PAD src0_sel:DWORD src1_sel:BYTE_1
	v_lshrrev_b32_e32 v9, 20, v8
	v_and_or_b32 v9, v9, s33, v0
	v_alignbit_b32 v8, v9, v8, 31
	v_lshlrev_b32_e32 v32, 1, v8
	ds_read_u16 v29, v32
	s_waitcnt lgkmcnt(0)
	v_add_u16_e32 v8, 1, v29
	ds_write_b16 v32, v8
	v_lshlrev_b32_sdwa v8, s39, v3 dst_sel:DWORD dst_unused:UNUSED_PAD src0_sel:DWORD src1_sel:BYTE_2
	v_lshrrev_b32_e32 v9, 20, v8
	v_and_or_b32 v9, v9, s33, v0
	v_alignbit_b32 v8, v9, v8, 31
	v_lshlrev_b32_e32 v34, 1, v8
	ds_read_u16 v31, v34
	s_waitcnt lgkmcnt(0)
	v_add_u16_e32 v8, 1, v31
	ds_write_b16 v34, v8
	v_lshlrev_b32_sdwa v8, s39, v3 dst_sel:DWORD dst_unused:UNUSED_PAD src0_sel:DWORD src1_sel:BYTE_3
	v_lshrrev_b32_e32 v9, 20, v8
	v_and_or_b32 v9, v9, s33, v0
	v_alignbit_b32 v8, v9, v8, 31
	v_lshlrev_b32_e32 v36, 1, v8
	ds_read_u16 v33, v36
	s_waitcnt lgkmcnt(0)
	v_add_u16_e32 v8, 1, v33
	ds_write_b16 v36, v8
	v_lshlrev_b32_sdwa v8, s39, v4 dst_sel:DWORD dst_unused:UNUSED_PAD src0_sel:DWORD src1_sel:BYTE_0
	v_lshrrev_b32_e32 v9, 20, v8
	v_and_or_b32 v9, v9, s33, v0
	v_alignbit_b32 v8, v9, v8, 31
	v_lshlrev_b32_e32 v38, 1, v8
	ds_read_u16 v35, v38
	s_waitcnt lgkmcnt(0)
	v_add_u16_e32 v8, 1, v35
	ds_write_b16 v38, v8
	v_lshlrev_b32_sdwa v8, s39, v4 dst_sel:DWORD dst_unused:UNUSED_PAD src0_sel:DWORD src1_sel:BYTE_1
	v_lshrrev_b32_e32 v9, 20, v8
	v_and_or_b32 v9, v9, s33, v0
	v_alignbit_b32 v8, v9, v8, 31
	v_lshlrev_b32_e32 v40, 1, v8
	ds_read_u16 v37, v40
	s_waitcnt lgkmcnt(0)
	v_add_u16_e32 v8, 1, v37
	ds_write_b16 v40, v8
	v_lshlrev_b32_sdwa v8, s39, v4 dst_sel:DWORD dst_unused:UNUSED_PAD src0_sel:DWORD src1_sel:BYTE_2
	v_lshrrev_b32_e32 v9, 20, v8
	v_and_or_b32 v9, v9, s33, v0
	v_alignbit_b32 v8, v9, v8, 31
	v_lshlrev_b32_e32 v42, 1, v8
	ds_read_u16 v39, v42
	s_waitcnt lgkmcnt(0)
	v_add_u16_e32 v8, 1, v39
	ds_write_b16 v42, v8
	v_lshlrev_b32_sdwa v8, s39, v4 dst_sel:DWORD dst_unused:UNUSED_PAD src0_sel:DWORD src1_sel:BYTE_3
	v_lshrrev_b32_e32 v9, 20, v8
	v_and_or_b32 v9, v9, s33, v0
	v_alignbit_b32 v8, v9, v8, 31
	v_lshlrev_b32_e32 v44, 1, v8
	ds_read_u16 v41, v44
	s_waitcnt lgkmcnt(0)
	v_add_u16_e32 v8, 1, v41
	ds_write_b16 v44, v8
	v_lshlrev_b32_sdwa v8, s39, v5 dst_sel:DWORD dst_unused:UNUSED_PAD src0_sel:DWORD src1_sel:BYTE_0
	v_lshrrev_b32_e32 v9, 20, v8
	v_and_or_b32 v9, v9, s33, v0
	v_alignbit_b32 v8, v9, v8, 31
	v_lshlrev_b32_e32 v46, 1, v8
	ds_read_u16 v43, v46
	s_waitcnt lgkmcnt(0)
	v_add_u16_e32 v8, 1, v43
	ds_write_b16 v46, v8
	v_lshlrev_b32_sdwa v8, s39, v5 dst_sel:DWORD dst_unused:UNUSED_PAD src0_sel:DWORD src1_sel:BYTE_1
	v_lshrrev_b32_e32 v9, 20, v8
	v_and_or_b32 v9, v9, s33, v0
	v_alignbit_b32 v8, v9, v8, 31
	v_lshlrev_b32_e32 v48, 1, v8
	ds_read_u16 v45, v48
	s_waitcnt lgkmcnt(0)
	v_add_u16_e32 v8, 1, v45
	ds_write_b16 v48, v8
	v_lshlrev_b32_sdwa v8, s39, v5 dst_sel:DWORD dst_unused:UNUSED_PAD src0_sel:DWORD src1_sel:BYTE_2
	v_lshrrev_b32_e32 v9, 20, v8
	v_and_or_b32 v9, v9, s33, v0
	v_alignbit_b32 v8, v9, v8, 31
	v_lshlrev_b32_e32 v50, 1, v8
	ds_read_u16 v47, v50
	s_waitcnt lgkmcnt(0)
	v_add_u16_e32 v8, 1, v47
	ds_write_b16 v50, v8
	v_lshlrev_b32_sdwa v8, s39, v5 dst_sel:DWORD dst_unused:UNUSED_PAD src0_sel:DWORD src1_sel:BYTE_3
	v_lshrrev_b32_e32 v9, 20, v8
	v_and_or_b32 v9, v9, s33, v0
	v_alignbit_b32 v8, v9, v8, 31
	v_lshlrev_b32_e32 v51, 1, v8
	ds_read_u16 v49, v51
	s_waitcnt lgkmcnt(0)
	v_add_u16_e32 v8, 1, v49
	ds_write_b16 v51, v8
	s_waitcnt lgkmcnt(0)
	s_barrier
	ds_read2_b32 v[14:15], v16 offset1:1
	ds_read2_b32 v[12:13], v16 offset0:2 offset1:3
	ds_read2_b32 v[10:11], v16 offset0:4 offset1:5
	;; [unrolled: 1-line block ×3, first 2 shown]
	s_waitcnt lgkmcnt(3)
	v_add_u32_e32 v52, v15, v14
	s_waitcnt lgkmcnt(2)
	v_add3_u32 v52, v52, v12, v13
	s_waitcnt lgkmcnt(1)
	v_add3_u32 v52, v52, v10, v11
	;; [unrolled: 2-line block ×3, first 2 shown]
	s_nop 1
	v_mov_b32_dpp v52, v9 row_shr:1 row_mask:0xf bank_mask:0xf
	v_cndmask_b32_e64 v52, v52, 0, s[0:1]
	v_add_u32_e32 v9, v52, v9
	s_nop 1
	v_mov_b32_dpp v52, v9 row_shr:2 row_mask:0xf bank_mask:0xf
	v_cndmask_b32_e64 v52, 0, v52, s[2:3]
	v_add_u32_e32 v9, v9, v52
	;; [unrolled: 4-line block ×4, first 2 shown]
	s_nop 1
	v_mov_b32_dpp v52, v9 row_bcast:15 row_mask:0xf bank_mask:0xf
	v_cndmask_b32_e64 v52, v52, 0, s[8:9]
	v_add_u32_e32 v9, v9, v52
	s_nop 1
	v_mov_b32_dpp v52, v9 row_bcast:31 row_mask:0xf bank_mask:0xf
	v_cndmask_b32_e64 v52, 0, v52, s[10:11]
	v_add_u32_e32 v9, v9, v52
	s_and_saveexec_b64 s[30:31], s[12:13]
	s_cbranch_execz .LBB70_12
; %bb.11:                               ;   in Loop: Header=BB70_4 Depth=2
	ds_write_b32 v18, v9 offset:8192
.LBB70_12:                              ;   in Loop: Header=BB70_4 Depth=2
	s_or_b64 exec, exec, s[30:31]
	s_waitcnt lgkmcnt(0)
	s_barrier
	s_and_saveexec_b64 s[30:31], s[14:15]
	s_cbranch_execz .LBB70_14
; %bb.13:                               ;   in Loop: Header=BB70_4 Depth=2
	ds_read_b32 v52, v19 offset:8192
	s_waitcnt lgkmcnt(0)
	s_nop 0
	v_mov_b32_dpp v53, v52 row_shr:1 row_mask:0xf bank_mask:0xf
	v_cndmask_b32_e64 v53, v53, 0, s[20:21]
	v_add_u32_e32 v52, v53, v52
	s_nop 1
	v_mov_b32_dpp v53, v52 row_shr:2 row_mask:0xf bank_mask:0xf
	v_cndmask_b32_e64 v53, 0, v53, s[22:23]
	v_add_u32_e32 v52, v52, v53
	ds_write_b32 v19, v52 offset:8192
.LBB70_14:                              ;   in Loop: Header=BB70_4 Depth=2
	s_or_b64 exec, exec, s[30:31]
	v_mov_b32_e32 v52, 0
	s_waitcnt lgkmcnt(0)
	s_barrier
	s_and_saveexec_b64 s[30:31], s[16:17]
	s_cbranch_execz .LBB70_3
; %bb.15:                               ;   in Loop: Header=BB70_4 Depth=2
	ds_read_b32 v52, v18 offset:8188
	s_branch .LBB70_3
.LBB70_16:
	ds_read_u16 v0, v51
	ds_read_u16 v1, v50
	;; [unrolled: 1-line block ×16, first 2 shown]
	s_lshl_b64 s[0:1], s[28:29], 2
	s_add_u32 s0, s26, s0
	s_waitcnt lgkmcnt(14)
	v_add_u32_sdwa v2, v1, v47 dst_sel:DWORD dst_unused:UNUSED_PAD src0_sel:DWORD src1_sel:WORD_0
	s_waitcnt lgkmcnt(13)
	v_add_u32_sdwa v1, v4, v45 dst_sel:DWORD dst_unused:UNUSED_PAD src0_sel:DWORD src1_sel:WORD_0
	;; [unrolled: 2-line block ×11, first 2 shown]
	s_addc_u32 s1, s27, s1
	v_lshlrev_b32_e32 v4, 2, v6
	v_add_u32_sdwa v3, v0, v49 dst_sel:DWORD dst_unused:UNUSED_PAD src0_sel:DWORD src1_sel:WORD_0
	v_add_u32_sdwa v0, v5, v43 dst_sel:DWORD dst_unused:UNUSED_PAD src0_sel:DWORD src1_sel:WORD_0
	;; [unrolled: 1-line block ×5, first 2 shown]
	global_store_dwordx4 v4, v[16:19], s[0:1]
	global_store_dwordx4 v4, v[12:15], s[0:1] offset:16
	global_store_dwordx4 v4, v[8:11], s[0:1] offset:32
	;; [unrolled: 1-line block ×3, first 2 shown]
	s_endpgm
	.section	.rodata,"a",@progbits
	.p2align	6, 0x0
	.amdhsa_kernel _Z11rank_kernelIhLj4ELb0EL18RadixRankAlgorithm1ELj256ELj16ELj10EEvPKT_Pi
		.amdhsa_group_segment_fixed_size 8208
		.amdhsa_private_segment_fixed_size 0
		.amdhsa_kernarg_size 16
		.amdhsa_user_sgpr_count 6
		.amdhsa_user_sgpr_private_segment_buffer 1
		.amdhsa_user_sgpr_dispatch_ptr 0
		.amdhsa_user_sgpr_queue_ptr 0
		.amdhsa_user_sgpr_kernarg_segment_ptr 1
		.amdhsa_user_sgpr_dispatch_id 0
		.amdhsa_user_sgpr_flat_scratch_init 0
		.amdhsa_user_sgpr_kernarg_preload_length 0
		.amdhsa_user_sgpr_kernarg_preload_offset 0
		.amdhsa_user_sgpr_private_segment_size 0
		.amdhsa_uses_dynamic_stack 0
		.amdhsa_system_sgpr_private_segment_wavefront_offset 0
		.amdhsa_system_sgpr_workgroup_id_x 1
		.amdhsa_system_sgpr_workgroup_id_y 0
		.amdhsa_system_sgpr_workgroup_id_z 0
		.amdhsa_system_sgpr_workgroup_info 0
		.amdhsa_system_vgpr_workitem_id 0
		.amdhsa_next_free_vgpr 54
		.amdhsa_next_free_sgpr 44
		.amdhsa_accum_offset 56
		.amdhsa_reserve_vcc 1
		.amdhsa_reserve_flat_scratch 0
		.amdhsa_float_round_mode_32 0
		.amdhsa_float_round_mode_16_64 0
		.amdhsa_float_denorm_mode_32 3
		.amdhsa_float_denorm_mode_16_64 3
		.amdhsa_dx10_clamp 1
		.amdhsa_ieee_mode 1
		.amdhsa_fp16_overflow 0
		.amdhsa_tg_split 0
		.amdhsa_exception_fp_ieee_invalid_op 0
		.amdhsa_exception_fp_denorm_src 0
		.amdhsa_exception_fp_ieee_div_zero 0
		.amdhsa_exception_fp_ieee_overflow 0
		.amdhsa_exception_fp_ieee_underflow 0
		.amdhsa_exception_fp_ieee_inexact 0
		.amdhsa_exception_int_div_zero 0
	.end_amdhsa_kernel
	.section	.text._Z11rank_kernelIhLj4ELb0EL18RadixRankAlgorithm1ELj256ELj16ELj10EEvPKT_Pi,"axG",@progbits,_Z11rank_kernelIhLj4ELb0EL18RadixRankAlgorithm1ELj256ELj16ELj10EEvPKT_Pi,comdat
.Lfunc_end70:
	.size	_Z11rank_kernelIhLj4ELb0EL18RadixRankAlgorithm1ELj256ELj16ELj10EEvPKT_Pi, .Lfunc_end70-_Z11rank_kernelIhLj4ELb0EL18RadixRankAlgorithm1ELj256ELj16ELj10EEvPKT_Pi
                                        ; -- End function
	.section	.AMDGPU.csdata,"",@progbits
; Kernel info:
; codeLenInByte = 2148
; NumSgprs: 48
; NumVgprs: 54
; NumAgprs: 0
; TotalNumVgprs: 54
; ScratchSize: 0
; MemoryBound: 0
; FloatMode: 240
; IeeeMode: 1
; LDSByteSize: 8208 bytes/workgroup (compile time only)
; SGPRBlocks: 5
; VGPRBlocks: 6
; NumSGPRsForWavesPerEU: 48
; NumVGPRsForWavesPerEU: 54
; AccumOffset: 56
; Occupancy: 7
; WaveLimiterHint : 0
; COMPUTE_PGM_RSRC2:SCRATCH_EN: 0
; COMPUTE_PGM_RSRC2:USER_SGPR: 6
; COMPUTE_PGM_RSRC2:TRAP_HANDLER: 0
; COMPUTE_PGM_RSRC2:TGID_X_EN: 1
; COMPUTE_PGM_RSRC2:TGID_Y_EN: 0
; COMPUTE_PGM_RSRC2:TGID_Z_EN: 0
; COMPUTE_PGM_RSRC2:TIDIG_COMP_CNT: 0
; COMPUTE_PGM_RSRC3_GFX90A:ACCUM_OFFSET: 13
; COMPUTE_PGM_RSRC3_GFX90A:TG_SPLIT: 0
	.section	.text._Z11rank_kernelIhLj4ELb0EL18RadixRankAlgorithm2ELj256ELj16ELj10EEvPKT_Pi,"axG",@progbits,_Z11rank_kernelIhLj4ELb0EL18RadixRankAlgorithm2ELj256ELj16ELj10EEvPKT_Pi,comdat
	.protected	_Z11rank_kernelIhLj4ELb0EL18RadixRankAlgorithm2ELj256ELj16ELj10EEvPKT_Pi ; -- Begin function _Z11rank_kernelIhLj4ELb0EL18RadixRankAlgorithm2ELj256ELj16ELj10EEvPKT_Pi
	.globl	_Z11rank_kernelIhLj4ELb0EL18RadixRankAlgorithm2ELj256ELj16ELj10EEvPKT_Pi
	.p2align	8
	.type	_Z11rank_kernelIhLj4ELb0EL18RadixRankAlgorithm2ELj256ELj16ELj10EEvPKT_Pi,@function
_Z11rank_kernelIhLj4ELb0EL18RadixRankAlgorithm2ELj256ELj16ELj10EEvPKT_Pi: ; @_Z11rank_kernelIhLj4ELb0EL18RadixRankAlgorithm2ELj256ELj16ELj10EEvPKT_Pi
; %bb.0:
	s_load_dwordx4 s[8:11], s[4:5], 0x0
	s_load_dword s0, s[4:5], 0x1c
	s_lshl_b32 s4, s6, 12
	v_and_b32_e32 v28, 0x3ff, v0
	v_lshlrev_b32_e32 v2, 4, v28
	s_waitcnt lgkmcnt(0)
	s_add_u32 s2, s8, s4
	s_addc_u32 s3, s9, 0
	v_accvgpr_write_b32 a0, v2
	global_load_dwordx4 v[2:5], v2, s[2:3]
	v_mbcnt_lo_u32_b32 v1, -1, 0
	v_mbcnt_hi_u32_b32 v1, -1, v1
	s_mov_b64 s[6:7], s[10:11]
                                        ; implicit-def: $vgpr252 : SGPR spill to VGPR lane
	v_bfe_u32 v6, v0, 10, 10
	v_bfe_u32 v0, v0, 20, 10
	v_add_u32_e32 v9, -1, v1
	v_and_b32_e32 v10, 64, v1
	s_lshr_b32 s1, s0, 16
	v_writelane_b32 v252, s4, 0
	v_cmp_lt_i32_e32 vcc, v9, v10
	s_and_b32 s0, s0, 0xffff
	v_mad_u32_u24 v0, v0, s1, v6
	v_writelane_b32 v252, s5, 1
	v_lshrrev_b32_e32 v12, 4, v28
	v_cndmask_b32_e32 v9, v9, v1, vcc
	v_mad_u64_u32 v[14:15], s[0:1], v0, s0, v[28:29]
	v_writelane_b32 v252, s6, 2
	v_and_b32_e32 v10, 12, v12
	v_lshlrev_b32_e32 v9, 2, v9
	v_writelane_b32 v252, s7, 3
	s_mov_b32 s5, 0
	v_accvgpr_write_b32 a2, v9
	v_add_u32_e32 v9, -4, v10
	v_writelane_b32 v252, s4, 4
	v_mov_b32_e32 v8, 0
	v_accvgpr_write_b32 a3, v9
	v_writelane_b32 v252, s5, 5
	v_lshrrev_b32_e32 v21, 6, v14
	v_accvgpr_write_b32 a1, v10
	v_mov_b32_e32 v46, 30
	v_mov_b32_e32 v48, 29
	;; [unrolled: 1-line block ×3, first 2 shown]
                                        ; implicit-def: $vgpr253 : SGPR spill to VGPR lane
                                        ; implicit-def: $vgpr254 : SGPR spill to VGPR lane
                                        ; implicit-def: $vgpr255 : SGPR spill to VGPR lane
	v_or_b32_e32 v23, 63, v28
	v_lshlrev_b32_e32 v193, 2, v28
	v_cmp_gt_u32_e64 s[2:3], 4, v28
	v_cmp_lt_u32_e64 s[4:5], 63, v28
	v_and_b32_e32 v13, 15, v1
	v_and_b32_e32 v11, 16, v1
	;; [unrolled: 1-line block ×3, first 2 shown]
	v_cmp_lt_u32_e64 s[16:17], 31, v1
	v_cmp_eq_u32_e64 s[90:91], 0, v1
	v_cmp_eq_u32_e64 s[6:7], 0, v13
	v_cmp_lt_u32_e64 s[8:9], 1, v13
	v_cmp_lt_u32_e64 s[10:11], 3, v13
	v_cmp_lt_u32_e64 s[12:13], 7, v13
	v_cmp_eq_u32_e64 s[14:15], 0, v11
	v_cmp_eq_u32_e64 s[18:19], 0, v7
	v_cmp_lt_u32_e64 s[20:21], 1, v7
	s_mov_b32 s33, 10
	s_waitcnt vmcnt(0)
	v_and_b32_e32 v15, 1, v2
	v_add_co_u32_e32 v24, vcc, -1, v15
	v_lshlrev_b32_e32 v9, 30, v2
	v_accvgpr_write_b32 a4, v24
	v_addc_co_u32_e64 v24, s[0:1], 0, -1, vcc
	v_bfe_u32 v18, v2, 8, 1
	v_cmp_gt_i64_e64 s[0:1], 0, v[8:9]
	v_writelane_b32 v252, s0, 6
	v_add_co_u32_e32 v18, vcc, -1, v18
	v_and_b32_e32 v14, 15, v2
	v_bfe_u32 v20, v2, 16, 4
	v_bfe_u32 v22, v2, 16, 1
	v_writelane_b32 v252, s1, 7
	v_accvgpr_write_b32 a6, v18
	v_addc_co_u32_e64 v18, s[0:1], 0, -1, vcc
	v_bfe_u32 v16, v2, 8, 4
	v_mul_u32_u24_e32 v14, 5, v14
	v_accvgpr_write_b32 a7, v18
	v_mul_u32_u24_e32 v18, 5, v20
	v_add_co_u32_e32 v20, vcc, -1, v22
	v_accvgpr_write_b32 a5, v24
	v_not_b32_e32 v24, v9
	v_lshlrev_b32_e32 v9, 29, v2
	v_mul_u32_u24_e32 v16, 5, v16
	v_accvgpr_write_b32 a8, v20
	v_addc_co_u32_e64 v20, s[0:1], 0, -1, vcc
	v_add_lshl_u32 v14, v21, v14, 2
	v_accvgpr_write_b32 a9, v20
	v_ashrrev_i32_e32 v20, 31, v24
	v_cmp_gt_i64_e64 s[0:1], 0, v[8:9]
	v_accvgpr_write_b32 a11, v14
	v_add_lshl_u32 v14, v21, v16, 2
	v_accvgpr_write_b32 a10, v20
	v_writelane_b32 v252, s0, 8
	v_not_b32_e32 v20, v9
	v_lshlrev_b32_e32 v9, 28, v2
	v_accvgpr_write_b32 a12, v14
	v_add_lshl_u32 v14, v21, v18, 2
	v_lshrrev_b32_e32 v10, 8, v2
	v_writelane_b32 v252, s1, 9
	v_accvgpr_write_b32 a13, v14
	v_ashrrev_i32_e32 v14, 31, v20
	v_cmp_gt_i64_e64 s[0:1], 0, v[8:9]
	v_accvgpr_write_b32 a14, v14
	v_writelane_b32 v252, s0, 10
	v_not_b32_e32 v14, v9
	v_lshlrev_b32_e32 v9, 30, v10
	v_writelane_b32 v252, s1, 11
	v_ashrrev_i32_e32 v14, 31, v14
	v_cmp_gt_i64_e64 s[0:1], 0, v[8:9]
	v_accvgpr_write_b32 a16, v14
	v_writelane_b32 v252, s0, 12
	v_not_b32_e32 v14, v9
	v_lshlrev_b32_e32 v9, 29, v10
	v_writelane_b32 v252, s1, 13
	;; [unrolled: 7-line block ×3, first 2 shown]
	v_ashrrev_i32_e32 v10, 31, v14
	v_cmp_gt_i64_e64 s[0:1], 0, v[8:9]
	v_accvgpr_write_b32 a20, v10
	v_writelane_b32 v252, s0, 16
	v_not_b32_e32 v10, v9
	v_lshlrev_b32_sdwa v9, v46, v2 dst_sel:DWORD dst_unused:UNUSED_PAD src0_sel:DWORD src1_sel:WORD_1
	v_writelane_b32 v252, s1, 17
	v_ashrrev_i32_e32 v10, 31, v10
	v_cmp_gt_i64_e64 s[0:1], 0, v[8:9]
	v_accvgpr_write_b32 a22, v10
	v_writelane_b32 v252, s0, 18
	v_not_b32_e32 v10, v9
	v_lshlrev_b32_sdwa v9, v48, v2 dst_sel:DWORD dst_unused:UNUSED_PAD src0_sel:DWORD src1_sel:WORD_1
	v_writelane_b32 v252, s1, 19
	v_ashrrev_i32_e32 v10, 31, v10
	v_cmp_gt_i64_e64 s[0:1], 0, v[8:9]
	v_not_b32_e32 v9, v9
	v_accvgpr_write_b32 a24, v10
	v_writelane_b32 v252, s0, 20
	v_ashrrev_i32_e32 v10, 31, v9
	v_lshlrev_b32_sdwa v9, v54, v2 dst_sel:DWORD dst_unused:UNUSED_PAD src0_sel:DWORD src1_sel:WORD_1
	v_writelane_b32 v252, s1, 21
	v_cmp_gt_i64_e64 s[0:1], 0, v[8:9]
	v_not_b32_e32 v9, v9
	v_accvgpr_write_b32 a26, v10
	v_ashrrev_i32_e32 v10, 31, v9
	v_bfe_u32 v9, v2, 24, 4
	v_mul_u32_u24_e32 v9, 5, v9
	v_add_lshl_u32 v9, v21, v9, 2
	v_accvgpr_write_b32 a15, v9
	v_bfe_u32 v9, v2, 24, 1
	v_writelane_b32 v252, s0, 22
	v_add_co_u32_e32 v9, vcc, -1, v9
	v_writelane_b32 v252, s1, 23
	v_accvgpr_write_b32 a17, v9
	v_addc_co_u32_e64 v9, s[0:1], 0, -1, vcc
	v_accvgpr_write_b32 a19, v9
	v_lshlrev_b32_sdwa v9, v46, v2 dst_sel:DWORD dst_unused:UNUSED_PAD src0_sel:DWORD src1_sel:BYTE_3
	v_cmp_gt_i64_e64 s[0:1], 0, v[8:9]
	v_not_b32_e32 v9, v9
	v_accvgpr_write_b32 a28, v10
	v_writelane_b32 v252, s0, 24
	v_ashrrev_i32_e32 v10, 31, v9
	v_lshlrev_b32_sdwa v9, v48, v2 dst_sel:DWORD dst_unused:UNUSED_PAD src0_sel:DWORD src1_sel:BYTE_3
	v_writelane_b32 v252, s1, 25
	v_cmp_gt_i64_e64 s[0:1], 0, v[8:9]
	v_writelane_b32 v252, s0, 26
	v_not_b32_e32 v29, v9
	v_lshlrev_b32_sdwa v9, v54, v2 dst_sel:DWORD dst_unused:UNUSED_PAD src0_sel:DWORD src1_sel:BYTE_3
	v_writelane_b32 v252, s1, 27
	v_cmp_gt_i64_e64 s[0:1], 0, v[8:9]
	v_and_b32_e32 v27, 1, v3
	v_writelane_b32 v252, s0, 28
	v_not_b32_e32 v30, v9
	v_add_co_u32_e32 v9, vcc, -1, v27
	v_writelane_b32 v252, s1, 29
	v_accvgpr_write_b32 a21, v9
	v_addc_co_u32_e64 v9, s[0:1], 0, -1, vcc
	v_accvgpr_write_b32 a23, v9
	v_lshlrev_b32_e32 v9, 30, v3
	v_cmp_gt_i64_e64 s[0:1], 0, v[8:9]
	v_writelane_b32 v252, s0, 30
	v_not_b32_e32 v32, v9
	v_lshlrev_b32_e32 v9, 29, v3
	v_writelane_b32 v252, s1, 31
	v_cmp_gt_i64_e64 s[0:1], 0, v[8:9]
	v_writelane_b32 v252, s0, 32
	v_not_b32_e32 v34, v9
	v_lshlrev_b32_e32 v9, 28, v3
	v_writelane_b32 v252, s1, 33
	v_cmp_gt_i64_e64 s[0:1], 0, v[8:9]
	v_not_b32_e32 v36, v9
	v_bfe_u32 v9, v3, 8, 1
	v_writelane_b32 v252, s0, 34
	v_add_co_u32_e32 v9, vcc, -1, v9
	v_lshrrev_b32_e32 v12, 8, v3
	v_writelane_b32 v252, s1, 35
	v_accvgpr_write_b32 a25, v9
	v_addc_co_u32_e64 v9, s[0:1], 0, -1, vcc
	v_accvgpr_write_b32 a27, v9
	v_lshlrev_b32_e32 v9, 30, v12
	v_cmp_gt_i64_e64 s[0:1], 0, v[8:9]
	v_writelane_b32 v252, s0, 36
	v_not_b32_e32 v40, v9
	v_lshlrev_b32_e32 v9, 29, v12
	v_writelane_b32 v252, s1, 37
	v_cmp_gt_i64_e64 s[0:1], 0, v[8:9]
	v_writelane_b32 v252, s0, 38
	v_not_b32_e32 v35, v9
	v_lshlrev_b32_e32 v9, 28, v12
	v_writelane_b32 v252, s1, 39
	v_cmp_gt_i64_e64 s[0:1], 0, v[8:9]
	v_not_b32_e32 v39, v9
	v_bfe_u32 v9, v3, 16, 1
	v_writelane_b32 v252, s0, 40
	v_add_co_u32_e32 v9, vcc, -1, v9
	v_writelane_b32 v252, s1, 41
	v_accvgpr_write_b32 a29, v9
	v_addc_co_u32_e64 v9, s[0:1], 0, -1, vcc
	v_accvgpr_write_b32 a31, v9
	v_lshlrev_b32_sdwa v9, v46, v3 dst_sel:DWORD dst_unused:UNUSED_PAD src0_sel:DWORD src1_sel:WORD_1
	v_cmp_gt_i64_e64 s[0:1], 0, v[8:9]
	v_writelane_b32 v252, s0, 42
	v_not_b32_e32 v41, v9
	v_lshlrev_b32_sdwa v9, v48, v3 dst_sel:DWORD dst_unused:UNUSED_PAD src0_sel:DWORD src1_sel:WORD_1
	v_writelane_b32 v252, s1, 43
	v_cmp_gt_i64_e64 s[0:1], 0, v[8:9]
	v_writelane_b32 v252, s0, 44
	v_not_b32_e32 v43, v9
	v_lshlrev_b32_sdwa v9, v54, v3 dst_sel:DWORD dst_unused:UNUSED_PAD src0_sel:DWORD src1_sel:WORD_1
	v_writelane_b32 v252, s1, 45
	v_cmp_gt_i64_e64 s[0:1], 0, v[8:9]
	v_not_b32_e32 v47, v9
	v_bfe_u32 v9, v3, 24, 1
	v_writelane_b32 v252, s0, 46
	v_add_co_u32_e32 v218, vcc, -1, v9
	v_writelane_b32 v252, s1, 47
	v_addc_co_u32_e64 v219, s[0:1], 0, -1, vcc
	v_lshlrev_b32_sdwa v9, v46, v3 dst_sel:DWORD dst_unused:UNUSED_PAD src0_sel:DWORD src1_sel:BYTE_3
	v_cmp_gt_i64_e64 s[0:1], 0, v[8:9]
	v_writelane_b32 v252, s0, 48
	v_not_b32_e32 v49, v9
	v_lshlrev_b32_sdwa v9, v48, v3 dst_sel:DWORD dst_unused:UNUSED_PAD src0_sel:DWORD src1_sel:BYTE_3
	v_writelane_b32 v252, s1, 49
	v_cmp_gt_i64_e64 s[0:1], 0, v[8:9]
	v_writelane_b32 v252, s0, 50
	v_not_b32_e32 v51, v9
	v_lshlrev_b32_sdwa v9, v54, v3 dst_sel:DWORD dst_unused:UNUSED_PAD src0_sel:DWORD src1_sel:BYTE_3
	v_writelane_b32 v252, s1, 51
	v_cmp_gt_i64_e64 s[0:1], 0, v[8:9]
	v_and_b32_e32 v53, 1, v4
	v_writelane_b32 v252, s0, 52
	v_add_co_u32_e32 v220, vcc, -1, v53
	v_writelane_b32 v252, s1, 53
	v_not_b32_e32 v55, v9
	v_addc_co_u32_e64 v221, s[0:1], 0, -1, vcc
	v_lshlrev_b32_e32 v9, 30, v4
	v_cmp_gt_i64_e64 s[0:1], 0, v[8:9]
	v_writelane_b32 v252, s0, 54
	v_not_b32_e32 v57, v9
	v_lshlrev_b32_e32 v9, 29, v4
	v_writelane_b32 v252, s1, 55
	v_cmp_gt_i64_e64 s[0:1], 0, v[8:9]
	v_writelane_b32 v252, s0, 56
	v_not_b32_e32 v59, v9
	v_lshlrev_b32_e32 v9, 28, v4
	v_writelane_b32 v252, s1, 57
	v_cmp_gt_i64_e64 s[0:1], 0, v[8:9]
	v_not_b32_e32 v61, v9
	v_bfe_u32 v9, v4, 8, 1
	v_lshrrev_b32_e32 v6, 8, v4
	v_writelane_b32 v252, s0, 58
	v_add_co_u32_e32 v222, vcc, -1, v9
	v_writelane_b32 v252, s1, 59
	v_addc_co_u32_e64 v223, s[0:1], 0, -1, vcc
	v_lshlrev_b32_e32 v9, 30, v6
	v_cmp_gt_i64_e64 s[0:1], 0, v[8:9]
	v_writelane_b32 v252, s0, 60
	v_not_b32_e32 v167, v9
	v_lshlrev_b32_e32 v9, 29, v6
	v_writelane_b32 v252, s1, 61
	v_cmp_gt_i64_e64 s[0:1], 0, v[8:9]
	v_writelane_b32 v252, s0, 62
	v_not_b32_e32 v65, v9
	v_lshlrev_b32_e32 v9, 28, v6
	v_writelane_b32 v252, s1, 63
	v_cmp_gt_i64_e64 s[0:1], 0, v[8:9]
	v_bfe_u32 v6, v4, 16, 1
	v_writelane_b32 v253, s0, 0
	v_add_co_u32_e32 v224, vcc, -1, v6
	v_writelane_b32 v253, s1, 1
	v_not_b32_e32 v168, v9
	v_addc_co_u32_e64 v225, s[0:1], 0, -1, vcc
	v_lshlrev_b32_sdwa v9, v46, v4 dst_sel:DWORD dst_unused:UNUSED_PAD src0_sel:DWORD src1_sel:WORD_1
	v_cmp_gt_i64_e64 s[0:1], 0, v[8:9]
	v_writelane_b32 v253, s0, 2
	v_not_b32_e32 v169, v9
	v_lshlrev_b32_sdwa v9, v48, v4 dst_sel:DWORD dst_unused:UNUSED_PAD src0_sel:DWORD src1_sel:WORD_1
	v_writelane_b32 v253, s1, 3
	v_cmp_gt_i64_e64 s[0:1], 0, v[8:9]
	v_writelane_b32 v253, s0, 4
	v_not_b32_e32 v64, v9
	v_lshlrev_b32_sdwa v9, v54, v4 dst_sel:DWORD dst_unused:UNUSED_PAD src0_sel:DWORD src1_sel:WORD_1
	v_writelane_b32 v253, s1, 5
	v_cmp_gt_i64_e64 s[0:1], 0, v[8:9]
	v_bfe_u32 v6, v4, 24, 1
	v_writelane_b32 v253, s0, 6
	v_add_co_u32_e32 v226, vcc, -1, v6
	v_writelane_b32 v253, s1, 7
	v_not_b32_e32 v170, v9
	v_addc_co_u32_e64 v227, s[0:1], 0, -1, vcc
	v_lshlrev_b32_sdwa v9, v46, v4 dst_sel:DWORD dst_unused:UNUSED_PAD src0_sel:DWORD src1_sel:BYTE_3
	v_cmp_gt_i64_e64 s[0:1], 0, v[8:9]
	v_writelane_b32 v253, s0, 8
	v_not_b32_e32 v71, v9
	v_lshlrev_b32_sdwa v9, v48, v4 dst_sel:DWORD dst_unused:UNUSED_PAD src0_sel:DWORD src1_sel:BYTE_3
	v_writelane_b32 v253, s1, 9
	v_cmp_gt_i64_e64 s[0:1], 0, v[8:9]
	v_writelane_b32 v253, s0, 10
	v_not_b32_e32 v73, v9
	v_lshlrev_b32_sdwa v9, v54, v4 dst_sel:DWORD dst_unused:UNUSED_PAD src0_sel:DWORD src1_sel:BYTE_3
	v_writelane_b32 v253, s1, 11
	v_cmp_gt_i64_e64 s[0:1], 0, v[8:9]
	v_and_b32_e32 v75, 1, v5
	v_writelane_b32 v253, s0, 12
	v_add_co_u32_e32 v228, vcc, -1, v75
	v_writelane_b32 v253, s1, 13
	v_not_b32_e32 v171, v9
	v_addc_co_u32_e64 v229, s[0:1], 0, -1, vcc
	v_lshlrev_b32_e32 v9, 30, v5
	v_cmp_gt_i64_e64 s[0:1], 0, v[8:9]
	v_writelane_b32 v253, s0, 14
	v_not_b32_e32 v174, v9
	v_lshlrev_b32_e32 v9, 29, v5
	v_writelane_b32 v253, s1, 15
	v_cmp_gt_i64_e64 s[0:1], 0, v[8:9]
	v_writelane_b32 v253, s0, 16
	v_not_b32_e32 v67, v9
	v_lshlrev_b32_e32 v9, 28, v5
	v_writelane_b32 v253, s1, 17
	v_cmp_gt_i64_e64 s[0:1], 0, v[8:9]
	v_bfe_u32 v6, v5, 8, 1
	v_lshrrev_b32_e32 v0, 8, v5
	v_writelane_b32 v253, s0, 18
	v_add_co_u32_e32 v230, vcc, -1, v6
	v_writelane_b32 v253, s1, 19
	v_not_b32_e32 v69, v9
	v_addc_co_u32_e64 v231, s[0:1], 0, -1, vcc
	v_lshlrev_b32_e32 v9, 30, v0
	v_cmp_gt_i64_e64 s[0:1], 0, v[8:9]
	v_writelane_b32 v253, s0, 20
	v_not_b32_e32 v77, v9
	v_lshlrev_b32_e32 v9, 29, v0
	v_writelane_b32 v253, s1, 21
	v_cmp_gt_i64_e64 s[0:1], 0, v[8:9]
	v_not_b32_e32 v79, v9
	v_lshlrev_b32_e32 v9, 28, v0
	v_bfe_u32 v0, v5, 16, 1
	v_writelane_b32 v253, s0, 22
	v_add_co_u32_e32 v232, vcc, -1, v0
	v_bfe_u32 v0, v5, 24, 1
	v_writelane_b32 v253, s1, 23
	v_addc_co_u32_e64 v233, s[0:1], 0, -1, vcc
	v_add_co_u32_e32 v234, vcc, -1, v0
	v_bfe_u32 v0, v2, 4, 1
	v_addc_co_u32_e64 v235, s[0:1], 0, -1, vcc
	v_add_co_u32_e32 v236, vcc, -1, v0
	v_bfe_u32 v0, v2, 12, 1
	;; [unrolled: 3-line block ×12, first 2 shown]
	v_accvgpr_write_b32 a30, v10
	v_addc_co_u32_e64 v10, s[0:1], 0, -1, vcc
	v_add_co_u32_e32 v12, vcc, -1, v12
	v_bfe_u32 v16, v5, 4, 1
	v_addc_co_u32_e64 v14, s[0:1], 0, -1, vcc
	v_add_co_u32_e32 v16, vcc, -1, v16
	v_bfe_u32 v20, v5, 12, 1
	v_addc_co_u32_e64 v18, s[0:1], 0, -1, vcc
	v_add_co_u32_e32 v20, vcc, -1, v20
	v_bfe_u32 v24, v5, 20, 1
	v_addc_co_u32_e64 v22, s[0:1], 0, -1, vcc
	v_add_co_u32_e32 v24, vcc, -1, v24
	v_bfe_u32 v80, v5, 28, 1
	v_addc_co_u32_e64 v26, s[0:1], 0, -1, vcc
	v_add_co_u32_e32 v207, vcc, -1, v80
	v_addc_co_u32_e64 v208, s[0:1], 0, -1, vcc
	v_cmp_gt_i64_e64 s[0:1], 0, v[8:9]
	v_writelane_b32 v253, s0, 24
	v_not_b32_e32 v175, v9
	v_lshlrev_b32_sdwa v9, v46, v5 dst_sel:DWORD dst_unused:UNUSED_PAD src0_sel:DWORD src1_sel:WORD_1
	v_writelane_b32 v253, s1, 25
	v_cmp_gt_i64_e64 s[0:1], 0, v[8:9]
	v_not_b32_e32 v176, v9
	v_writelane_b32 v253, s0, 26
	v_lshlrev_b32_sdwa v9, v48, v5 dst_sel:DWORD dst_unused:UNUSED_PAD src0_sel:DWORD src1_sel:WORD_1
	v_writelane_b32 v253, s1, 27
	v_cmp_gt_i64_e64 s[0:1], 0, v[8:9]
	v_not_b32_e32 v177, v9
	v_writelane_b32 v253, s0, 28
	v_lshlrev_b32_sdwa v9, v54, v5 dst_sel:DWORD dst_unused:UNUSED_PAD src0_sel:DWORD src1_sel:WORD_1
	v_writelane_b32 v253, s1, 29
	v_cmp_gt_i64_e64 s[0:1], 0, v[8:9]
	v_not_b32_e32 v178, v9
	v_writelane_b32 v253, s0, 30
	v_lshlrev_b32_sdwa v9, v46, v5 dst_sel:DWORD dst_unused:UNUSED_PAD src0_sel:DWORD src1_sel:BYTE_3
	v_writelane_b32 v253, s1, 31
	v_cmp_gt_i64_e64 s[0:1], 0, v[8:9]
	v_not_b32_e32 v179, v9
	v_writelane_b32 v253, s0, 32
	v_lshlrev_b32_sdwa v9, v48, v5 dst_sel:DWORD dst_unused:UNUSED_PAD src0_sel:DWORD src1_sel:BYTE_3
	v_writelane_b32 v253, s1, 33
	v_cmp_gt_i64_e64 s[0:1], 0, v[8:9]
	v_not_b32_e32 v181, v9
	v_writelane_b32 v253, s0, 34
	v_lshlrev_b32_sdwa v9, v54, v5 dst_sel:DWORD dst_unused:UNUSED_PAD src0_sel:DWORD src1_sel:BYTE_3
	v_writelane_b32 v253, s1, 35
	v_lshrrev_b32_e32 v48, 4, v2
	v_cmp_gt_i64_e64 s[0:1], 0, v[8:9]
	v_not_b32_e32 v182, v9
	v_writelane_b32 v253, s0, 36
	v_lshlrev_b32_e32 v9, 30, v48
	v_writelane_b32 v253, s1, 37
	v_cmp_gt_i64_e64 s[0:1], 0, v[8:9]
	v_not_b32_e32 v183, v9
	v_writelane_b32 v253, s0, 38
	v_lshlrev_b32_e32 v9, 29, v48
	v_writelane_b32 v253, s1, 39
	v_cmp_gt_i64_e64 s[0:1], 0, v[8:9]
	v_not_b32_e32 v185, v9
	v_writelane_b32 v253, s0, 40
	v_lshlrev_b32_e32 v9, 28, v48
	v_writelane_b32 v253, s1, 41
	v_lshrrev_b32_e32 v54, 12, v2
	v_cmp_gt_i64_e64 s[0:1], 0, v[8:9]
	v_not_b32_e32 v186, v9
	v_writelane_b32 v253, s0, 42
	v_lshlrev_b32_e32 v9, 30, v54
	v_writelane_b32 v253, s1, 43
	v_cmp_gt_i64_e64 s[0:1], 0, v[8:9]
	v_not_b32_e32 v187, v9
	v_writelane_b32 v253, s0, 44
	v_lshlrev_b32_e32 v9, 29, v54
	v_writelane_b32 v253, s1, 45
	v_cmp_gt_i64_e64 s[0:1], 0, v[8:9]
	v_not_b32_e32 v188, v9
	v_writelane_b32 v253, s0, 46
	v_lshlrev_b32_e32 v9, 28, v54
	;; [unrolled: 16-line block ×3, first 2 shown]
	v_writelane_b32 v253, s1, 53
	v_lshrrev_b32_e32 v128, 28, v2
	v_cmp_gt_i64_e64 s[0:1], 0, v[8:9]
	v_not_b32_e32 v87, v9
	v_writelane_b32 v253, s0, 54
	v_lshlrev_b32_e32 v9, 30, v128
	v_writelane_b32 v253, s1, 55
	v_cmp_gt_i64_e64 s[0:1], 0, v[8:9]
	v_not_b32_e32 v89, v9
	v_writelane_b32 v253, s0, 56
	v_lshlrev_b32_e32 v9, 29, v128
	v_writelane_b32 v253, s1, 57
	v_cmp_gt_i64_e64 s[0:1], 0, v[8:9]
	v_not_b32_e32 v91, v9
	v_writelane_b32 v253, s0, 58
	v_and_b32_e32 v9, 0xf0000000, v2
	v_and_b32_e32 v17, 0x100, v2
	;; [unrolled: 1-line block ×4, first 2 shown]
	v_bfe_u32 v46, v2, 4, 4
	v_and_b32_e32 v189, 16, v2
	v_bfe_u32 v48, v2, 12, 4
	v_and_b32_e32 v110, 0x1000, v2
	;; [unrolled: 2-line block ×3, first 2 shown]
	v_and_b32_e32 v114, 0x10000000, v2
	v_writelane_b32 v253, s1, 59
	v_lshrrev_b32_e32 v2, 4, v3
	v_cmp_gt_i64_e64 s[0:1], 0, v[8:9]
	v_not_b32_e32 v93, v9
	v_writelane_b32 v253, s0, 60
	v_lshlrev_b32_e32 v9, 30, v2
	v_writelane_b32 v253, s1, 61
	v_cmp_gt_i64_e64 s[0:1], 0, v[8:9]
	v_not_b32_e32 v95, v9
	v_writelane_b32 v253, s0, 62
	v_lshlrev_b32_e32 v9, 29, v2
	v_writelane_b32 v253, s1, 63
	v_cmp_gt_i64_e64 s[0:1], 0, v[8:9]
	v_not_b32_e32 v97, v9
	v_writelane_b32 v254, s0, 0
	v_lshlrev_b32_e32 v9, 28, v2
	v_writelane_b32 v254, s1, 1
	v_lshrrev_b32_e32 v2, 12, v3
	v_cmp_gt_i64_e64 s[0:1], 0, v[8:9]
	v_not_b32_e32 v99, v9
	v_writelane_b32 v254, s0, 2
	v_lshlrev_b32_e32 v9, 30, v2
	v_writelane_b32 v254, s1, 3
	v_cmp_gt_i64_e64 s[0:1], 0, v[8:9]
	v_not_b32_e32 v101, v9
	v_writelane_b32 v254, s0, 4
	v_lshlrev_b32_e32 v9, 29, v2
	v_writelane_b32 v254, s1, 5
	v_cmp_gt_i64_e64 s[0:1], 0, v[8:9]
	v_not_b32_e32 v103, v9
	v_writelane_b32 v254, s0, 6
	v_lshlrev_b32_e32 v9, 28, v2
	;; [unrolled: 16-line block ×3, first 2 shown]
	v_writelane_b32 v254, s1, 13
	v_lshrrev_b32_e32 v138, 28, v3
	v_cmp_gt_i64_e64 s[0:1], 0, v[8:9]
	v_not_b32_e32 v115, v9
	v_writelane_b32 v254, s0, 14
	v_lshlrev_b32_e32 v9, 30, v138
	v_writelane_b32 v254, s1, 15
	v_cmp_gt_i64_e64 s[0:1], 0, v[8:9]
	v_not_b32_e32 v117, v9
	v_writelane_b32 v254, s0, 16
	v_lshlrev_b32_e32 v9, 29, v138
	v_writelane_b32 v254, s1, 17
	v_cmp_gt_i64_e64 s[0:1], 0, v[8:9]
	v_not_b32_e32 v119, v9
	v_writelane_b32 v254, s0, 18
	v_and_b32_e32 v9, 0xf0000000, v3
	v_writelane_b32 v254, s1, 19
	v_lshrrev_b32_e32 v2, 4, v4
	v_cmp_gt_i64_e64 s[0:1], 0, v[8:9]
	v_and_b32_e32 v31, 15, v3
	v_bfe_u32 v38, v3, 8, 4
	v_and_b32_e32 v33, 0x100, v3
	v_bfe_u32 v42, v3, 16, 4
	;; [unrolled: 2-line block ×6, first 2 shown]
	v_and_b32_e32 v124, 0x100000, v3
	v_and_b32_e32 v126, 0x10000000, v3
	v_not_b32_e32 v3, v9
	v_writelane_b32 v254, s0, 20
	v_lshlrev_b32_e32 v9, 30, v2
	v_writelane_b32 v254, s1, 21
	v_cmp_gt_i64_e64 s[0:1], 0, v[8:9]
	v_not_b32_e32 v121, v9
	v_writelane_b32 v254, s0, 22
	v_lshlrev_b32_e32 v9, 29, v2
	v_writelane_b32 v254, s1, 23
	v_cmp_gt_i64_e64 s[0:1], 0, v[8:9]
	v_not_b32_e32 v123, v9
	v_writelane_b32 v254, s0, 24
	v_lshlrev_b32_e32 v9, 28, v2
	v_writelane_b32 v254, s1, 25
	v_lshrrev_b32_e32 v2, 12, v4
	v_cmp_gt_i64_e64 s[0:1], 0, v[8:9]
	v_not_b32_e32 v125, v9
	v_writelane_b32 v254, s0, 26
	v_lshlrev_b32_e32 v9, 30, v2
	v_writelane_b32 v254, s1, 27
	v_cmp_gt_i64_e64 s[0:1], 0, v[8:9]
	v_not_b32_e32 v127, v9
	v_writelane_b32 v254, s0, 28
	v_lshlrev_b32_e32 v9, 29, v2
	v_writelane_b32 v254, s1, 29
	v_cmp_gt_i64_e64 s[0:1], 0, v[8:9]
	v_not_b32_e32 v129, v9
	v_writelane_b32 v254, s0, 30
	v_lshlrev_b32_e32 v9, 28, v2
	v_writelane_b32 v254, s1, 31
	v_lshrrev_b32_e32 v2, 20, v4
	v_cmp_gt_i64_e64 s[0:1], 0, v[8:9]
	;; [unrolled: 16-line block ×3, first 2 shown]
	v_not_b32_e32 v137, v9
	v_writelane_b32 v254, s0, 38
	v_lshlrev_b32_e32 v9, 30, v150
	v_writelane_b32 v254, s1, 39
	v_cmp_gt_i64_e64 s[0:1], 0, v[8:9]
	v_not_b32_e32 v139, v9
	v_writelane_b32 v254, s0, 40
	v_lshlrev_b32_e32 v9, 29, v150
	v_writelane_b32 v254, s1, 41
	v_cmp_gt_i64_e64 s[0:1], 0, v[8:9]
	v_not_b32_e32 v141, v9
	v_writelane_b32 v254, s0, 42
	v_and_b32_e32 v9, 0xf0000000, v4
	v_writelane_b32 v254, s1, 43
	v_lshrrev_b32_e32 v2, 4, v5
	v_cmp_gt_i64_e64 s[0:1], 0, v[8:9]
	v_not_b32_e32 v143, v9
	v_writelane_b32 v254, s0, 44
	v_lshlrev_b32_e32 v9, 30, v2
	v_writelane_b32 v254, s1, 45
	v_cmp_gt_i64_e64 s[0:1], 0, v[8:9]
	v_not_b32_e32 v145, v9
	v_writelane_b32 v254, s0, 46
	v_lshlrev_b32_e32 v9, 29, v2
	v_writelane_b32 v254, s1, 47
	v_cmp_gt_i64_e64 s[0:1], 0, v[8:9]
	v_not_b32_e32 v147, v9
	v_writelane_b32 v254, s0, 48
	v_lshlrev_b32_e32 v9, 28, v2
	v_writelane_b32 v254, s1, 49
	v_lshrrev_b32_e32 v2, 12, v5
	v_cmp_gt_i64_e64 s[0:1], 0, v[8:9]
	v_not_b32_e32 v149, v9
	v_writelane_b32 v254, s0, 50
	v_lshlrev_b32_e32 v9, 30, v2
	v_writelane_b32 v254, s1, 51
	v_cmp_gt_i64_e64 s[0:1], 0, v[8:9]
	v_not_b32_e32 v151, v9
	v_writelane_b32 v254, s0, 52
	v_lshlrev_b32_e32 v9, 29, v2
	v_writelane_b32 v254, s1, 53
	v_cmp_gt_i64_e64 s[0:1], 0, v[8:9]
	v_not_b32_e32 v153, v9
	v_writelane_b32 v254, s0, 54
	v_lshlrev_b32_e32 v9, 28, v2
	;; [unrolled: 16-line block ×3, first 2 shown]
	v_writelane_b32 v254, s1, 61
	v_lshrrev_b32_e32 v166, 28, v5
	v_cmp_gt_i64_e64 s[0:1], 0, v[8:9]
	v_not_b32_e32 v161, v9
	v_writelane_b32 v254, s0, 62
	v_lshlrev_b32_e32 v9, 30, v166
	v_writelane_b32 v254, s1, 63
	v_cmp_gt_i64_e64 s[0:1], 0, v[8:9]
	v_and_b32_e32 v50, 15, v4
	v_writelane_b32 v255, s0, 0
	v_ashrrev_i32_e32 v2, 31, v29
	v_bfe_u32 v52, v4, 8, 4
	v_writelane_b32 v255, s1, 1
	v_accvgpr_write_b32 a32, v2
	v_ashrrev_i32_e32 v2, 31, v30
	v_cmp_eq_u32_e64 s[0:1], v23, v28
	v_mul_u32_u24_e32 v23, 5, v50
	v_bfe_u32 v56, v4, 16, 4
	v_accvgpr_write_b32 a34, v2
	v_mul_u32_u24_e32 v2, 5, v31
	v_add_lshl_u32 v30, v21, v23, 2
	v_mul_u32_u24_e32 v23, 5, v52
	v_bfe_u32 v58, v4, 24, 4
	v_add_lshl_u32 v209, v21, v2, 2
	v_ashrrev_i32_e32 v2, 31, v32
	v_add_lshl_u32 v32, v21, v23, 2
	v_mul_u32_u24_e32 v23, 5, v56
	v_and_b32_e32 v60, 15, v5
	v_accvgpr_write_b32 a36, v2
	v_ashrrev_i32_e32 v2, 31, v34
	v_add_lshl_u32 v34, v21, v23, 2
	v_mul_u32_u24_e32 v23, 5, v58
	v_bfe_u32 v173, v5, 8, 4
	v_add_lshl_u32 v201, v21, v23, 2
	v_mul_u32_u24_e32 v23, 5, v60
	v_bfe_u32 v116, v5, 16, 4
	;; [unrolled: 3-line block ×3, first 2 shown]
	v_add_lshl_u32 v204, v21, v23, 2
	v_mul_u32_u24_e32 v23, 5, v116
	v_accvgpr_write_b32 a38, v2
	v_ashrrev_i32_e32 v2, 31, v36
	v_add_lshl_u32 v36, v21, v23, 2
	v_mul_u32_u24_e32 v23, 5, v118
	v_accvgpr_write_b32 a40, v2
	v_mul_u32_u24_e32 v2, 5, v38
	v_add_lshl_u32 v38, v21, v23, 2
	v_mul_u32_u24_e32 v23, 5, v46
	v_add_lshl_u32 v23, v21, v23, 2
	v_accvgpr_write_b32 a33, v23
	v_mul_u32_u24_e32 v23, 5, v48
	v_add_lshl_u32 v28, v21, v23, 2
	v_mul_u32_u24_e32 v23, 5, v54
	v_add_lshl_u32 v200, v21, v23, 2
	;; [unrolled: 2-line block ×5, first 2 shown]
	v_ashrrev_i32_e32 v2, 31, v40
	v_add_lshl_u32 v40, v21, v23, 2
	v_mul_u32_u24_e32 v23, 5, v136
	v_ashrrev_i32_e32 v66, 31, v35
	v_bfe_u32 v140, v4, 4, 4
	v_accvgpr_write_b32 a42, v2
	v_mul_u32_u24_e32 v2, 5, v42
	v_add_lshl_u32 v42, v21, v23, 2
	v_mul_u32_u24_e32 v23, 5, v138
	v_accvgpr_write_b32 a44, v66
	v_ashrrev_i32_e32 v66, 31, v39
	v_and_b32_e32 v63, 0x100, v4
	v_and_b32_e32 v62, 0x10000, v4
	;; [unrolled: 1-line block ×4, first 2 shown]
	v_bfe_u32 v142, v4, 12, 4
	v_and_b32_e32 v144, 0x1000, v4
	v_bfe_u32 v146, v4, 20, 4
	v_and_b32_e32 v148, 0x100000, v4
	v_and_b32_e32 v152, 0x10000000, v4
	v_mul_u32_u24_e32 v4, 5, v44
	v_add_lshl_u32 v44, v21, v23, 2
	v_mul_u32_u24_e32 v23, 5, v140
	v_accvgpr_write_b32 a46, v66
	v_ashrrev_i32_e32 v66, 31, v41
	v_add_lshl_u32 v46, v21, v23, 2
	v_mul_u32_u24_e32 v23, 5, v142
	v_accvgpr_write_b32 a48, v66
	v_ashrrev_i32_e32 v66, 31, v43
	;; [unrolled: 4-line block ×3, first 2 shown]
	v_bfe_u32 v154, v5, 4, 4
	v_add_lshl_u32 v50, v21, v23, 2
	v_mul_u32_u24_e32 v23, 5, v150
	v_accvgpr_write_b32 a52, v66
	v_ashrrev_i32_e32 v66, 31, v49
	v_bfe_u32 v158, v5, 12, 4
	v_not_b32_e32 v163, v9
	v_lshlrev_b32_e32 v9, 29, v166
	v_add_lshl_u32 v52, v21, v23, 2
	v_mul_u32_u24_e32 v23, 5, v154
	v_accvgpr_write_b32 a54, v66
	v_ashrrev_i32_e32 v66, 31, v51
	v_bfe_u32 v162, v5, 20, 4
	v_not_b32_e32 v165, v9
	v_cmp_gt_i64_e64 s[94:95], 0, v[8:9]
	v_and_b32_e32 v9, 0xf0000000, v5
	v_add_lshl_u32 v54, v21, v23, 2
	v_mul_u32_u24_e32 v23, 5, v158
	v_accvgpr_write_b32 a56, v66
	v_ashrrev_i32_e32 v66, 31, v55
	v_and_b32_e32 v172, 0x100, v5
	v_and_b32_e32 v180, 0x10000, v5
	;; [unrolled: 1-line block ×6, first 2 shown]
	v_add_lshl_u32 v56, v21, v23, 2
	v_mul_u32_u24_e32 v23, 5, v162
	v_accvgpr_write_b32 a58, v66
	v_ashrrev_i32_e32 v66, 31, v57
	v_not_b32_e32 v1, v9
	v_and_b32_e32 v5, 0x10000000, v5
	v_add_lshl_u32 v58, v21, v23, 2
	v_mul_u32_u24_e32 v23, 5, v166
	v_accvgpr_write_b32 a60, v66
	v_ashrrev_i32_e32 v216, 31, v59
	v_ashrrev_i32_e32 v214, 31, v61
	;; [unrolled: 1-line block ×6, first 2 shown]
	v_cmp_ne_u32_e64 s[44:45], 0, v62
	v_ashrrev_i32_e32 v62, 31, v64
	v_ashrrev_i32_e32 v64, 31, v170
	v_ashrrev_i32_e32 v66, 31, v71
	v_cmp_ne_u32_e64 s[50:51], 0, v172
	v_ashrrev_i32_e32 v68, 31, v73
	v_cmp_ne_u32_e64 s[52:53], 0, v180
	v_ashrrev_i32_e32 v106, 31, v171
	;; [unrolled: 2-line block ×3, first 2 shown]
	v_ashrrev_i32_e32 v74, 31, v67
	v_cmp_ne_u32_e64 s[58:59], 0, v110
	v_ashrrev_i32_e32 v76, 31, v69
	v_cmp_ne_u32_e64 s[60:61], 0, v112
	;; [unrolled: 2-line block ×14, first 2 shown]
	v_ashrrev_i32_e32 v102, 31, v187
	v_ashrrev_i32_e32 v104, 31, v188
	;; [unrolled: 1-line block ×45, first 2 shown]
	v_add_lshl_u32 v2, v21, v2, 2
	v_add_lshl_u32 v4, v21, v4, 2
	;; [unrolled: 1-line block ×3, first 2 shown]
	v_cmp_eq_u32_e64 s[22:23], 1, v15
	v_cmp_ne_u32_e64 s[24:25], 0, v17
	v_cmp_ne_u32_e64 s[26:27], 0, v19
	;; [unrolled: 1-line block ×3, first 2 shown]
	v_cmp_eq_u32_e64 s[30:31], 1, v27
	v_cmp_ne_u32_e64 s[34:35], 0, v33
	v_cmp_ne_u32_e64 s[36:37], 0, v37
	;; [unrolled: 1-line block ×3, first 2 shown]
	v_cmp_eq_u32_e64 s[40:41], 1, v53
	v_cmp_ne_u32_e64 s[42:43], 0, v63
	v_cmp_ne_u32_e64 s[46:47], 0, v70
	v_cmp_eq_u32_e64 s[48:49], 1, v75
	v_cmp_ne_u32_e64 s[56:57], 0, v189
	v_cmp_ne_u32_e64 s[86:87], 0, v5
	v_cmp_gt_i64_e64 s[88:89], 0, v[8:9]
	v_accvgpr_read_b32 v1, a10
	v_accvgpr_read_b32 v3, a14
	;; [unrolled: 1-line block ×25, first 2 shown]
	v_accvgpr_write_b32 a62, v216
	v_mov_b32_e32 v51, v216
	v_accvgpr_write_b32 a64, v214
	v_mov_b32_e32 v53, v214
	;; [unrolled: 2-line block ×28, first 2 shown]
	v_mov_b32_e32 v107, v110
	v_mov_b32_e32 v109, v112
	;; [unrolled: 1-line block ×43, first 2 shown]
	v_accvgpr_read_b32 v70, a60
	s_branch .LBB71_2
.LBB71_1:                               ;   in Loop: Header=BB71_2 Depth=1
	s_or_b64 exec, exec, s[92:93]
	s_waitcnt lgkmcnt(0)
	v_add_u32_e32 v196, v197, v196
	v_accvgpr_read_b32 v217, a2
	ds_bpermute_b32 v196, v217, v196
	s_add_i32 s33, s33, -1
	s_cmp_eq_u32 s33, 0
	s_waitcnt lgkmcnt(0)
	v_cndmask_b32_e64 v196, v196, v197, s[90:91]
	ds_write_b32 v193, v196 offset:16
	s_waitcnt lgkmcnt(0)
	s_barrier
	s_cbranch_scc1 .LBB71_78
.LBB71_2:                               ; =>This Inner Loop Header: Depth=1
	v_readlane_b32 s92, v252, 6
	v_cndmask_b32_e64 v62, 0, 1, s[22:23]
	v_readlane_b32 s93, v252, 7
	v_cmp_ne_u32_e32 vcc, 0, v62
	v_accvgpr_read_b32 v62, a5
	v_accvgpr_read_b32 v64, a4
	v_cndmask_b32_e64 v66, 0, 1, s[92:93]
	v_xor_b32_e32 v62, vcc_hi, v62
	v_xor_b32_e32 v64, vcc_lo, v64
	v_cmp_ne_u32_e32 vcc, 0, v66
	v_readlane_b32 s92, v252, 8
	v_and_b32_e32 v62, exec_hi, v62
	v_xor_b32_e32 v66, vcc_hi, v1
	v_readlane_b32 s93, v252, 9
	v_accvgpr_read_b32 v68, a10
	v_and_b32_e32 v62, v62, v66
	v_cndmask_b32_e64 v66, 0, 1, s[92:93]
	v_and_b32_e32 v64, exec_lo, v64
	v_xor_b32_e32 v68, vcc_lo, v68
	v_cmp_ne_u32_e32 vcc, 0, v66
	v_readlane_b32 s92, v252, 10
	v_and_b32_e32 v64, v64, v68
	v_xor_b32_e32 v66, vcc_hi, v3
	v_accvgpr_read_b32 v68, a14
	v_readlane_b32 s93, v252, 11
	v_xor_b32_e32 v68, vcc_lo, v68
	v_and_b32_e32 v62, v62, v66
	v_cndmask_b32_e64 v66, 0, 1, s[92:93]
	v_and_b32_e32 v64, v64, v68
	v_cmp_ne_u32_e32 vcc, 0, v66
	v_accvgpr_read_b32 v68, a16
	v_xor_b32_e32 v68, vcc_lo, v68
	v_xor_b32_e32 v66, vcc_hi, v5
	v_and_b32_e32 v196, v64, v68
	v_and_b32_e32 v197, v62, v66
	v_mbcnt_lo_u32_b32 v62, v196, 0
	v_mbcnt_hi_u32_b32 v62, v197, v62
	v_cmp_eq_u32_e64 s[92:93], 0, v62
	v_cmp_ne_u64_e32 vcc, 0, v[196:197]
	s_and_b64 vcc, vcc, s[92:93]
	ds_write_b32 v193, v8 offset:16
	s_waitcnt lgkmcnt(0)
	s_barrier
	s_waitcnt lgkmcnt(0)
	; wave barrier
	s_and_saveexec_b64 s[92:93], vcc
	s_cbranch_execz .LBB71_4
; %bb.3:                                ;   in Loop: Header=BB71_2 Depth=1
	v_bcnt_u32_b32 v62, v196, 0
	v_bcnt_u32_b32 v62, v197, v62
	v_accvgpr_read_b32 v64, a11
	ds_write_b32 v64, v62 offset:16
.LBB71_4:                               ;   in Loop: Header=BB71_2 Depth=1
	s_or_b64 exec, exec, s[92:93]
	v_readlane_b32 s92, v252, 12
	v_cndmask_b32_e64 v64, 0, 1, s[24:25]
	v_readlane_b32 s93, v252, 13
	v_cmp_ne_u32_e32 vcc, 0, v64
	v_accvgpr_read_b32 v64, a7
	v_accvgpr_read_b32 v66, a6
	v_cndmask_b32_e64 v68, 0, 1, s[92:93]
	v_xor_b32_e32 v64, vcc_hi, v64
	v_xor_b32_e32 v66, vcc_lo, v66
	v_cmp_ne_u32_e32 vcc, 0, v68
	v_readlane_b32 s92, v252, 14
	v_and_b32_e32 v64, exec_hi, v64
	v_xor_b32_e32 v68, vcc_hi, v7
	v_readlane_b32 s93, v252, 15
	v_accvgpr_read_b32 v70, a18
	v_and_b32_e32 v64, v64, v68
	v_cndmask_b32_e64 v68, 0, 1, s[92:93]
	v_and_b32_e32 v66, exec_lo, v66
	v_xor_b32_e32 v70, vcc_lo, v70
	v_cmp_ne_u32_e32 vcc, 0, v68
	v_readlane_b32 s92, v252, 16
	v_and_b32_e32 v66, v66, v70
	v_xor_b32_e32 v68, vcc_hi, v9
	v_accvgpr_read_b32 v70, a20
	v_readlane_b32 s93, v252, 17
	v_xor_b32_e32 v70, vcc_lo, v70
	v_and_b32_e32 v64, v64, v68
	v_cndmask_b32_e64 v68, 0, 1, s[92:93]
	v_and_b32_e32 v66, v66, v70
	v_cmp_ne_u32_e32 vcc, 0, v68
	v_accvgpr_read_b32 v70, a22
	v_accvgpr_read_b32 v62, a12
	v_xor_b32_e32 v70, vcc_lo, v70
	; wave barrier
	ds_read_b32 v62, v62 offset:16
	v_xor_b32_e32 v68, vcc_hi, v11
	v_and_b32_e32 v196, v66, v70
	v_and_b32_e32 v197, v64, v68
	v_mbcnt_lo_u32_b32 v64, v196, 0
	v_mbcnt_hi_u32_b32 v64, v197, v64
	v_cmp_eq_u32_e32 vcc, 0, v64
	v_cmp_ne_u64_e64 s[92:93], 0, v[196:197]
	s_and_b64 vcc, s[92:93], vcc
	; wave barrier
	s_and_saveexec_b64 s[92:93], vcc
	s_cbranch_execz .LBB71_6
; %bb.5:                                ;   in Loop: Header=BB71_2 Depth=1
	v_bcnt_u32_b32 v64, v196, 0
	v_bcnt_u32_b32 v64, v197, v64
	s_waitcnt lgkmcnt(0)
	v_add_u32_e32 v62, v62, v64
	v_accvgpr_read_b32 v64, a12
	ds_write_b32 v64, v62 offset:16
.LBB71_6:                               ;   in Loop: Header=BB71_2 Depth=1
	s_or_b64 exec, exec, s[92:93]
	v_readlane_b32 s92, v252, 18
	v_cndmask_b32_e64 v64, 0, 1, s[26:27]
	v_readlane_b32 s93, v252, 19
	v_cmp_ne_u32_e32 vcc, 0, v64
	v_accvgpr_read_b32 v64, a9
	v_accvgpr_read_b32 v66, a8
	v_cndmask_b32_e64 v68, 0, 1, s[92:93]
	v_xor_b32_e32 v64, vcc_hi, v64
	v_xor_b32_e32 v66, vcc_lo, v66
	v_cmp_ne_u32_e32 vcc, 0, v68
	v_readlane_b32 s92, v252, 20
	v_and_b32_e32 v64, exec_hi, v64
	v_xor_b32_e32 v68, vcc_hi, v13
	v_readlane_b32 s93, v252, 21
	v_accvgpr_read_b32 v70, a24
	v_and_b32_e32 v64, v64, v68
	v_cndmask_b32_e64 v68, 0, 1, s[92:93]
	v_and_b32_e32 v66, exec_lo, v66
	v_xor_b32_e32 v70, vcc_lo, v70
	v_cmp_ne_u32_e32 vcc, 0, v68
	v_readlane_b32 s92, v252, 22
	v_and_b32_e32 v66, v66, v70
	v_xor_b32_e32 v68, vcc_hi, v15
	v_accvgpr_read_b32 v70, a26
	v_readlane_b32 s93, v252, 23
	v_xor_b32_e32 v70, vcc_lo, v70
	v_and_b32_e32 v64, v64, v68
	v_cndmask_b32_e64 v68, 0, 1, s[92:93]
	v_and_b32_e32 v66, v66, v70
	v_cmp_ne_u32_e32 vcc, 0, v68
	v_accvgpr_read_b32 v70, a28
	s_waitcnt lgkmcnt(0)
	v_accvgpr_read_b32 v62, a13
	v_xor_b32_e32 v70, vcc_lo, v70
	; wave barrier
	ds_read_b32 v62, v62 offset:16
	v_xor_b32_e32 v68, vcc_hi, v17
	v_and_b32_e32 v196, v66, v70
	v_and_b32_e32 v197, v64, v68
	v_mbcnt_lo_u32_b32 v64, v196, 0
	v_mbcnt_hi_u32_b32 v64, v197, v64
	v_cmp_eq_u32_e32 vcc, 0, v64
	v_cmp_ne_u64_e64 s[92:93], 0, v[196:197]
	s_and_b64 vcc, s[92:93], vcc
	; wave barrier
	s_and_saveexec_b64 s[92:93], vcc
	s_cbranch_execz .LBB71_8
; %bb.7:                                ;   in Loop: Header=BB71_2 Depth=1
	v_bcnt_u32_b32 v64, v196, 0
	v_bcnt_u32_b32 v64, v197, v64
	s_waitcnt lgkmcnt(0)
	v_add_u32_e32 v62, v62, v64
	v_accvgpr_read_b32 v64, a13
	ds_write_b32 v64, v62 offset:16
.LBB71_8:                               ;   in Loop: Header=BB71_2 Depth=1
	s_or_b64 exec, exec, s[92:93]
	v_readlane_b32 s92, v252, 24
	v_cndmask_b32_e64 v64, 0, 1, s[28:29]
	v_readlane_b32 s93, v252, 25
	v_cmp_ne_u32_e32 vcc, 0, v64
	v_accvgpr_read_b32 v64, a19
	v_accvgpr_read_b32 v66, a17
	v_cndmask_b32_e64 v68, 0, 1, s[92:93]
	v_xor_b32_e32 v64, vcc_hi, v64
	v_xor_b32_e32 v66, vcc_lo, v66
	v_cmp_ne_u32_e32 vcc, 0, v68
	v_readlane_b32 s92, v252, 26
	v_and_b32_e32 v64, exec_hi, v64
	v_xor_b32_e32 v68, vcc_hi, v19
	v_readlane_b32 s93, v252, 27
	v_accvgpr_read_b32 v70, a30
	v_and_b32_e32 v64, v64, v68
	v_cndmask_b32_e64 v68, 0, 1, s[92:93]
	v_and_b32_e32 v66, exec_lo, v66
	v_xor_b32_e32 v70, vcc_lo, v70
	v_cmp_ne_u32_e32 vcc, 0, v68
	v_readlane_b32 s92, v252, 28
	v_and_b32_e32 v66, v66, v70
	v_xor_b32_e32 v68, vcc_hi, v21
	v_accvgpr_read_b32 v70, a32
	v_readlane_b32 s93, v252, 29
	v_xor_b32_e32 v70, vcc_lo, v70
	v_and_b32_e32 v64, v64, v68
	v_cndmask_b32_e64 v68, 0, 1, s[92:93]
	v_and_b32_e32 v66, v66, v70
	v_cmp_ne_u32_e32 vcc, 0, v68
	v_accvgpr_read_b32 v70, a34
	s_waitcnt lgkmcnt(0)
	v_accvgpr_read_b32 v62, a15
	v_xor_b32_e32 v70, vcc_lo, v70
	; wave barrier
	ds_read_b32 v62, v62 offset:16
	v_xor_b32_e32 v68, vcc_hi, v23
	v_and_b32_e32 v196, v66, v70
	v_and_b32_e32 v197, v64, v68
	v_mbcnt_lo_u32_b32 v64, v196, 0
	v_mbcnt_hi_u32_b32 v64, v197, v64
	v_cmp_eq_u32_e32 vcc, 0, v64
	v_cmp_ne_u64_e64 s[92:93], 0, v[196:197]
	s_and_b64 vcc, s[92:93], vcc
	; wave barrier
	s_and_saveexec_b64 s[92:93], vcc
	s_cbranch_execz .LBB71_10
; %bb.9:                                ;   in Loop: Header=BB71_2 Depth=1
	v_bcnt_u32_b32 v64, v196, 0
	v_bcnt_u32_b32 v64, v197, v64
	s_waitcnt lgkmcnt(0)
	v_add_u32_e32 v62, v62, v64
	v_accvgpr_read_b32 v64, a15
	ds_write_b32 v64, v62 offset:16
.LBB71_10:                              ;   in Loop: Header=BB71_2 Depth=1
	s_or_b64 exec, exec, s[92:93]
	v_readlane_b32 s92, v252, 30
	v_cndmask_b32_e64 v64, 0, 1, s[30:31]
	v_readlane_b32 s93, v252, 31
	v_cmp_ne_u32_e32 vcc, 0, v64
	v_accvgpr_read_b32 v64, a23
	v_accvgpr_read_b32 v66, a21
	v_cndmask_b32_e64 v68, 0, 1, s[92:93]
	v_xor_b32_e32 v64, vcc_hi, v64
	v_xor_b32_e32 v66, vcc_lo, v66
	v_cmp_ne_u32_e32 vcc, 0, v68
	v_readlane_b32 s92, v252, 32
	v_and_b32_e32 v64, exec_hi, v64
	v_xor_b32_e32 v68, vcc_hi, v25
	v_readlane_b32 s93, v252, 33
	v_accvgpr_read_b32 v70, a36
	v_and_b32_e32 v64, v64, v68
	v_cndmask_b32_e64 v68, 0, 1, s[92:93]
	v_and_b32_e32 v66, exec_lo, v66
	v_xor_b32_e32 v70, vcc_lo, v70
	v_cmp_ne_u32_e32 vcc, 0, v68
	v_readlane_b32 s92, v252, 34
	v_and_b32_e32 v66, v66, v70
	v_xor_b32_e32 v68, vcc_hi, v27
	v_accvgpr_read_b32 v70, a38
	v_readlane_b32 s93, v252, 35
	v_xor_b32_e32 v70, vcc_lo, v70
	v_and_b32_e32 v64, v64, v68
	v_cndmask_b32_e64 v68, 0, 1, s[92:93]
	v_and_b32_e32 v66, v66, v70
	v_cmp_ne_u32_e32 vcc, 0, v68
	v_accvgpr_read_b32 v70, a40
	v_xor_b32_e32 v70, vcc_lo, v70
	; wave barrier
	s_waitcnt lgkmcnt(0)
	ds_read_b32 v62, v209 offset:16
	v_xor_b32_e32 v68, vcc_hi, v29
	v_and_b32_e32 v196, v66, v70
	v_and_b32_e32 v197, v64, v68
	v_mbcnt_lo_u32_b32 v64, v196, 0
	v_mbcnt_hi_u32_b32 v64, v197, v64
	v_cmp_eq_u32_e32 vcc, 0, v64
	v_cmp_ne_u64_e64 s[92:93], 0, v[196:197]
	s_and_b64 vcc, s[92:93], vcc
	; wave barrier
	s_and_saveexec_b64 s[92:93], vcc
	s_cbranch_execz .LBB71_12
; %bb.11:                               ;   in Loop: Header=BB71_2 Depth=1
	v_bcnt_u32_b32 v64, v196, 0
	v_bcnt_u32_b32 v64, v197, v64
	s_waitcnt lgkmcnt(0)
	v_add_u32_e32 v62, v62, v64
	ds_write_b32 v209, v62 offset:16
.LBB71_12:                              ;   in Loop: Header=BB71_2 Depth=1
	s_or_b64 exec, exec, s[92:93]
	v_readlane_b32 s92, v252, 36
	v_cndmask_b32_e64 v64, 0, 1, s[34:35]
	v_readlane_b32 s93, v252, 37
	v_cmp_ne_u32_e32 vcc, 0, v64
	v_accvgpr_read_b32 v64, a27
	v_accvgpr_read_b32 v66, a25
	v_cndmask_b32_e64 v68, 0, 1, s[92:93]
	v_xor_b32_e32 v64, vcc_hi, v64
	v_xor_b32_e32 v66, vcc_lo, v66
	v_cmp_ne_u32_e32 vcc, 0, v68
	v_readlane_b32 s92, v252, 38
	v_and_b32_e32 v64, exec_hi, v64
	v_xor_b32_e32 v68, vcc_hi, v31
	v_readlane_b32 s93, v252, 39
	v_accvgpr_read_b32 v70, a42
	v_and_b32_e32 v64, v64, v68
	v_cndmask_b32_e64 v68, 0, 1, s[92:93]
	v_and_b32_e32 v66, exec_lo, v66
	v_xor_b32_e32 v70, vcc_lo, v70
	v_cmp_ne_u32_e32 vcc, 0, v68
	v_readlane_b32 s92, v252, 40
	v_and_b32_e32 v66, v66, v70
	v_xor_b32_e32 v68, vcc_hi, v33
	v_accvgpr_read_b32 v70, a44
	v_readlane_b32 s93, v252, 41
	v_xor_b32_e32 v70, vcc_lo, v70
	v_and_b32_e32 v64, v64, v68
	v_cndmask_b32_e64 v68, 0, 1, s[92:93]
	v_and_b32_e32 v66, v66, v70
	v_cmp_ne_u32_e32 vcc, 0, v68
	v_accvgpr_read_b32 v70, a46
	v_xor_b32_e32 v70, vcc_lo, v70
	; wave barrier
	s_waitcnt lgkmcnt(0)
	ds_read_b32 v62, v198 offset:16
	v_xor_b32_e32 v68, vcc_hi, v35
	v_and_b32_e32 v196, v66, v70
	v_and_b32_e32 v197, v64, v68
	v_mbcnt_lo_u32_b32 v64, v196, 0
	v_mbcnt_hi_u32_b32 v64, v197, v64
	v_cmp_eq_u32_e32 vcc, 0, v64
	v_cmp_ne_u64_e64 s[92:93], 0, v[196:197]
	s_and_b64 vcc, s[92:93], vcc
	; wave barrier
	s_and_saveexec_b64 s[92:93], vcc
	s_cbranch_execz .LBB71_14
; %bb.13:                               ;   in Loop: Header=BB71_2 Depth=1
	v_bcnt_u32_b32 v64, v196, 0
	v_bcnt_u32_b32 v64, v197, v64
	s_waitcnt lgkmcnt(0)
	v_add_u32_e32 v62, v62, v64
	ds_write_b32 v198, v62 offset:16
.LBB71_14:                              ;   in Loop: Header=BB71_2 Depth=1
	;; [unrolled: 54-line block ×3, first 2 shown]
	s_or_b64 exec, exec, s[92:93]
	v_readlane_b32 s92, v252, 48
	v_cndmask_b32_e64 v64, 0, 1, s[38:39]
	v_readlane_b32 s93, v252, 49
	v_cmp_ne_u32_e32 vcc, 0, v64
	v_cndmask_b32_e64 v68, 0, 1, s[92:93]
	v_xor_b32_e32 v64, vcc_hi, v219
	v_xor_b32_e32 v66, vcc_lo, v218
	v_cmp_ne_u32_e32 vcc, 0, v68
	v_readlane_b32 s92, v252, 50
	v_and_b32_e32 v64, exec_hi, v64
	v_xor_b32_e32 v68, vcc_hi, v43
	v_readlane_b32 s93, v252, 51
	v_accvgpr_read_b32 v70, a54
	v_and_b32_e32 v64, v64, v68
	v_cndmask_b32_e64 v68, 0, 1, s[92:93]
	v_and_b32_e32 v66, exec_lo, v66
	v_xor_b32_e32 v70, vcc_lo, v70
	v_cmp_ne_u32_e32 vcc, 0, v68
	v_readlane_b32 s92, v252, 52
	v_and_b32_e32 v66, v66, v70
	v_xor_b32_e32 v68, vcc_hi, v45
	v_accvgpr_read_b32 v70, a56
	v_readlane_b32 s93, v252, 53
	v_xor_b32_e32 v70, vcc_lo, v70
	v_and_b32_e32 v64, v64, v68
	v_cndmask_b32_e64 v68, 0, 1, s[92:93]
	v_and_b32_e32 v66, v66, v70
	v_cmp_ne_u32_e32 vcc, 0, v68
	v_accvgpr_read_b32 v70, a58
	v_xor_b32_e32 v70, vcc_lo, v70
	; wave barrier
	s_waitcnt lgkmcnt(0)
	ds_read_b32 v62, v4 offset:16
	v_xor_b32_e32 v68, vcc_hi, v47
	v_and_b32_e32 v196, v66, v70
	v_and_b32_e32 v197, v64, v68
	v_mbcnt_lo_u32_b32 v64, v196, 0
	v_mbcnt_hi_u32_b32 v64, v197, v64
	v_cmp_eq_u32_e32 vcc, 0, v64
	v_cmp_ne_u64_e64 s[92:93], 0, v[196:197]
	s_and_b64 vcc, s[92:93], vcc
	; wave barrier
	s_and_saveexec_b64 s[92:93], vcc
	s_cbranch_execz .LBB71_18
; %bb.17:                               ;   in Loop: Header=BB71_2 Depth=1
	v_bcnt_u32_b32 v64, v196, 0
	v_bcnt_u32_b32 v64, v197, v64
	s_waitcnt lgkmcnt(0)
	v_add_u32_e32 v62, v62, v64
	ds_write_b32 v4, v62 offset:16
.LBB71_18:                              ;   in Loop: Header=BB71_2 Depth=1
	s_or_b64 exec, exec, s[92:93]
	v_readlane_b32 s92, v252, 54
	v_cndmask_b32_e64 v64, 0, 1, s[40:41]
	v_readlane_b32 s93, v252, 55
	v_cmp_ne_u32_e32 vcc, 0, v64
	v_cndmask_b32_e64 v68, 0, 1, s[92:93]
	v_xor_b32_e32 v64, vcc_hi, v221
	v_xor_b32_e32 v66, vcc_lo, v220
	v_cmp_ne_u32_e32 vcc, 0, v68
	v_readlane_b32 s92, v252, 56
	v_and_b32_e32 v64, exec_hi, v64
	v_xor_b32_e32 v68, vcc_hi, v49
	v_readlane_b32 s93, v252, 57
	v_accvgpr_read_b32 v70, a60
	v_and_b32_e32 v64, v64, v68
	v_cndmask_b32_e64 v68, 0, 1, s[92:93]
	v_and_b32_e32 v66, exec_lo, v66
	v_xor_b32_e32 v70, vcc_lo, v70
	v_cmp_ne_u32_e32 vcc, 0, v68
	v_readlane_b32 s92, v252, 58
	v_and_b32_e32 v66, v66, v70
	v_xor_b32_e32 v68, vcc_hi, v51
	v_accvgpr_read_b32 v70, a62
	v_readlane_b32 s93, v252, 59
	v_xor_b32_e32 v70, vcc_lo, v70
	v_and_b32_e32 v64, v64, v68
	v_cndmask_b32_e64 v68, 0, 1, s[92:93]
	v_and_b32_e32 v66, v66, v70
	v_cmp_ne_u32_e32 vcc, 0, v68
	v_accvgpr_read_b32 v70, a64
	v_xor_b32_e32 v70, vcc_lo, v70
	; wave barrier
	s_waitcnt lgkmcnt(0)
	ds_read_b32 v62, v30 offset:16
	v_xor_b32_e32 v68, vcc_hi, v53
	v_and_b32_e32 v196, v66, v70
	v_and_b32_e32 v197, v64, v68
	v_mbcnt_lo_u32_b32 v64, v196, 0
	v_mbcnt_hi_u32_b32 v64, v197, v64
	v_cmp_eq_u32_e32 vcc, 0, v64
	v_cmp_ne_u64_e64 s[92:93], 0, v[196:197]
	s_and_b64 vcc, s[92:93], vcc
	; wave barrier
	s_and_saveexec_b64 s[92:93], vcc
	s_cbranch_execz .LBB71_20
; %bb.19:                               ;   in Loop: Header=BB71_2 Depth=1
	v_bcnt_u32_b32 v64, v196, 0
	v_bcnt_u32_b32 v64, v197, v64
	s_waitcnt lgkmcnt(0)
	v_add_u32_e32 v62, v62, v64
	ds_write_b32 v30, v62 offset:16
.LBB71_20:                              ;   in Loop: Header=BB71_2 Depth=1
	;; [unrolled: 52-line block ×9, first 2 shown]
	s_or_b64 exec, exec, s[92:93]
	; wave barrier
	s_waitcnt lgkmcnt(0)
	s_barrier
	ds_read_b32 v62, v193 offset:16
	s_waitcnt lgkmcnt(0)
	s_nop 0
	v_mov_b32_dpp v64, v62 row_shr:1 row_mask:0xf bank_mask:0xf
	v_cndmask_b32_e64 v64, v64, 0, s[6:7]
	v_add_u32_e32 v62, v64, v62
	s_nop 1
	v_mov_b32_dpp v64, v62 row_shr:2 row_mask:0xf bank_mask:0xf
	v_cndmask_b32_e64 v64, 0, v64, s[8:9]
	v_add_u32_e32 v62, v62, v64
	s_nop 1
	v_mov_b32_dpp v64, v62 row_shr:4 row_mask:0xf bank_mask:0xf
	v_cndmask_b32_e64 v64, 0, v64, s[10:11]
	v_add_u32_e32 v62, v62, v64
	s_nop 1
	v_mov_b32_dpp v64, v62 row_shr:8 row_mask:0xf bank_mask:0xf
	v_cndmask_b32_e64 v64, 0, v64, s[12:13]
	v_add_u32_e32 v62, v62, v64
	s_nop 1
	v_mov_b32_dpp v64, v62 row_bcast:15 row_mask:0xf bank_mask:0xf
	v_cndmask_b32_e64 v64, v64, 0, s[14:15]
	v_add_u32_e32 v62, v62, v64
	s_nop 1
	v_mov_b32_dpp v64, v62 row_bcast:31 row_mask:0xf bank_mask:0xf
	v_cndmask_b32_e64 v64, 0, v64, s[16:17]
	v_add_u32_e32 v62, v62, v64
	s_and_saveexec_b64 s[92:93], s[0:1]
	s_xor_b64 s[92:93], exec, s[92:93]
	s_cbranch_execz .LBB71_36
; %bb.35:                               ;   in Loop: Header=BB71_2 Depth=1
	v_accvgpr_read_b32 v64, a1
	ds_write_b32 v64, v62
.LBB71_36:                              ;   in Loop: Header=BB71_2 Depth=1
	s_or_b64 exec, exec, s[92:93]
	s_waitcnt lgkmcnt(0)
	s_barrier
	s_and_saveexec_b64 s[92:93], s[2:3]
	s_cbranch_execz .LBB71_38
; %bb.37:                               ;   in Loop: Header=BB71_2 Depth=1
	ds_read_b32 v64, v193
	s_waitcnt lgkmcnt(0)
	s_nop 0
	v_mov_b32_dpp v66, v64 row_shr:1 row_mask:0xf bank_mask:0xf
	v_cndmask_b32_e64 v66, v66, 0, s[18:19]
	v_add_u32_e32 v64, v66, v64
	s_nop 1
	v_mov_b32_dpp v66, v64 row_shr:2 row_mask:0xf bank_mask:0xf
	v_cndmask_b32_e64 v66, 0, v66, s[20:21]
	v_add_u32_e32 v64, v64, v66
	ds_write_b32 v193, v64
.LBB71_38:                              ;   in Loop: Header=BB71_2 Depth=1
	s_or_b64 exec, exec, s[92:93]
	v_mov_b32_e32 v64, 0
	s_waitcnt lgkmcnt(0)
	s_barrier
	s_and_saveexec_b64 s[92:93], s[4:5]
	s_cbranch_execz .LBB71_40
; %bb.39:                               ;   in Loop: Header=BB71_2 Depth=1
	v_accvgpr_read_b32 v64, a3
	ds_read_b32 v64, v64
.LBB71_40:                              ;   in Loop: Header=BB71_2 Depth=1
	s_or_b64 exec, exec, s[92:93]
	s_waitcnt lgkmcnt(0)
	v_add_u32_e32 v62, v64, v62
	v_accvgpr_read_b32 v66, a2
	ds_bpermute_b32 v62, v66, v62
	v_readlane_b32 s92, v253, 38
	v_readlane_b32 s93, v253, 39
	v_cndmask_b32_e64 v66, 0, 1, s[92:93]
	v_readlane_b32 s92, v253, 40
	s_waitcnt lgkmcnt(0)
	v_cndmask_b32_e64 v62, v62, v64, s[90:91]
	ds_write_b32 v193, v62 offset:16
	v_cndmask_b32_e64 v62, 0, 1, s[56:57]
	v_cmp_ne_u32_e32 vcc, 0, v62
	v_xor_b32_e32 v62, vcc_hi, v237
	v_xor_b32_e32 v64, vcc_lo, v236
	v_cmp_ne_u32_e32 vcc, 0, v66
	v_and_b32_e32 v62, exec_hi, v62
	v_xor_b32_e32 v66, vcc_hi, v97
	v_readlane_b32 s93, v253, 41
	v_accvgpr_read_b32 v68, a108
	v_and_b32_e32 v62, v62, v66
	v_cndmask_b32_e64 v66, 0, 1, s[92:93]
	v_and_b32_e32 v64, exec_lo, v64
	v_xor_b32_e32 v68, vcc_lo, v68
	v_cmp_ne_u32_e32 vcc, 0, v66
	v_readlane_b32 s92, v253, 42
	v_and_b32_e32 v64, v64, v68
	v_xor_b32_e32 v66, vcc_hi, v99
	v_accvgpr_read_b32 v68, a110
	v_readlane_b32 s93, v253, 43
	v_xor_b32_e32 v68, vcc_lo, v68
	v_and_b32_e32 v62, v62, v66
	v_cndmask_b32_e64 v66, 0, 1, s[92:93]
	v_and_b32_e32 v64, v64, v68
	v_cmp_ne_u32_e32 vcc, 0, v66
	v_accvgpr_read_b32 v68, a112
	v_xor_b32_e32 v68, vcc_lo, v68
	v_xor_b32_e32 v66, vcc_hi, v101
	v_and_b32_e32 v196, v64, v68
	v_and_b32_e32 v197, v62, v66
	v_mbcnt_lo_u32_b32 v62, v196, 0
	v_mbcnt_hi_u32_b32 v62, v197, v62
	v_cmp_eq_u32_e32 vcc, 0, v62
	v_cmp_ne_u64_e64 s[92:93], 0, v[196:197]
	s_and_b64 vcc, s[92:93], vcc
	s_waitcnt lgkmcnt(0)
	s_barrier
	ds_write_b32 v193, v8 offset:16
	s_waitcnt lgkmcnt(0)
	s_barrier
	s_waitcnt lgkmcnt(0)
	; wave barrier
	s_and_saveexec_b64 s[92:93], vcc
	s_cbranch_execz .LBB71_42
; %bb.41:                               ;   in Loop: Header=BB71_2 Depth=1
	v_bcnt_u32_b32 v64, v196, 0
	v_bcnt_u32_b32 v64, v197, v64
	v_accvgpr_read_b32 v66, a33
	ds_write_b32 v66, v64 offset:16
.LBB71_42:                              ;   in Loop: Header=BB71_2 Depth=1
	s_or_b64 exec, exec, s[92:93]
	v_readlane_b32 s92, v253, 44
	v_cndmask_b32_e64 v66, 0, 1, s[58:59]
	v_readlane_b32 s93, v253, 45
	v_cmp_ne_u32_e32 vcc, 0, v66
	v_cndmask_b32_e64 v70, 0, 1, s[92:93]
	v_xor_b32_e32 v66, vcc_hi, v239
	v_xor_b32_e32 v68, vcc_lo, v238
	v_cmp_ne_u32_e32 vcc, 0, v70
	v_readlane_b32 s92, v253, 46
	v_and_b32_e32 v66, exec_hi, v66
	v_xor_b32_e32 v70, vcc_hi, v103
	v_readlane_b32 s93, v253, 47
	v_accvgpr_read_b32 v72, a114
	v_and_b32_e32 v66, v66, v70
	v_cndmask_b32_e64 v70, 0, 1, s[92:93]
	v_xor_b32_e32 v72, vcc_lo, v72
	v_cmp_ne_u32_e32 vcc, 0, v70
	v_readlane_b32 s92, v253, 48
	v_and_b32_e32 v68, exec_lo, v68
	v_xor_b32_e32 v70, vcc_hi, v105
	v_readlane_b32 s93, v253, 49
	v_and_b32_e32 v68, v68, v72
	v_accvgpr_read_b32 v72, a116
	v_and_b32_e32 v66, v66, v70
	v_cndmask_b32_e64 v70, 0, 1, s[92:93]
	v_xor_b32_e32 v72, vcc_lo, v72
	v_cmp_ne_u32_e32 vcc, 0, v70
	v_and_b32_e32 v68, v68, v72
	v_xor_b32_e32 v72, vcc_lo, v110
	; wave barrier
	ds_read_b32 v64, v28 offset:16
	v_xor_b32_e32 v70, vcc_hi, v107
	v_and_b32_e32 v196, v68, v72
	v_and_b32_e32 v197, v66, v70
	v_mbcnt_lo_u32_b32 v66, v196, 0
	v_mbcnt_hi_u32_b32 v66, v197, v66
	v_cmp_eq_u32_e32 vcc, 0, v66
	v_cmp_ne_u64_e64 s[92:93], 0, v[196:197]
	s_and_b64 vcc, s[92:93], vcc
	; wave barrier
	s_and_saveexec_b64 s[92:93], vcc
	s_cbranch_execz .LBB71_44
; %bb.43:                               ;   in Loop: Header=BB71_2 Depth=1
	v_bcnt_u32_b32 v68, v196, 0
	v_bcnt_u32_b32 v68, v197, v68
	s_waitcnt lgkmcnt(0)
	v_add_u32_e32 v68, v64, v68
	ds_write_b32 v28, v68 offset:16
.LBB71_44:                              ;   in Loop: Header=BB71_2 Depth=1
	s_or_b64 exec, exec, s[92:93]
	v_readlane_b32 s92, v253, 50
	v_cndmask_b32_e64 v70, 0, 1, s[60:61]
	v_readlane_b32 s93, v253, 51
	v_cmp_ne_u32_e32 vcc, 0, v70
	v_cndmask_b32_e64 v74, 0, 1, s[92:93]
	v_xor_b32_e32 v70, vcc_hi, v241
	v_xor_b32_e32 v72, vcc_lo, v240
	v_cmp_ne_u32_e32 vcc, 0, v74
	v_readlane_b32 s92, v253, 52
	v_and_b32_e32 v70, exec_hi, v70
	v_xor_b32_e32 v74, vcc_hi, v109
	v_readlane_b32 s93, v253, 53
	v_and_b32_e32 v70, v70, v74
	v_cndmask_b32_e64 v74, 0, 1, s[92:93]
	v_xor_b32_e32 v76, vcc_lo, v112
	v_cmp_ne_u32_e32 vcc, 0, v74
	v_readlane_b32 s92, v253, 54
	v_xor_b32_e32 v74, vcc_hi, v111
	v_readlane_b32 s93, v253, 55
	v_and_b32_e32 v72, exec_lo, v72
	v_and_b32_e32 v70, v70, v74
	v_cndmask_b32_e64 v74, 0, 1, s[92:93]
	v_and_b32_e32 v72, v72, v76
	v_xor_b32_e32 v76, vcc_lo, v114
	v_cmp_ne_u32_e32 vcc, 0, v74
	v_and_b32_e32 v72, v72, v76
	v_xor_b32_e32 v76, vcc_lo, v116
	; wave barrier
	ds_read_b32 v68, v200 offset:16
	v_xor_b32_e32 v74, vcc_hi, v113
	v_and_b32_e32 v196, v72, v76
	v_and_b32_e32 v197, v70, v74
	v_mbcnt_lo_u32_b32 v70, v196, 0
	v_mbcnt_hi_u32_b32 v70, v197, v70
	v_cmp_eq_u32_e32 vcc, 0, v70
	v_cmp_ne_u64_e64 s[92:93], 0, v[196:197]
	s_and_b64 vcc, s[92:93], vcc
	; wave barrier
	s_and_saveexec_b64 s[92:93], vcc
	s_cbranch_execz .LBB71_46
; %bb.45:                               ;   in Loop: Header=BB71_2 Depth=1
	v_bcnt_u32_b32 v72, v196, 0
	v_bcnt_u32_b32 v72, v197, v72
	s_waitcnt lgkmcnt(0)
	v_add_u32_e32 v72, v68, v72
	ds_write_b32 v200, v72 offset:16
.LBB71_46:                              ;   in Loop: Header=BB71_2 Depth=1
	s_or_b64 exec, exec, s[92:93]
	v_readlane_b32 s92, v253, 56
	v_cndmask_b32_e64 v74, 0, 1, s[62:63]
	v_readlane_b32 s93, v253, 57
	v_cmp_ne_u32_e32 vcc, 0, v74
	v_cndmask_b32_e64 v78, 0, 1, s[92:93]
	v_xor_b32_e32 v74, vcc_hi, v243
	v_xor_b32_e32 v76, vcc_lo, v242
	v_cmp_ne_u32_e32 vcc, 0, v78
	v_readlane_b32 s92, v253, 58
	v_and_b32_e32 v74, exec_hi, v74
	v_xor_b32_e32 v78, vcc_hi, v115
	v_readlane_b32 s93, v253, 59
	v_and_b32_e32 v74, v74, v78
	v_cndmask_b32_e64 v78, 0, 1, s[92:93]
	v_xor_b32_e32 v80, vcc_lo, v118
	v_cmp_ne_u32_e32 vcc, 0, v78
	v_readlane_b32 s92, v253, 60
	v_xor_b32_e32 v78, vcc_hi, v117
	v_readlane_b32 s93, v253, 61
	v_and_b32_e32 v76, exec_lo, v76
	v_and_b32_e32 v74, v74, v78
	v_cndmask_b32_e64 v78, 0, 1, s[92:93]
	v_and_b32_e32 v76, v76, v80
	;; [unrolled: 48-line block ×11, first 2 shown]
	v_xor_b32_e32 v197, vcc_lo, v174
	v_cmp_ne_u32_e32 vcc, 0, v196
	v_and_b32_e32 v108, v108, v197
	v_xor_b32_e32 v196, vcc_hi, v173
	v_xor_b32_e32 v212, vcc_lo, v176
	; wave barrier
	ds_read_b32 v104, v54 offset:16
	v_and_b32_e32 v197, v106, v196
	v_and_b32_e32 v196, v108, v212
	v_mbcnt_lo_u32_b32 v106, v196, 0
	v_mbcnt_hi_u32_b32 v106, v197, v106
	v_cmp_eq_u32_e32 vcc, 0, v106
	v_cmp_ne_u64_e64 s[92:93], 0, v[196:197]
	s_and_b64 vcc, s[92:93], vcc
	; wave barrier
	s_and_saveexec_b64 s[92:93], vcc
	s_cbranch_execz .LBB71_66
; %bb.65:                               ;   in Loop: Header=BB71_2 Depth=1
	v_bcnt_u32_b32 v108, v196, 0
	v_bcnt_u32_b32 v108, v197, v108
	s_waitcnt lgkmcnt(0)
	v_add_u32_e32 v108, v104, v108
	ds_write_b32 v54, v108 offset:16
.LBB71_66:                              ;   in Loop: Header=BB71_2 Depth=1
	s_or_b64 exec, exec, s[92:93]
	v_readlane_b32 s92, v254, 52
	v_cndmask_b32_e64 v196, 0, 1, s[82:83]
	v_readlane_b32 s93, v254, 53
	v_cmp_ne_u32_e32 vcc, 0, v196
	v_cndmask_b32_e64 v212, 0, 1, s[92:93]
	v_xor_b32_e32 v196, vcc_hi, v22
	v_xor_b32_e32 v197, vcc_lo, v20
	v_cmp_ne_u32_e32 vcc, 0, v212
	v_readlane_b32 s92, v254, 54
	v_and_b32_e32 v196, exec_hi, v196
	v_xor_b32_e32 v212, vcc_hi, v175
	v_readlane_b32 s93, v254, 55
	v_and_b32_e32 v196, v196, v212
	v_cndmask_b32_e64 v212, 0, 1, s[92:93]
	v_and_b32_e32 v197, exec_lo, v197
	v_xor_b32_e32 v213, vcc_lo, v178
	v_cmp_ne_u32_e32 vcc, 0, v212
	v_readlane_b32 s92, v254, 56
	v_and_b32_e32 v197, v197, v213
	v_xor_b32_e32 v212, vcc_hi, v177
	v_xor_b32_e32 v213, vcc_lo, v180
	v_readlane_b32 s93, v254, 57
	v_and_b32_e32 v196, v196, v212
	v_and_b32_e32 v212, v197, v213
	v_cndmask_b32_e64 v197, 0, 1, s[92:93]
	v_cmp_ne_u32_e32 vcc, 0, v197
	v_xor_b32_e32 v197, vcc_hi, v179
	v_xor_b32_e32 v213, vcc_lo, v182
	; wave barrier
	ds_read_b32 v108, v56 offset:16
	v_and_b32_e32 v197, v196, v197
	v_and_b32_e32 v196, v212, v213
	v_mbcnt_lo_u32_b32 v212, v196, 0
	v_mbcnt_hi_u32_b32 v212, v197, v212
	v_cmp_eq_u32_e32 vcc, 0, v212
	v_cmp_ne_u64_e64 s[92:93], 0, v[196:197]
	s_and_b64 vcc, s[92:93], vcc
	; wave barrier
	s_and_saveexec_b64 s[92:93], vcc
	s_cbranch_execz .LBB71_68
; %bb.67:                               ;   in Loop: Header=BB71_2 Depth=1
	v_bcnt_u32_b32 v196, v196, 0
	v_bcnt_u32_b32 v196, v197, v196
	s_waitcnt lgkmcnt(0)
	v_add_u32_e32 v196, v108, v196
	ds_write_b32 v56, v196 offset:16
.LBB71_68:                              ;   in Loop: Header=BB71_2 Depth=1
	s_or_b64 exec, exec, s[92:93]
	v_readlane_b32 s92, v254, 58
	v_cndmask_b32_e64 v196, 0, 1, s[84:85]
	v_readlane_b32 s93, v254, 59
	v_cmp_ne_u32_e32 vcc, 0, v196
	v_cndmask_b32_e64 v214, 0, 1, s[92:93]
	v_xor_b32_e32 v196, vcc_hi, v26
	v_xor_b32_e32 v197, vcc_lo, v24
	v_cmp_ne_u32_e32 vcc, 0, v214
	v_readlane_b32 s92, v254, 60
	v_and_b32_e32 v196, exec_hi, v196
	v_xor_b32_e32 v214, vcc_hi, v181
	v_readlane_b32 s93, v254, 61
	v_and_b32_e32 v196, v196, v214
	v_cndmask_b32_e64 v214, 0, 1, s[92:93]
	v_and_b32_e32 v197, exec_lo, v197
	v_xor_b32_e32 v215, vcc_lo, v184
	v_cmp_ne_u32_e32 vcc, 0, v214
	v_readlane_b32 s92, v254, 62
	v_and_b32_e32 v197, v197, v215
	v_xor_b32_e32 v214, vcc_hi, v183
	v_xor_b32_e32 v215, vcc_lo, v186
	v_readlane_b32 s93, v254, 63
	v_and_b32_e32 v196, v196, v214
	v_and_b32_e32 v214, v197, v215
	v_cndmask_b32_e64 v197, 0, 1, s[92:93]
	v_cmp_ne_u32_e32 vcc, 0, v197
	v_xor_b32_e32 v197, vcc_hi, v185
	v_xor_b32_e32 v215, vcc_lo, v188
	; wave barrier
	ds_read_b32 v213, v58 offset:16
	v_and_b32_e32 v197, v196, v197
	v_and_b32_e32 v196, v214, v215
	v_mbcnt_lo_u32_b32 v214, v196, 0
	v_mbcnt_hi_u32_b32 v214, v197, v214
	v_cmp_eq_u32_e32 vcc, 0, v214
	v_cmp_ne_u64_e64 s[92:93], 0, v[196:197]
	s_and_b64 vcc, s[92:93], vcc
	; wave barrier
	s_and_saveexec_b64 s[92:93], vcc
	s_cbranch_execz .LBB71_70
; %bb.69:                               ;   in Loop: Header=BB71_2 Depth=1
	v_bcnt_u32_b32 v196, v196, 0
	v_bcnt_u32_b32 v196, v197, v196
	s_waitcnt lgkmcnt(0)
	v_add_u32_e32 v196, v213, v196
	ds_write_b32 v58, v196 offset:16
.LBB71_70:                              ;   in Loop: Header=BB71_2 Depth=1
	s_or_b64 exec, exec, s[92:93]
	v_readlane_b32 s92, v255, 0
	v_cndmask_b32_e64 v196, 0, 1, s[86:87]
	v_readlane_b32 s93, v255, 1
	v_cmp_ne_u32_e32 vcc, 0, v196
	v_cndmask_b32_e64 v216, 0, 1, s[92:93]
	v_xor_b32_e32 v196, vcc_hi, v208
	v_xor_b32_e32 v197, vcc_lo, v207
	v_cmp_ne_u32_e32 vcc, 0, v216
	v_and_b32_e32 v196, exec_hi, v196
	v_xor_b32_e32 v216, vcc_hi, v187
	v_and_b32_e32 v196, v196, v216
	v_cndmask_b32_e64 v216, 0, 1, s[94:95]
	v_and_b32_e32 v197, exec_lo, v197
	v_xor_b32_e32 v217, vcc_lo, v190
	v_cmp_ne_u32_e32 vcc, 0, v216
	v_and_b32_e32 v197, v197, v217
	v_xor_b32_e32 v216, vcc_hi, v189
	v_xor_b32_e32 v217, vcc_lo, v192
	v_and_b32_e32 v196, v196, v216
	v_and_b32_e32 v216, v197, v217
	v_cndmask_b32_e64 v197, 0, 1, s[88:89]
	v_cmp_ne_u32_e32 vcc, 0, v197
	v_xor_b32_e32 v197, vcc_hi, v191
	v_xor_b32_e32 v217, vcc_lo, v194
	; wave barrier
	ds_read_b32 v215, v60 offset:16
	v_and_b32_e32 v197, v196, v197
	v_and_b32_e32 v196, v216, v217
	v_mbcnt_lo_u32_b32 v216, v196, 0
	v_mbcnt_hi_u32_b32 v216, v197, v216
	v_cmp_eq_u32_e32 vcc, 0, v216
	v_cmp_ne_u64_e64 s[92:93], 0, v[196:197]
	s_and_b64 vcc, s[92:93], vcc
	; wave barrier
	s_and_saveexec_b64 s[92:93], vcc
	s_cbranch_execz .LBB71_72
; %bb.71:                               ;   in Loop: Header=BB71_2 Depth=1
	v_bcnt_u32_b32 v196, v196, 0
	v_bcnt_u32_b32 v196, v197, v196
	s_waitcnt lgkmcnt(0)
	v_add_u32_e32 v196, v215, v196
	ds_write_b32 v60, v196 offset:16
.LBB71_72:                              ;   in Loop: Header=BB71_2 Depth=1
	s_or_b64 exec, exec, s[92:93]
	; wave barrier
	s_waitcnt lgkmcnt(0)
	s_barrier
	ds_read_b32 v196, v193 offset:16
	s_waitcnt lgkmcnt(0)
	s_nop 0
	v_mov_b32_dpp v197, v196 row_shr:1 row_mask:0xf bank_mask:0xf
	v_cndmask_b32_e64 v197, v197, 0, s[6:7]
	v_add_u32_e32 v196, v197, v196
	s_nop 1
	v_mov_b32_dpp v197, v196 row_shr:2 row_mask:0xf bank_mask:0xf
	v_cndmask_b32_e64 v197, 0, v197, s[8:9]
	v_add_u32_e32 v196, v196, v197
	;; [unrolled: 4-line block ×4, first 2 shown]
	s_nop 1
	v_mov_b32_dpp v197, v196 row_bcast:15 row_mask:0xf bank_mask:0xf
	v_cndmask_b32_e64 v197, v197, 0, s[14:15]
	v_add_u32_e32 v196, v196, v197
	s_nop 1
	v_mov_b32_dpp v197, v196 row_bcast:31 row_mask:0xf bank_mask:0xf
	v_cndmask_b32_e64 v197, 0, v197, s[16:17]
	v_add_u32_e32 v196, v196, v197
	s_and_saveexec_b64 s[92:93], s[0:1]
	s_cbranch_execz .LBB71_74
; %bb.73:                               ;   in Loop: Header=BB71_2 Depth=1
	v_accvgpr_read_b32 v197, a1
	ds_write_b32 v197, v196
.LBB71_74:                              ;   in Loop: Header=BB71_2 Depth=1
	s_or_b64 exec, exec, s[92:93]
	s_waitcnt lgkmcnt(0)
	s_barrier
	s_and_saveexec_b64 s[92:93], s[2:3]
	s_cbranch_execz .LBB71_76
; %bb.75:                               ;   in Loop: Header=BB71_2 Depth=1
	ds_read_b32 v197, v193
	s_waitcnt lgkmcnt(0)
	s_nop 0
	v_mov_b32_dpp v217, v197 row_shr:1 row_mask:0xf bank_mask:0xf
	v_cndmask_b32_e64 v217, v217, 0, s[18:19]
	v_add_u32_e32 v197, v217, v197
	s_nop 1
	v_mov_b32_dpp v217, v197 row_shr:2 row_mask:0xf bank_mask:0xf
	v_cndmask_b32_e64 v217, 0, v217, s[20:21]
	v_add_u32_e32 v197, v197, v217
	ds_write_b32 v193, v197
.LBB71_76:                              ;   in Loop: Header=BB71_2 Depth=1
	s_or_b64 exec, exec, s[92:93]
	v_mov_b32_e32 v197, 0
	s_waitcnt lgkmcnt(0)
	s_barrier
	s_and_saveexec_b64 s[92:93], s[4:5]
	s_cbranch_execz .LBB71_1
; %bb.77:                               ;   in Loop: Header=BB71_2 Depth=1
	v_accvgpr_read_b32 v197, a3
	ds_read_b32 v197, v197
	s_branch .LBB71_1
.LBB71_78:
	v_accvgpr_read_b32 v1, a33
	ds_read_b32 v4, v60 offset:16
	ds_read_b32 v5, v58 offset:16
	;; [unrolled: 1-line block ×16, first 2 shown]
	v_readlane_b32 s0, v252, 4
	v_readlane_b32 s4, v252, 0
	;; [unrolled: 1-line block ×5, first 2 shown]
	s_lshl_b64 s[0:1], s[0:1], 2
	s_mov_b64 s[2:3], s[6:7]
	s_add_u32 s0, s2, s0
	v_accvgpr_read_b32 v18, a0
	s_addc_u32 s1, s3, s1
	v_lshlrev_b32_e32 v17, 2, v18
	s_waitcnt lgkmcnt(1)
	v_add3_u32 v1, v66, v64, v0
	s_waitcnt lgkmcnt(0)
	v_add_u32_e32 v0, v3, v62
	v_add3_u32 v3, v74, v72, v2
	v_add3_u32 v2, v70, v68, v16
	global_store_dwordx4 v17, v[0:3], s[0:1]
	v_readlane_b32 s5, v252, 1
	v_add3_u32 v1, v211, v78, v14
	v_add3_u32 v0, v210, v76, v15
	;; [unrolled: 1-line block ×4, first 2 shown]
	global_store_dwordx4 v17, v[0:3], s[0:1] offset:16
	s_nop 0
	v_add3_u32 v1, v94, v92, v10
	v_add3_u32 v0, v90, v88, v11
	;; [unrolled: 1-line block ×4, first 2 shown]
	global_store_dwordx4 v17, v[0:3], s[0:1] offset:32
	s_nop 0
	v_add3_u32 v1, v212, v108, v6
	v_add3_u32 v0, v106, v104, v7
	;; [unrolled: 1-line block ×4, first 2 shown]
	global_store_dwordx4 v17, v[0:3], s[0:1] offset:48
	s_endpgm
	.section	.rodata,"a",@progbits
	.p2align	6, 0x0
	.amdhsa_kernel _Z11rank_kernelIhLj4ELb0EL18RadixRankAlgorithm2ELj256ELj16ELj10EEvPKT_Pi
		.amdhsa_group_segment_fixed_size 1040
		.amdhsa_private_segment_fixed_size 0
		.amdhsa_kernarg_size 272
		.amdhsa_user_sgpr_count 6
		.amdhsa_user_sgpr_private_segment_buffer 1
		.amdhsa_user_sgpr_dispatch_ptr 0
		.amdhsa_user_sgpr_queue_ptr 0
		.amdhsa_user_sgpr_kernarg_segment_ptr 1
		.amdhsa_user_sgpr_dispatch_id 0
		.amdhsa_user_sgpr_flat_scratch_init 0
		.amdhsa_user_sgpr_kernarg_preload_length 0
		.amdhsa_user_sgpr_kernarg_preload_offset 0
		.amdhsa_user_sgpr_private_segment_size 0
		.amdhsa_uses_dynamic_stack 0
		.amdhsa_system_sgpr_private_segment_wavefront_offset 0
		.amdhsa_system_sgpr_workgroup_id_x 1
		.amdhsa_system_sgpr_workgroup_id_y 0
		.amdhsa_system_sgpr_workgroup_id_z 0
		.amdhsa_system_sgpr_workgroup_info 0
		.amdhsa_system_vgpr_workitem_id 2
		.amdhsa_next_free_vgpr 373
		.amdhsa_next_free_sgpr 96
		.amdhsa_accum_offset 256
		.amdhsa_reserve_vcc 1
		.amdhsa_reserve_flat_scratch 0
		.amdhsa_float_round_mode_32 0
		.amdhsa_float_round_mode_16_64 0
		.amdhsa_float_denorm_mode_32 3
		.amdhsa_float_denorm_mode_16_64 3
		.amdhsa_dx10_clamp 1
		.amdhsa_ieee_mode 1
		.amdhsa_fp16_overflow 0
		.amdhsa_tg_split 0
		.amdhsa_exception_fp_ieee_invalid_op 0
		.amdhsa_exception_fp_denorm_src 0
		.amdhsa_exception_fp_ieee_div_zero 0
		.amdhsa_exception_fp_ieee_overflow 0
		.amdhsa_exception_fp_ieee_underflow 0
		.amdhsa_exception_fp_ieee_inexact 0
		.amdhsa_exception_int_div_zero 0
	.end_amdhsa_kernel
	.section	.text._Z11rank_kernelIhLj4ELb0EL18RadixRankAlgorithm2ELj256ELj16ELj10EEvPKT_Pi,"axG",@progbits,_Z11rank_kernelIhLj4ELb0EL18RadixRankAlgorithm2ELj256ELj16ELj10EEvPKT_Pi,comdat
.Lfunc_end71:
	.size	_Z11rank_kernelIhLj4ELb0EL18RadixRankAlgorithm2ELj256ELj16ELj10EEvPKT_Pi, .Lfunc_end71-_Z11rank_kernelIhLj4ELb0EL18RadixRankAlgorithm2ELj256ELj16ELj10EEvPKT_Pi
                                        ; -- End function
	.section	.AMDGPU.csdata,"",@progbits
; Kernel info:
; codeLenInByte = 16336
; NumSgprs: 100
; NumVgprs: 256
; NumAgprs: 117
; TotalNumVgprs: 373
; ScratchSize: 0
; MemoryBound: 0
; FloatMode: 240
; IeeeMode: 1
; LDSByteSize: 1040 bytes/workgroup (compile time only)
; SGPRBlocks: 12
; VGPRBlocks: 46
; NumSGPRsForWavesPerEU: 100
; NumVGPRsForWavesPerEU: 373
; AccumOffset: 256
; Occupancy: 1
; WaveLimiterHint : 0
; COMPUTE_PGM_RSRC2:SCRATCH_EN: 0
; COMPUTE_PGM_RSRC2:USER_SGPR: 6
; COMPUTE_PGM_RSRC2:TRAP_HANDLER: 0
; COMPUTE_PGM_RSRC2:TGID_X_EN: 1
; COMPUTE_PGM_RSRC2:TGID_Y_EN: 0
; COMPUTE_PGM_RSRC2:TGID_Z_EN: 0
; COMPUTE_PGM_RSRC2:TIDIG_COMP_CNT: 2
; COMPUTE_PGM_RSRC3_GFX90A:ACCUM_OFFSET: 63
; COMPUTE_PGM_RSRC3_GFX90A:TG_SPLIT: 0
	.section	.text._Z11rank_kernelIhLj4ELb0EL18RadixRankAlgorithm0ELj256ELj32ELj10EEvPKT_Pi,"axG",@progbits,_Z11rank_kernelIhLj4ELb0EL18RadixRankAlgorithm0ELj256ELj32ELj10EEvPKT_Pi,comdat
	.protected	_Z11rank_kernelIhLj4ELb0EL18RadixRankAlgorithm0ELj256ELj32ELj10EEvPKT_Pi ; -- Begin function _Z11rank_kernelIhLj4ELb0EL18RadixRankAlgorithm0ELj256ELj32ELj10EEvPKT_Pi
	.globl	_Z11rank_kernelIhLj4ELb0EL18RadixRankAlgorithm0ELj256ELj32ELj10EEvPKT_Pi
	.p2align	8
	.type	_Z11rank_kernelIhLj4ELb0EL18RadixRankAlgorithm0ELj256ELj32ELj10EEvPKT_Pi,@function
_Z11rank_kernelIhLj4ELb0EL18RadixRankAlgorithm0ELj256ELj32ELj10EEvPKT_Pi: ; @_Z11rank_kernelIhLj4ELb0EL18RadixRankAlgorithm0ELj256ELj32ELj10EEvPKT_Pi
; %bb.0:
	s_load_dwordx4 s[24:27], s[4:5], 0x0
	s_lshl_b32 s28, s6, 13
	v_lshlrev_b32_e32 v10, 5, v0
	v_mbcnt_lo_u32_b32 v1, -1, 0
	v_mbcnt_hi_u32_b32 v1, -1, v1
	s_waitcnt lgkmcnt(0)
	s_add_u32 s0, s24, s28
	s_addc_u32 s1, s25, 0
	global_load_dwordx4 v[2:5], v10, s[0:1]
	global_load_dwordx4 v[6:9], v10, s[0:1] offset:16
	v_and_b32_e32 v12, 15, v1
	v_cmp_eq_u32_e64 s[0:1], 0, v12
	v_cmp_lt_u32_e64 s[2:3], 1, v12
	v_cmp_lt_u32_e64 s[4:5], 3, v12
	;; [unrolled: 1-line block ×3, first 2 shown]
	v_and_b32_e32 v12, 16, v1
	v_cmp_eq_u32_e64 s[8:9], 0, v12
	v_or_b32_e32 v12, 63, v0
	v_cmp_eq_u32_e64 s[12:13], v12, v0
	v_add_u32_e32 v12, -1, v1
	v_and_b32_e32 v13, 64, v1
	v_cmp_lt_i32_e32 vcc, v12, v13
	v_cndmask_b32_e32 v12, v12, v1, vcc
	s_mov_b32 s29, 0
	v_cmp_lt_u32_e64 s[10:11], 31, v1
	v_lshlrev_b32_e32 v14, 2, v12
	v_cmp_eq_u32_e64 s[18:19], 0, v1
	v_lshrrev_b32_e32 v12, 4, v0
	v_and_b32_e32 v1, 3, v1
	v_mov_b32_e32 v11, 0
	v_cmp_gt_u32_e64 s[14:15], 4, v0
	v_cmp_lt_u32_e64 s[16:17], 63, v0
	v_and_b32_e32 v15, 12, v12
	v_lshlrev_b32_e32 v16, 2, v0
	v_cmp_eq_u32_e64 s[20:21], 0, v1
	v_cmp_lt_u32_e64 s[22:23], 1, v1
	v_or_b32_e32 v1, 0x100, v0
	s_movk_i32 s33, 0x700
	s_mov_b32 s38, s29
	s_branch .LBB72_2
.LBB72_1:                               ;   in Loop: Header=BB72_2 Depth=1
	s_add_i32 s38, s38, 1
	s_cmp_eq_u32 s38, 10
	s_cbranch_scc1 .LBB72_16
.LBB72_2:                               ; =>This Loop Header: Depth=1
                                        ;     Child Loop BB72_4 Depth 2
                                        ;       Child Loop BB72_6 Depth 3
	s_mov_b32 s39, 28
	s_mov_b64 s[24:25], -1
	s_branch .LBB72_4
.LBB72_3:                               ;   in Loop: Header=BB72_4 Depth=2
	s_or_b64 exec, exec, s[30:31]
	s_waitcnt lgkmcnt(0)
	v_add_u32_e32 v79, v80, v79
	ds_bpermute_b32 v79, v14, v79
	ds_read_b32 v82, v11 offset:8204
	s_mov_b32 s39, 24
	s_andn2_b64 vcc, exec, s[24:25]
	s_mov_b64 s[24:25], 0
	s_waitcnt lgkmcnt(1)
	v_cndmask_b32_e64 v79, v79, v80, s[18:19]
	ds_read2_b32 v[80:81], v10 offset1:1
	s_waitcnt lgkmcnt(1)
	v_lshl_add_u32 v79, v82, 16, v79
	ds_read2_b32 v[82:83], v10 offset0:2 offset1:3
	ds_read2_b32 v[84:85], v10 offset0:4 offset1:5
	ds_read_b32 v86, v10 offset:24
	s_waitcnt lgkmcnt(3)
	v_add_u32_e32 v80, v79, v80
	ds_write2_b32 v10, v79, v80 offset1:1
	v_add_u32_e32 v79, v81, v80
	s_waitcnt lgkmcnt(3)
	v_add_u32_e32 v80, v82, v79
	ds_write2_b32 v10, v79, v80 offset0:2 offset1:3
	v_add_u32_e32 v79, v83, v80
	s_waitcnt lgkmcnt(3)
	v_add_u32_e32 v80, v84, v79
	ds_write2_b32 v10, v79, v80 offset0:4 offset1:5
	;; [unrolled: 4-line block ×3, first 2 shown]
	s_waitcnt lgkmcnt(0)
	s_barrier
	s_cbranch_vccz .LBB72_1
.LBB72_4:                               ;   Parent Loop BB72_2 Depth=1
                                        ; =>  This Loop Header: Depth=2
                                        ;       Child Loop BB72_6 Depth 3
	s_xor_b64 s[24:25], s[24:25], -1
	s_mov_b32 s40, 0
	s_mov_b64 s[30:31], 0
	v_pk_mov_b32 v[12:13], v[0:1], v[0:1] op_sel:[0,1]
	s_branch .LBB72_6
.LBB72_5:                               ;   in Loop: Header=BB72_6 Depth=3
	s_or_b64 exec, exec, s[36:37]
	s_add_i32 s40, s40, 2
	v_cmp_eq_u32_e64 s[34:35], 8, s40
	v_add_u32_e32 v13, 0x200, v13
	s_or_b64 s[30:31], s[34:35], s[30:31]
	v_add_u32_e32 v12, 0x200, v12
	s_andn2_b64 exec, exec, s[30:31]
	s_cbranch_execz .LBB72_10
.LBB72_6:                               ;   Parent Loop BB72_2 Depth=1
                                        ;     Parent Loop BB72_4 Depth=2
                                        ; =>    This Inner Loop Header: Depth=3
	s_or_b32 s34, s40, 1
	v_cmp_le_u32_e64 s[34:35], s34, 7
	v_cmp_le_u32_e64 s[42:43], s40, 7
	s_and_saveexec_b64 s[36:37], s[42:43]
	s_cbranch_execz .LBB72_8
; %bb.7:                                ;   in Loop: Header=BB72_6 Depth=3
	v_lshlrev_b32_e32 v17, 2, v12
	ds_write_b32 v17, v11
.LBB72_8:                               ;   in Loop: Header=BB72_6 Depth=3
	s_or_b64 exec, exec, s[36:37]
	s_and_saveexec_b64 s[36:37], s[34:35]
	s_cbranch_execz .LBB72_5
; %bb.9:                                ;   in Loop: Header=BB72_6 Depth=3
	v_lshlrev_b32_e32 v17, 2, v13
	ds_write_b32 v17, v11
	s_branch .LBB72_5
.LBB72_10:                              ;   in Loop: Header=BB72_4 Depth=2
	s_or_b64 exec, exec, s[30:31]
	s_waitcnt vmcnt(1)
	v_lshlrev_b32_sdwa v12, s39, v2 dst_sel:DWORD dst_unused:UNUSED_PAD src0_sel:DWORD src1_sel:BYTE_0
	v_lshrrev_b32_e32 v13, 20, v12
	v_and_or_b32 v13, v13, s33, v0
	v_alignbit_b32 v12, v13, v12, 31
	v_lshlrev_b32_e32 v13, 1, v12
	ds_read_u16 v12, v13
	v_lshlrev_b32_sdwa v17, s39, v2 dst_sel:DWORD dst_unused:UNUSED_PAD src0_sel:DWORD src1_sel:BYTE_1
	v_lshrrev_b32_e32 v18, 20, v17
	v_and_or_b32 v18, v18, s33, v0
	v_alignbit_b32 v17, v18, v17, 31
	s_waitcnt lgkmcnt(0)
	v_add_u16_e32 v18, 1, v12
	ds_write_b16 v13, v18
	v_lshlrev_b32_e32 v19, 1, v17
	ds_read_u16 v17, v19
	v_lshlrev_b32_sdwa v18, s39, v2 dst_sel:DWORD dst_unused:UNUSED_PAD src0_sel:DWORD src1_sel:BYTE_2
	v_lshrrev_b32_e32 v20, 20, v18
	v_and_or_b32 v20, v20, s33, v0
	v_alignbit_b32 v18, v20, v18, 31
	s_waitcnt lgkmcnt(0)
	v_add_u16_e32 v21, 1, v17
	ds_write_b16 v19, v21
	v_lshlrev_b32_e32 v21, 1, v18
	ds_read_u16 v18, v21
	v_lshlrev_b32_sdwa v20, s39, v2 dst_sel:DWORD dst_unused:UNUSED_PAD src0_sel:DWORD src1_sel:BYTE_3
	v_lshrrev_b32_e32 v22, 20, v20
	v_and_or_b32 v22, v22, s33, v0
	v_alignbit_b32 v20, v22, v20, 31
	s_waitcnt lgkmcnt(0)
	v_add_u16_e32 v23, 1, v18
	ds_write_b16 v21, v23
	v_lshlrev_b32_e32 v23, 1, v20
	ds_read_u16 v20, v23
	v_lshlrev_b32_sdwa v22, s39, v3 dst_sel:DWORD dst_unused:UNUSED_PAD src0_sel:DWORD src1_sel:BYTE_0
	s_waitcnt lgkmcnt(0)
	v_add_u16_e32 v24, 1, v20
	ds_write_b16 v23, v24
	v_lshrrev_b32_e32 v24, 20, v22
	v_and_or_b32 v24, v24, s33, v0
	v_alignbit_b32 v22, v24, v22, 31
	v_lshlrev_b32_e32 v26, 1, v22
	ds_read_u16 v22, v26
	s_waitcnt lgkmcnt(0)
	v_add_u16_e32 v24, 1, v22
	ds_write_b16 v26, v24
	v_lshlrev_b32_sdwa v24, s39, v3 dst_sel:DWORD dst_unused:UNUSED_PAD src0_sel:DWORD src1_sel:BYTE_1
	v_lshrrev_b32_e32 v25, 20, v24
	v_and_or_b32 v25, v25, s33, v0
	v_alignbit_b32 v24, v25, v24, 31
	v_lshlrev_b32_e32 v28, 1, v24
	ds_read_u16 v24, v28
	s_waitcnt lgkmcnt(0)
	v_add_u16_e32 v25, 1, v24
	ds_write_b16 v28, v25
	v_lshlrev_b32_sdwa v25, s39, v3 dst_sel:DWORD dst_unused:UNUSED_PAD src0_sel:DWORD src1_sel:BYTE_2
	v_lshrrev_b32_e32 v27, 20, v25
	v_and_or_b32 v27, v27, s33, v0
	v_alignbit_b32 v25, v27, v25, 31
	v_lshlrev_b32_e32 v30, 1, v25
	ds_read_u16 v25, v30
	s_waitcnt lgkmcnt(0)
	v_add_u16_e32 v27, 1, v25
	ds_write_b16 v30, v27
	v_lshlrev_b32_sdwa v27, s39, v3 dst_sel:DWORD dst_unused:UNUSED_PAD src0_sel:DWORD src1_sel:BYTE_3
	v_lshrrev_b32_e32 v29, 20, v27
	v_and_or_b32 v29, v29, s33, v0
	v_alignbit_b32 v27, v29, v27, 31
	v_lshlrev_b32_e32 v34, 1, v27
	ds_read_u16 v27, v34
	s_waitcnt lgkmcnt(0)
	v_add_u16_e32 v29, 1, v27
	ds_write_b16 v34, v29
	v_lshlrev_b32_sdwa v29, s39, v4 dst_sel:DWORD dst_unused:UNUSED_PAD src0_sel:DWORD src1_sel:BYTE_0
	v_lshrrev_b32_e32 v31, 20, v29
	v_and_or_b32 v31, v31, s33, v0
	v_alignbit_b32 v29, v31, v29, 31
	v_lshlrev_b32_e32 v32, 1, v29
	ds_read_u16 v29, v32
	s_waitcnt lgkmcnt(0)
	v_add_u16_e32 v31, 1, v29
	ds_write_b16 v32, v31
	v_lshlrev_b32_sdwa v31, s39, v4 dst_sel:DWORD dst_unused:UNUSED_PAD src0_sel:DWORD src1_sel:BYTE_1
	v_lshrrev_b32_e32 v33, 20, v31
	v_and_or_b32 v33, v33, s33, v0
	v_alignbit_b32 v31, v33, v31, 31
	v_lshlrev_b32_e32 v35, 1, v31
	ds_read_u16 v31, v35
	s_waitcnt lgkmcnt(0)
	v_add_u16_e32 v33, 1, v31
	ds_write_b16 v35, v33
	v_lshlrev_b32_sdwa v33, s39, v4 dst_sel:DWORD dst_unused:UNUSED_PAD src0_sel:DWORD src1_sel:BYTE_2
	v_lshrrev_b32_e32 v36, 20, v33
	v_and_or_b32 v36, v36, s33, v0
	v_alignbit_b32 v33, v36, v33, 31
	v_lshlrev_b32_e32 v37, 1, v33
	ds_read_u16 v33, v37
	s_waitcnt lgkmcnt(0)
	v_add_u16_e32 v36, 1, v33
	ds_write_b16 v37, v36
	v_lshlrev_b32_sdwa v36, s39, v4 dst_sel:DWORD dst_unused:UNUSED_PAD src0_sel:DWORD src1_sel:BYTE_3
	v_lshrrev_b32_e32 v38, 20, v36
	v_and_or_b32 v38, v38, s33, v0
	v_alignbit_b32 v36, v38, v36, 31
	v_lshlrev_b32_e32 v39, 1, v36
	ds_read_u16 v36, v39
	s_waitcnt lgkmcnt(0)
	v_add_u16_e32 v38, 1, v36
	ds_write_b16 v39, v38
	v_lshlrev_b32_sdwa v38, s39, v5 dst_sel:DWORD dst_unused:UNUSED_PAD src0_sel:DWORD src1_sel:BYTE_0
	v_lshrrev_b32_e32 v40, 20, v38
	v_and_or_b32 v40, v40, s33, v0
	v_alignbit_b32 v38, v40, v38, 31
	v_lshlrev_b32_e32 v42, 1, v38
	ds_read_u16 v38, v42
	s_waitcnt lgkmcnt(0)
	v_add_u16_e32 v40, 1, v38
	ds_write_b16 v42, v40
	v_lshlrev_b32_sdwa v40, s39, v5 dst_sel:DWORD dst_unused:UNUSED_PAD src0_sel:DWORD src1_sel:BYTE_1
	v_lshrrev_b32_e32 v41, 20, v40
	v_and_or_b32 v41, v41, s33, v0
	v_alignbit_b32 v40, v41, v40, 31
	v_lshlrev_b32_e32 v44, 1, v40
	ds_read_u16 v40, v44
	s_waitcnt lgkmcnt(0)
	v_add_u16_e32 v41, 1, v40
	ds_write_b16 v44, v41
	v_lshlrev_b32_sdwa v41, s39, v5 dst_sel:DWORD dst_unused:UNUSED_PAD src0_sel:DWORD src1_sel:BYTE_2
	v_lshrrev_b32_e32 v43, 20, v41
	v_and_or_b32 v43, v43, s33, v0
	v_alignbit_b32 v41, v43, v41, 31
	v_lshlrev_b32_e32 v46, 1, v41
	ds_read_u16 v41, v46
	s_waitcnt lgkmcnt(0)
	v_add_u16_e32 v43, 1, v41
	ds_write_b16 v46, v43
	v_lshlrev_b32_sdwa v43, s39, v5 dst_sel:DWORD dst_unused:UNUSED_PAD src0_sel:DWORD src1_sel:BYTE_3
	v_lshrrev_b32_e32 v45, 20, v43
	v_and_or_b32 v45, v45, s33, v0
	v_alignbit_b32 v43, v45, v43, 31
	v_lshlrev_b32_e32 v49, 1, v43
	ds_read_u16 v43, v49
	s_waitcnt lgkmcnt(0)
	v_add_u16_e32 v45, 1, v43
	ds_write_b16 v49, v45
	s_waitcnt vmcnt(0)
	v_lshlrev_b32_sdwa v45, s39, v6 dst_sel:DWORD dst_unused:UNUSED_PAD src0_sel:DWORD src1_sel:BYTE_0
	v_lshrrev_b32_e32 v47, 20, v45
	v_and_or_b32 v47, v47, s33, v0
	v_alignbit_b32 v45, v47, v45, 31
	v_lshlrev_b32_e32 v53, 1, v45
	ds_read_u16 v45, v53
	s_waitcnt lgkmcnt(0)
	v_add_u16_e32 v47, 1, v45
	ds_write_b16 v53, v47
	v_lshlrev_b32_sdwa v47, s39, v6 dst_sel:DWORD dst_unused:UNUSED_PAD src0_sel:DWORD src1_sel:BYTE_1
	v_lshrrev_b32_e32 v48, 20, v47
	v_and_or_b32 v48, v48, s33, v0
	v_alignbit_b32 v47, v48, v47, 31
	v_lshlrev_b32_e32 v55, 1, v47
	ds_read_u16 v47, v55
	s_waitcnt lgkmcnt(0)
	v_add_u16_e32 v48, 1, v47
	ds_write_b16 v55, v48
	v_lshlrev_b32_sdwa v48, s39, v6 dst_sel:DWORD dst_unused:UNUSED_PAD src0_sel:DWORD src1_sel:BYTE_2
	v_lshrrev_b32_e32 v50, 20, v48
	v_and_or_b32 v50, v50, s33, v0
	v_alignbit_b32 v48, v50, v48, 31
	v_lshlrev_b32_e32 v58, 1, v48
	ds_read_u16 v48, v58
	s_waitcnt lgkmcnt(0)
	v_add_u16_e32 v50, 1, v48
	ds_write_b16 v58, v50
	v_lshlrev_b32_sdwa v50, s39, v6 dst_sel:DWORD dst_unused:UNUSED_PAD src0_sel:DWORD src1_sel:BYTE_3
	v_lshrrev_b32_e32 v51, 20, v50
	v_and_or_b32 v51, v51, s33, v0
	v_alignbit_b32 v50, v51, v50, 31
	v_lshlrev_b32_e32 v60, 1, v50
	ds_read_u16 v50, v60
	s_waitcnt lgkmcnt(0)
	v_add_u16_e32 v51, 1, v50
	ds_write_b16 v60, v51
	v_lshlrev_b32_sdwa v51, s39, v7 dst_sel:DWORD dst_unused:UNUSED_PAD src0_sel:DWORD src1_sel:BYTE_0
	v_lshrrev_b32_e32 v52, 20, v51
	v_and_or_b32 v52, v52, s33, v0
	v_alignbit_b32 v51, v52, v51, 31
	v_lshlrev_b32_e32 v62, 1, v51
	ds_read_u16 v51, v62
	s_waitcnt lgkmcnt(0)
	v_add_u16_e32 v52, 1, v51
	ds_write_b16 v62, v52
	v_lshlrev_b32_sdwa v52, s39, v7 dst_sel:DWORD dst_unused:UNUSED_PAD src0_sel:DWORD src1_sel:BYTE_1
	v_lshrrev_b32_e32 v54, 20, v52
	v_and_or_b32 v54, v54, s33, v0
	v_alignbit_b32 v52, v54, v52, 31
	v_lshlrev_b32_e32 v65, 1, v52
	ds_read_u16 v52, v65
	s_waitcnt lgkmcnt(0)
	v_add_u16_e32 v54, 1, v52
	ds_write_b16 v65, v54
	v_lshlrev_b32_sdwa v54, s39, v7 dst_sel:DWORD dst_unused:UNUSED_PAD src0_sel:DWORD src1_sel:BYTE_2
	v_lshrrev_b32_e32 v56, 20, v54
	v_and_or_b32 v56, v56, s33, v0
	v_alignbit_b32 v54, v56, v54, 31
	v_lshlrev_b32_e32 v67, 1, v54
	ds_read_u16 v54, v67
	s_waitcnt lgkmcnt(0)
	v_add_u16_e32 v56, 1, v54
	ds_write_b16 v67, v56
	v_lshlrev_b32_sdwa v56, s39, v7 dst_sel:DWORD dst_unused:UNUSED_PAD src0_sel:DWORD src1_sel:BYTE_3
	v_lshrrev_b32_e32 v57, 20, v56
	v_and_or_b32 v57, v57, s33, v0
	v_alignbit_b32 v56, v57, v56, 31
	v_lshlrev_b32_e32 v69, 1, v56
	ds_read_u16 v56, v69
	s_waitcnt lgkmcnt(0)
	v_add_u16_e32 v57, 1, v56
	ds_write_b16 v69, v57
	v_lshlrev_b32_sdwa v57, s39, v8 dst_sel:DWORD dst_unused:UNUSED_PAD src0_sel:DWORD src1_sel:BYTE_0
	v_lshrrev_b32_e32 v59, 20, v57
	v_and_or_b32 v59, v59, s33, v0
	v_alignbit_b32 v57, v59, v57, 31
	v_lshlrev_b32_e32 v71, 1, v57
	ds_read_u16 v57, v71
	s_waitcnt lgkmcnt(0)
	v_add_u16_e32 v59, 1, v57
	ds_write_b16 v71, v59
	v_lshlrev_b32_sdwa v59, s39, v8 dst_sel:DWORD dst_unused:UNUSED_PAD src0_sel:DWORD src1_sel:BYTE_1
	v_lshrrev_b32_e32 v61, 20, v59
	v_and_or_b32 v61, v61, s33, v0
	v_alignbit_b32 v59, v61, v59, 31
	v_lshlrev_b32_e32 v72, 1, v59
	ds_read_u16 v59, v72
	s_waitcnt lgkmcnt(0)
	v_add_u16_e32 v61, 1, v59
	ds_write_b16 v72, v61
	v_lshlrev_b32_sdwa v61, s39, v8 dst_sel:DWORD dst_unused:UNUSED_PAD src0_sel:DWORD src1_sel:BYTE_2
	v_lshrrev_b32_e32 v63, 20, v61
	v_and_or_b32 v63, v63, s33, v0
	v_alignbit_b32 v61, v63, v61, 31
	v_lshlrev_b32_e32 v73, 1, v61
	ds_read_u16 v61, v73
	s_waitcnt lgkmcnt(0)
	v_add_u16_e32 v63, 1, v61
	ds_write_b16 v73, v63
	v_lshlrev_b32_sdwa v63, s39, v8 dst_sel:DWORD dst_unused:UNUSED_PAD src0_sel:DWORD src1_sel:BYTE_3
	v_lshrrev_b32_e32 v64, 20, v63
	v_and_or_b32 v64, v64, s33, v0
	v_alignbit_b32 v63, v64, v63, 31
	v_lshlrev_b32_e32 v74, 1, v63
	ds_read_u16 v63, v74
	s_waitcnt lgkmcnt(0)
	v_add_u16_e32 v64, 1, v63
	ds_write_b16 v74, v64
	v_lshlrev_b32_sdwa v64, s39, v9 dst_sel:DWORD dst_unused:UNUSED_PAD src0_sel:DWORD src1_sel:BYTE_0
	v_lshrrev_b32_e32 v66, 20, v64
	v_and_or_b32 v66, v66, s33, v0
	v_alignbit_b32 v64, v66, v64, 31
	v_lshlrev_b32_e32 v75, 1, v64
	ds_read_u16 v64, v75
	s_waitcnt lgkmcnt(0)
	v_add_u16_e32 v66, 1, v64
	ds_write_b16 v75, v66
	v_lshlrev_b32_sdwa v66, s39, v9 dst_sel:DWORD dst_unused:UNUSED_PAD src0_sel:DWORD src1_sel:BYTE_1
	v_lshrrev_b32_e32 v68, 20, v66
	v_and_or_b32 v68, v68, s33, v0
	v_alignbit_b32 v66, v68, v66, 31
	v_lshlrev_b32_e32 v76, 1, v66
	ds_read_u16 v66, v76
	s_waitcnt lgkmcnt(0)
	v_add_u16_e32 v68, 1, v66
	ds_write_b16 v76, v68
	v_lshlrev_b32_sdwa v68, s39, v9 dst_sel:DWORD dst_unused:UNUSED_PAD src0_sel:DWORD src1_sel:BYTE_2
	v_lshrrev_b32_e32 v70, 20, v68
	v_and_or_b32 v70, v70, s33, v0
	v_alignbit_b32 v68, v70, v68, 31
	v_lshlrev_b32_e32 v77, 1, v68
	ds_read_u16 v68, v77
	s_waitcnt lgkmcnt(0)
	v_add_u16_e32 v70, 1, v68
	ds_write_b16 v77, v70
	v_lshlrev_b32_sdwa v70, s39, v9 dst_sel:DWORD dst_unused:UNUSED_PAD src0_sel:DWORD src1_sel:BYTE_3
	v_lshrrev_b32_e32 v78, 20, v70
	v_and_or_b32 v78, v78, s33, v0
	v_alignbit_b32 v70, v78, v70, 31
	v_lshlrev_b32_e32 v78, 1, v70
	ds_read_u16 v70, v78
	s_waitcnt lgkmcnt(0)
	v_add_u16_e32 v79, 1, v70
	ds_write_b16 v78, v79
	s_waitcnt lgkmcnt(0)
	s_barrier
	ds_read2_b32 v[80:81], v10 offset1:1
	ds_read2_b32 v[82:83], v10 offset0:2 offset1:3
	ds_read2_b32 v[84:85], v10 offset0:4 offset1:5
	;; [unrolled: 1-line block ×3, first 2 shown]
	s_waitcnt lgkmcnt(3)
	v_add_u32_e32 v79, v81, v80
	s_waitcnt lgkmcnt(2)
	v_add3_u32 v79, v79, v82, v83
	s_waitcnt lgkmcnt(1)
	v_add3_u32 v79, v79, v84, v85
	;; [unrolled: 2-line block ×3, first 2 shown]
	s_nop 1
	v_mov_b32_dpp v80, v79 row_shr:1 row_mask:0xf bank_mask:0xf
	v_cndmask_b32_e64 v80, v80, 0, s[0:1]
	v_add_u32_e32 v79, v80, v79
	s_nop 1
	v_mov_b32_dpp v80, v79 row_shr:2 row_mask:0xf bank_mask:0xf
	v_cndmask_b32_e64 v80, 0, v80, s[2:3]
	v_add_u32_e32 v79, v79, v80
	s_nop 1
	v_mov_b32_dpp v80, v79 row_shr:4 row_mask:0xf bank_mask:0xf
	v_cndmask_b32_e64 v80, 0, v80, s[4:5]
	v_add_u32_e32 v79, v79, v80
	s_nop 1
	v_mov_b32_dpp v80, v79 row_shr:8 row_mask:0xf bank_mask:0xf
	v_cndmask_b32_e64 v80, 0, v80, s[6:7]
	v_add_u32_e32 v79, v79, v80
	s_nop 1
	v_mov_b32_dpp v80, v79 row_bcast:15 row_mask:0xf bank_mask:0xf
	v_cndmask_b32_e64 v80, v80, 0, s[8:9]
	v_add_u32_e32 v79, v79, v80
	s_nop 1
	v_mov_b32_dpp v80, v79 row_bcast:31 row_mask:0xf bank_mask:0xf
	v_cndmask_b32_e64 v80, 0, v80, s[10:11]
	v_add_u32_e32 v79, v79, v80
	s_and_saveexec_b64 s[30:31], s[12:13]
	s_cbranch_execz .LBB72_12
; %bb.11:                               ;   in Loop: Header=BB72_4 Depth=2
	ds_write_b32 v15, v79 offset:8192
.LBB72_12:                              ;   in Loop: Header=BB72_4 Depth=2
	s_or_b64 exec, exec, s[30:31]
	s_waitcnt lgkmcnt(0)
	s_barrier
	s_and_saveexec_b64 s[30:31], s[14:15]
	s_cbranch_execz .LBB72_14
; %bb.13:                               ;   in Loop: Header=BB72_4 Depth=2
	ds_read_b32 v80, v16 offset:8192
	s_waitcnt lgkmcnt(0)
	s_nop 0
	v_mov_b32_dpp v81, v80 row_shr:1 row_mask:0xf bank_mask:0xf
	v_cndmask_b32_e64 v81, v81, 0, s[20:21]
	v_add_u32_e32 v80, v81, v80
	s_nop 1
	v_mov_b32_dpp v81, v80 row_shr:2 row_mask:0xf bank_mask:0xf
	v_cndmask_b32_e64 v81, 0, v81, s[22:23]
	v_add_u32_e32 v80, v80, v81
	ds_write_b32 v16, v80 offset:8192
.LBB72_14:                              ;   in Loop: Header=BB72_4 Depth=2
	s_or_b64 exec, exec, s[30:31]
	v_mov_b32_e32 v80, 0
	s_waitcnt lgkmcnt(0)
	s_barrier
	s_and_saveexec_b64 s[30:31], s[16:17]
	s_cbranch_execz .LBB72_3
; %bb.15:                               ;   in Loop: Header=BB72_4 Depth=2
	ds_read_b32 v80, v15 offset:8188
	s_branch .LBB72_3
.LBB72_16:
	ds_read_u16 v8, v78
	ds_read_u16 v9, v77
	;; [unrolled: 1-line block ×32, first 2 shown]
	s_lshl_b64 s[0:1], s[28:29], 2
	s_add_u32 s0, s26, s0
	s_waitcnt lgkmcnt(8)
	v_add_u32_sdwa v0, v0, v12 dst_sel:DWORD dst_unused:UNUSED_PAD src0_sel:DWORD src1_sel:WORD_0
	v_add_u32_sdwa v1, v1, v17 dst_sel:DWORD dst_unused:UNUSED_PAD src0_sel:DWORD src1_sel:WORD_0
	;; [unrolled: 1-line block ×5, first 2 shown]
	s_addc_u32 s1, s27, s1
	v_lshlrev_b32_e32 v8, 2, v10
	v_add_u32_sdwa v4, v4, v22 dst_sel:DWORD dst_unused:UNUSED_PAD src0_sel:DWORD src1_sel:WORD_0
	v_add_u32_sdwa v5, v5, v24 dst_sel:DWORD dst_unused:UNUSED_PAD src0_sel:DWORD src1_sel:WORD_0
	;; [unrolled: 1-line block ×4, first 2 shown]
	s_waitcnt lgkmcnt(0)
	v_add_u32_sdwa v12, v26, v29 dst_sel:DWORD dst_unused:UNUSED_PAD src0_sel:DWORD src1_sel:WORD_0
	v_add_u32_sdwa v13, v13, v31 dst_sel:DWORD dst_unused:UNUSED_PAD src0_sel:DWORD src1_sel:WORD_0
	;; [unrolled: 1-line block ×23, first 2 shown]
	global_store_dwordx4 v8, v[0:3], s[0:1]
	global_store_dwordx4 v8, v[4:7], s[0:1] offset:16
	global_store_dwordx4 v8, v[12:15], s[0:1] offset:32
	;; [unrolled: 1-line block ×7, first 2 shown]
	s_endpgm
	.section	.rodata,"a",@progbits
	.p2align	6, 0x0
	.amdhsa_kernel _Z11rank_kernelIhLj4ELb0EL18RadixRankAlgorithm0ELj256ELj32ELj10EEvPKT_Pi
		.amdhsa_group_segment_fixed_size 8208
		.amdhsa_private_segment_fixed_size 0
		.amdhsa_kernarg_size 16
		.amdhsa_user_sgpr_count 6
		.amdhsa_user_sgpr_private_segment_buffer 1
		.amdhsa_user_sgpr_dispatch_ptr 0
		.amdhsa_user_sgpr_queue_ptr 0
		.amdhsa_user_sgpr_kernarg_segment_ptr 1
		.amdhsa_user_sgpr_dispatch_id 0
		.amdhsa_user_sgpr_flat_scratch_init 0
		.amdhsa_user_sgpr_kernarg_preload_length 0
		.amdhsa_user_sgpr_kernarg_preload_offset 0
		.amdhsa_user_sgpr_private_segment_size 0
		.amdhsa_uses_dynamic_stack 0
		.amdhsa_system_sgpr_private_segment_wavefront_offset 0
		.amdhsa_system_sgpr_workgroup_id_x 1
		.amdhsa_system_sgpr_workgroup_id_y 0
		.amdhsa_system_sgpr_workgroup_id_z 0
		.amdhsa_system_sgpr_workgroup_info 0
		.amdhsa_system_vgpr_workitem_id 0
		.amdhsa_next_free_vgpr 88
		.amdhsa_next_free_sgpr 44
		.amdhsa_accum_offset 88
		.amdhsa_reserve_vcc 1
		.amdhsa_reserve_flat_scratch 0
		.amdhsa_float_round_mode_32 0
		.amdhsa_float_round_mode_16_64 0
		.amdhsa_float_denorm_mode_32 3
		.amdhsa_float_denorm_mode_16_64 3
		.amdhsa_dx10_clamp 1
		.amdhsa_ieee_mode 1
		.amdhsa_fp16_overflow 0
		.amdhsa_tg_split 0
		.amdhsa_exception_fp_ieee_invalid_op 0
		.amdhsa_exception_fp_denorm_src 0
		.amdhsa_exception_fp_ieee_div_zero 0
		.amdhsa_exception_fp_ieee_overflow 0
		.amdhsa_exception_fp_ieee_underflow 0
		.amdhsa_exception_fp_ieee_inexact 0
		.amdhsa_exception_int_div_zero 0
	.end_amdhsa_kernel
	.section	.text._Z11rank_kernelIhLj4ELb0EL18RadixRankAlgorithm0ELj256ELj32ELj10EEvPKT_Pi,"axG",@progbits,_Z11rank_kernelIhLj4ELb0EL18RadixRankAlgorithm0ELj256ELj32ELj10EEvPKT_Pi,comdat
.Lfunc_end72:
	.size	_Z11rank_kernelIhLj4ELb0EL18RadixRankAlgorithm0ELj256ELj32ELj10EEvPKT_Pi, .Lfunc_end72-_Z11rank_kernelIhLj4ELb0EL18RadixRankAlgorithm0ELj256ELj32ELj10EEvPKT_Pi
                                        ; -- End function
	.section	.AMDGPU.csdata,"",@progbits
; Kernel info:
; codeLenInByte = 3352
; NumSgprs: 48
; NumVgprs: 88
; NumAgprs: 0
; TotalNumVgprs: 88
; ScratchSize: 0
; MemoryBound: 0
; FloatMode: 240
; IeeeMode: 1
; LDSByteSize: 8208 bytes/workgroup (compile time only)
; SGPRBlocks: 5
; VGPRBlocks: 10
; NumSGPRsForWavesPerEU: 48
; NumVGPRsForWavesPerEU: 88
; AccumOffset: 88
; Occupancy: 5
; WaveLimiterHint : 0
; COMPUTE_PGM_RSRC2:SCRATCH_EN: 0
; COMPUTE_PGM_RSRC2:USER_SGPR: 6
; COMPUTE_PGM_RSRC2:TRAP_HANDLER: 0
; COMPUTE_PGM_RSRC2:TGID_X_EN: 1
; COMPUTE_PGM_RSRC2:TGID_Y_EN: 0
; COMPUTE_PGM_RSRC2:TGID_Z_EN: 0
; COMPUTE_PGM_RSRC2:TIDIG_COMP_CNT: 0
; COMPUTE_PGM_RSRC3_GFX90A:ACCUM_OFFSET: 21
; COMPUTE_PGM_RSRC3_GFX90A:TG_SPLIT: 0
	.section	.text._Z11rank_kernelIhLj4ELb0EL18RadixRankAlgorithm1ELj256ELj32ELj10EEvPKT_Pi,"axG",@progbits,_Z11rank_kernelIhLj4ELb0EL18RadixRankAlgorithm1ELj256ELj32ELj10EEvPKT_Pi,comdat
	.protected	_Z11rank_kernelIhLj4ELb0EL18RadixRankAlgorithm1ELj256ELj32ELj10EEvPKT_Pi ; -- Begin function _Z11rank_kernelIhLj4ELb0EL18RadixRankAlgorithm1ELj256ELj32ELj10EEvPKT_Pi
	.globl	_Z11rank_kernelIhLj4ELb0EL18RadixRankAlgorithm1ELj256ELj32ELj10EEvPKT_Pi
	.p2align	8
	.type	_Z11rank_kernelIhLj4ELb0EL18RadixRankAlgorithm1ELj256ELj32ELj10EEvPKT_Pi,@function
_Z11rank_kernelIhLj4ELb0EL18RadixRankAlgorithm1ELj256ELj32ELj10EEvPKT_Pi: ; @_Z11rank_kernelIhLj4ELb0EL18RadixRankAlgorithm1ELj256ELj32ELj10EEvPKT_Pi
; %bb.0:
	s_load_dwordx4 s[24:27], s[4:5], 0x0
	s_lshl_b32 s28, s6, 13
	v_lshlrev_b32_e32 v10, 5, v0
	v_mbcnt_lo_u32_b32 v1, -1, 0
	v_mbcnt_hi_u32_b32 v1, -1, v1
	s_waitcnt lgkmcnt(0)
	s_add_u32 s0, s24, s28
	s_addc_u32 s1, s25, 0
	global_load_dwordx4 v[2:5], v10, s[0:1]
	global_load_dwordx4 v[6:9], v10, s[0:1] offset:16
	v_and_b32_e32 v12, 15, v1
	v_cmp_eq_u32_e64 s[0:1], 0, v12
	v_cmp_lt_u32_e64 s[2:3], 1, v12
	v_cmp_lt_u32_e64 s[4:5], 3, v12
	;; [unrolled: 1-line block ×3, first 2 shown]
	v_and_b32_e32 v12, 16, v1
	v_cmp_eq_u32_e64 s[8:9], 0, v12
	v_or_b32_e32 v12, 63, v0
	v_cmp_eq_u32_e64 s[12:13], v12, v0
	v_add_u32_e32 v12, -1, v1
	v_and_b32_e32 v13, 64, v1
	v_cmp_lt_i32_e32 vcc, v12, v13
	v_cndmask_b32_e32 v12, v12, v1, vcc
	s_mov_b32 s29, 0
	v_cmp_lt_u32_e64 s[10:11], 31, v1
	v_lshlrev_b32_e32 v20, 2, v12
	v_cmp_eq_u32_e64 s[18:19], 0, v1
	v_lshrrev_b32_e32 v12, 4, v0
	v_and_b32_e32 v1, 3, v1
	v_mov_b32_e32 v11, 0
	v_cmp_gt_u32_e64 s[14:15], 4, v0
	v_cmp_lt_u32_e64 s[16:17], 63, v0
	v_and_b32_e32 v21, 12, v12
	v_lshlrev_b32_e32 v22, 2, v0
	v_cmp_eq_u32_e64 s[20:21], 0, v1
	v_cmp_lt_u32_e64 s[22:23], 1, v1
	v_or_b32_e32 v1, 0x100, v0
	s_movk_i32 s33, 0x700
	s_mov_b32 s38, s29
	s_branch .LBB73_2
.LBB73_1:                               ;   in Loop: Header=BB73_2 Depth=1
	s_add_i32 s38, s38, 1
	s_cmp_eq_u32 s38, 10
	s_cbranch_scc1 .LBB73_16
.LBB73_2:                               ; =>This Loop Header: Depth=1
                                        ;     Child Loop BB73_4 Depth 2
                                        ;       Child Loop BB73_6 Depth 3
	s_mov_b32 s39, 28
	s_mov_b64 s[24:25], -1
	s_branch .LBB73_4
.LBB73_3:                               ;   in Loop: Header=BB73_4 Depth=2
	s_or_b64 exec, exec, s[30:31]
	s_waitcnt lgkmcnt(0)
	v_add_u32_e32 v15, v87, v15
	ds_bpermute_b32 v15, v20, v15
	ds_read_b32 v88, v11 offset:8204
	s_mov_b32 s39, 24
	s_andn2_b64 vcc, exec, s[24:25]
	s_mov_b64 s[24:25], 0
	s_waitcnt lgkmcnt(1)
	v_cndmask_b32_e64 v15, v15, v87, s[18:19]
	s_waitcnt lgkmcnt(0)
	v_lshl_add_u32 v15, v88, 16, v15
	v_add_u32_e32 v18, v15, v18
	v_add_u32_e32 v19, v18, v19
	ds_write2_b32 v10, v15, v18 offset1:1
	v_add_u32_e32 v15, v19, v16
	v_add_u32_e32 v16, v15, v17
	;; [unrolled: 1-line block ×4, first 2 shown]
	ds_write2_b32 v10, v16, v12 offset0:4 offset1:5
	v_add_u32_e32 v12, v13, v14
	ds_write2_b32 v10, v19, v15 offset0:2 offset1:3
	ds_write2_b32 v10, v13, v12 offset0:6 offset1:7
	s_waitcnt lgkmcnt(0)
	s_barrier
	s_cbranch_vccz .LBB73_1
.LBB73_4:                               ;   Parent Loop BB73_2 Depth=1
                                        ; =>  This Loop Header: Depth=2
                                        ;       Child Loop BB73_6 Depth 3
	s_xor_b64 s[24:25], s[24:25], -1
	s_mov_b32 s40, 0
	s_mov_b64 s[30:31], 0
	v_pk_mov_b32 v[12:13], v[0:1], v[0:1] op_sel:[0,1]
	s_branch .LBB73_6
.LBB73_5:                               ;   in Loop: Header=BB73_6 Depth=3
	s_or_b64 exec, exec, s[36:37]
	s_add_i32 s40, s40, 2
	v_cmp_eq_u32_e64 s[34:35], 8, s40
	v_add_u32_e32 v13, 0x200, v13
	s_or_b64 s[30:31], s[34:35], s[30:31]
	v_add_u32_e32 v12, 0x200, v12
	s_andn2_b64 exec, exec, s[30:31]
	s_cbranch_execz .LBB73_10
.LBB73_6:                               ;   Parent Loop BB73_2 Depth=1
                                        ;     Parent Loop BB73_4 Depth=2
                                        ; =>    This Inner Loop Header: Depth=3
	s_or_b32 s34, s40, 1
	v_cmp_le_u32_e64 s[34:35], s34, 7
	v_cmp_le_u32_e64 s[42:43], s40, 7
	s_and_saveexec_b64 s[36:37], s[42:43]
	s_cbranch_execz .LBB73_8
; %bb.7:                                ;   in Loop: Header=BB73_6 Depth=3
	v_lshlrev_b32_e32 v14, 2, v12
	ds_write_b32 v14, v11
.LBB73_8:                               ;   in Loop: Header=BB73_6 Depth=3
	s_or_b64 exec, exec, s[36:37]
	s_and_saveexec_b64 s[36:37], s[34:35]
	s_cbranch_execz .LBB73_5
; %bb.9:                                ;   in Loop: Header=BB73_6 Depth=3
	v_lshlrev_b32_e32 v14, 2, v13
	ds_write_b32 v14, v11
	s_branch .LBB73_5
.LBB73_10:                              ;   in Loop: Header=BB73_4 Depth=2
	s_or_b64 exec, exec, s[30:31]
	s_waitcnt vmcnt(1)
	v_lshlrev_b32_sdwa v12, s39, v2 dst_sel:DWORD dst_unused:UNUSED_PAD src0_sel:DWORD src1_sel:BYTE_0
	v_lshrrev_b32_e32 v13, 20, v12
	v_and_or_b32 v13, v13, s33, v0
	v_alignbit_b32 v12, v13, v12, 31
	v_lshlrev_b32_e32 v24, 1, v12
	ds_read_u16 v23, v24
	v_lshlrev_b32_sdwa v12, s39, v2 dst_sel:DWORD dst_unused:UNUSED_PAD src0_sel:DWORD src1_sel:BYTE_1
	v_lshrrev_b32_e32 v13, 20, v12
	v_and_or_b32 v13, v13, s33, v0
	v_alignbit_b32 v12, v13, v12, 31
	s_waitcnt lgkmcnt(0)
	v_add_u16_e32 v13, 1, v23
	ds_write_b16 v24, v13
	v_lshlrev_b32_e32 v27, 1, v12
	ds_read_u16 v25, v27
	v_lshlrev_b32_sdwa v12, s39, v2 dst_sel:DWORD dst_unused:UNUSED_PAD src0_sel:DWORD src1_sel:BYTE_2
	v_lshrrev_b32_e32 v13, 20, v12
	v_and_or_b32 v13, v13, s33, v0
	v_alignbit_b32 v12, v13, v12, 31
	s_waitcnt lgkmcnt(0)
	v_add_u16_e32 v14, 1, v25
	ds_write_b16 v27, v14
	v_lshlrev_b32_e32 v29, 1, v12
	ds_read_u16 v26, v29
	v_lshlrev_b32_sdwa v12, s39, v2 dst_sel:DWORD dst_unused:UNUSED_PAD src0_sel:DWORD src1_sel:BYTE_3
	v_lshrrev_b32_e32 v13, 20, v12
	v_and_or_b32 v13, v13, s33, v0
	v_alignbit_b32 v12, v13, v12, 31
	s_waitcnt lgkmcnt(0)
	v_add_u16_e32 v14, 1, v26
	ds_write_b16 v29, v14
	v_lshlrev_b32_e32 v31, 1, v12
	ds_read_u16 v28, v31
	v_lshlrev_b32_sdwa v12, s39, v3 dst_sel:DWORD dst_unused:UNUSED_PAD src0_sel:DWORD src1_sel:BYTE_0
	s_waitcnt lgkmcnt(0)
	v_add_u16_e32 v13, 1, v28
	ds_write_b16 v31, v13
	v_lshrrev_b32_e32 v13, 20, v12
	v_and_or_b32 v13, v13, s33, v0
	v_alignbit_b32 v12, v13, v12, 31
	v_lshlrev_b32_e32 v34, 1, v12
	ds_read_u16 v30, v34
	s_waitcnt lgkmcnt(0)
	v_add_u16_e32 v12, 1, v30
	ds_write_b16 v34, v12
	v_lshlrev_b32_sdwa v12, s39, v3 dst_sel:DWORD dst_unused:UNUSED_PAD src0_sel:DWORD src1_sel:BYTE_1
	v_lshrrev_b32_e32 v13, 20, v12
	v_and_or_b32 v13, v13, s33, v0
	v_alignbit_b32 v12, v13, v12, 31
	v_lshlrev_b32_e32 v36, 1, v12
	ds_read_u16 v32, v36
	s_waitcnt lgkmcnt(0)
	v_add_u16_e32 v12, 1, v32
	ds_write_b16 v36, v12
	v_lshlrev_b32_sdwa v12, s39, v3 dst_sel:DWORD dst_unused:UNUSED_PAD src0_sel:DWORD src1_sel:BYTE_2
	v_lshrrev_b32_e32 v13, 20, v12
	v_and_or_b32 v13, v13, s33, v0
	v_alignbit_b32 v12, v13, v12, 31
	v_lshlrev_b32_e32 v38, 1, v12
	ds_read_u16 v33, v38
	s_waitcnt lgkmcnt(0)
	v_add_u16_e32 v12, 1, v33
	ds_write_b16 v38, v12
	v_lshlrev_b32_sdwa v12, s39, v3 dst_sel:DWORD dst_unused:UNUSED_PAD src0_sel:DWORD src1_sel:BYTE_3
	v_lshrrev_b32_e32 v13, 20, v12
	v_and_or_b32 v13, v13, s33, v0
	v_alignbit_b32 v12, v13, v12, 31
	v_lshlrev_b32_e32 v42, 1, v12
	ds_read_u16 v35, v42
	s_waitcnt lgkmcnt(0)
	v_add_u16_e32 v12, 1, v35
	ds_write_b16 v42, v12
	v_lshlrev_b32_sdwa v12, s39, v4 dst_sel:DWORD dst_unused:UNUSED_PAD src0_sel:DWORD src1_sel:BYTE_0
	v_lshrrev_b32_e32 v13, 20, v12
	v_and_or_b32 v13, v13, s33, v0
	v_alignbit_b32 v12, v13, v12, 31
	v_lshlrev_b32_e32 v40, 1, v12
	ds_read_u16 v37, v40
	s_waitcnt lgkmcnt(0)
	v_add_u16_e32 v12, 1, v37
	ds_write_b16 v40, v12
	v_lshlrev_b32_sdwa v12, s39, v4 dst_sel:DWORD dst_unused:UNUSED_PAD src0_sel:DWORD src1_sel:BYTE_1
	v_lshrrev_b32_e32 v13, 20, v12
	v_and_or_b32 v13, v13, s33, v0
	v_alignbit_b32 v12, v13, v12, 31
	v_lshlrev_b32_e32 v43, 1, v12
	ds_read_u16 v39, v43
	s_waitcnt lgkmcnt(0)
	v_add_u16_e32 v12, 1, v39
	ds_write_b16 v43, v12
	v_lshlrev_b32_sdwa v12, s39, v4 dst_sel:DWORD dst_unused:UNUSED_PAD src0_sel:DWORD src1_sel:BYTE_2
	v_lshrrev_b32_e32 v13, 20, v12
	v_and_or_b32 v13, v13, s33, v0
	v_alignbit_b32 v12, v13, v12, 31
	v_lshlrev_b32_e32 v45, 1, v12
	ds_read_u16 v41, v45
	s_waitcnt lgkmcnt(0)
	v_add_u16_e32 v12, 1, v41
	ds_write_b16 v45, v12
	v_lshlrev_b32_sdwa v12, s39, v4 dst_sel:DWORD dst_unused:UNUSED_PAD src0_sel:DWORD src1_sel:BYTE_3
	v_lshrrev_b32_e32 v13, 20, v12
	v_and_or_b32 v13, v13, s33, v0
	v_alignbit_b32 v12, v13, v12, 31
	v_lshlrev_b32_e32 v47, 1, v12
	ds_read_u16 v44, v47
	s_waitcnt lgkmcnt(0)
	v_add_u16_e32 v12, 1, v44
	ds_write_b16 v47, v12
	v_lshlrev_b32_sdwa v12, s39, v5 dst_sel:DWORD dst_unused:UNUSED_PAD src0_sel:DWORD src1_sel:BYTE_0
	v_lshrrev_b32_e32 v13, 20, v12
	v_and_or_b32 v13, v13, s33, v0
	v_alignbit_b32 v12, v13, v12, 31
	v_lshlrev_b32_e32 v50, 1, v12
	ds_read_u16 v46, v50
	s_waitcnt lgkmcnt(0)
	v_add_u16_e32 v12, 1, v46
	ds_write_b16 v50, v12
	v_lshlrev_b32_sdwa v12, s39, v5 dst_sel:DWORD dst_unused:UNUSED_PAD src0_sel:DWORD src1_sel:BYTE_1
	v_lshrrev_b32_e32 v13, 20, v12
	v_and_or_b32 v13, v13, s33, v0
	v_alignbit_b32 v12, v13, v12, 31
	v_lshlrev_b32_e32 v52, 1, v12
	ds_read_u16 v48, v52
	s_waitcnt lgkmcnt(0)
	v_add_u16_e32 v12, 1, v48
	ds_write_b16 v52, v12
	v_lshlrev_b32_sdwa v12, s39, v5 dst_sel:DWORD dst_unused:UNUSED_PAD src0_sel:DWORD src1_sel:BYTE_2
	v_lshrrev_b32_e32 v13, 20, v12
	v_and_or_b32 v13, v13, s33, v0
	v_alignbit_b32 v12, v13, v12, 31
	v_lshlrev_b32_e32 v54, 1, v12
	ds_read_u16 v49, v54
	s_waitcnt lgkmcnt(0)
	v_add_u16_e32 v12, 1, v49
	ds_write_b16 v54, v12
	v_lshlrev_b32_sdwa v12, s39, v5 dst_sel:DWORD dst_unused:UNUSED_PAD src0_sel:DWORD src1_sel:BYTE_3
	v_lshrrev_b32_e32 v13, 20, v12
	v_and_or_b32 v13, v13, s33, v0
	v_alignbit_b32 v12, v13, v12, 31
	v_lshlrev_b32_e32 v57, 1, v12
	ds_read_u16 v51, v57
	s_waitcnt lgkmcnt(0)
	v_add_u16_e32 v12, 1, v51
	ds_write_b16 v57, v12
	s_waitcnt vmcnt(0)
	v_lshlrev_b32_sdwa v12, s39, v6 dst_sel:DWORD dst_unused:UNUSED_PAD src0_sel:DWORD src1_sel:BYTE_0
	v_lshrrev_b32_e32 v13, 20, v12
	v_and_or_b32 v13, v13, s33, v0
	v_alignbit_b32 v12, v13, v12, 31
	v_lshlrev_b32_e32 v61, 1, v12
	ds_read_u16 v53, v61
	s_waitcnt lgkmcnt(0)
	v_add_u16_e32 v12, 1, v53
	ds_write_b16 v61, v12
	v_lshlrev_b32_sdwa v12, s39, v6 dst_sel:DWORD dst_unused:UNUSED_PAD src0_sel:DWORD src1_sel:BYTE_1
	v_lshrrev_b32_e32 v13, 20, v12
	v_and_or_b32 v13, v13, s33, v0
	v_alignbit_b32 v12, v13, v12, 31
	v_lshlrev_b32_e32 v63, 1, v12
	ds_read_u16 v55, v63
	s_waitcnt lgkmcnt(0)
	v_add_u16_e32 v12, 1, v55
	ds_write_b16 v63, v12
	v_lshlrev_b32_sdwa v12, s39, v6 dst_sel:DWORD dst_unused:UNUSED_PAD src0_sel:DWORD src1_sel:BYTE_2
	v_lshrrev_b32_e32 v13, 20, v12
	v_and_or_b32 v13, v13, s33, v0
	v_alignbit_b32 v12, v13, v12, 31
	v_lshlrev_b32_e32 v66, 1, v12
	ds_read_u16 v56, v66
	s_waitcnt lgkmcnt(0)
	v_add_u16_e32 v12, 1, v56
	ds_write_b16 v66, v12
	v_lshlrev_b32_sdwa v12, s39, v6 dst_sel:DWORD dst_unused:UNUSED_PAD src0_sel:DWORD src1_sel:BYTE_3
	v_lshrrev_b32_e32 v13, 20, v12
	v_and_or_b32 v13, v13, s33, v0
	v_alignbit_b32 v12, v13, v12, 31
	v_lshlrev_b32_e32 v68, 1, v12
	ds_read_u16 v58, v68
	s_waitcnt lgkmcnt(0)
	v_add_u16_e32 v12, 1, v58
	ds_write_b16 v68, v12
	v_lshlrev_b32_sdwa v12, s39, v7 dst_sel:DWORD dst_unused:UNUSED_PAD src0_sel:DWORD src1_sel:BYTE_0
	v_lshrrev_b32_e32 v13, 20, v12
	v_and_or_b32 v13, v13, s33, v0
	v_alignbit_b32 v12, v13, v12, 31
	v_lshlrev_b32_e32 v70, 1, v12
	ds_read_u16 v59, v70
	s_waitcnt lgkmcnt(0)
	v_add_u16_e32 v12, 1, v59
	ds_write_b16 v70, v12
	v_lshlrev_b32_sdwa v12, s39, v7 dst_sel:DWORD dst_unused:UNUSED_PAD src0_sel:DWORD src1_sel:BYTE_1
	v_lshrrev_b32_e32 v13, 20, v12
	v_and_or_b32 v13, v13, s33, v0
	v_alignbit_b32 v12, v13, v12, 31
	v_lshlrev_b32_e32 v73, 1, v12
	ds_read_u16 v60, v73
	s_waitcnt lgkmcnt(0)
	v_add_u16_e32 v12, 1, v60
	ds_write_b16 v73, v12
	v_lshlrev_b32_sdwa v12, s39, v7 dst_sel:DWORD dst_unused:UNUSED_PAD src0_sel:DWORD src1_sel:BYTE_2
	v_lshrrev_b32_e32 v13, 20, v12
	v_and_or_b32 v13, v13, s33, v0
	v_alignbit_b32 v12, v13, v12, 31
	v_lshlrev_b32_e32 v75, 1, v12
	ds_read_u16 v62, v75
	s_waitcnt lgkmcnt(0)
	v_add_u16_e32 v12, 1, v62
	ds_write_b16 v75, v12
	v_lshlrev_b32_sdwa v12, s39, v7 dst_sel:DWORD dst_unused:UNUSED_PAD src0_sel:DWORD src1_sel:BYTE_3
	v_lshrrev_b32_e32 v13, 20, v12
	v_and_or_b32 v13, v13, s33, v0
	v_alignbit_b32 v12, v13, v12, 31
	v_lshlrev_b32_e32 v77, 1, v12
	ds_read_u16 v64, v77
	s_waitcnt lgkmcnt(0)
	v_add_u16_e32 v12, 1, v64
	ds_write_b16 v77, v12
	;; [unrolled: 36-line block ×4, first 2 shown]
	s_waitcnt lgkmcnt(0)
	s_barrier
	ds_read2_b32 v[18:19], v10 offset1:1
	ds_read2_b32 v[16:17], v10 offset0:2 offset1:3
	ds_read2_b32 v[12:13], v10 offset0:4 offset1:5
	ds_read2_b32 v[14:15], v10 offset0:6 offset1:7
	s_waitcnt lgkmcnt(3)
	v_add_u32_e32 v87, v19, v18
	s_waitcnt lgkmcnt(2)
	v_add3_u32 v87, v87, v16, v17
	s_waitcnt lgkmcnt(1)
	v_add3_u32 v87, v87, v12, v13
	;; [unrolled: 2-line block ×3, first 2 shown]
	s_nop 1
	v_mov_b32_dpp v87, v15 row_shr:1 row_mask:0xf bank_mask:0xf
	v_cndmask_b32_e64 v87, v87, 0, s[0:1]
	v_add_u32_e32 v15, v87, v15
	s_nop 1
	v_mov_b32_dpp v87, v15 row_shr:2 row_mask:0xf bank_mask:0xf
	v_cndmask_b32_e64 v87, 0, v87, s[2:3]
	v_add_u32_e32 v15, v15, v87
	;; [unrolled: 4-line block ×4, first 2 shown]
	s_nop 1
	v_mov_b32_dpp v87, v15 row_bcast:15 row_mask:0xf bank_mask:0xf
	v_cndmask_b32_e64 v87, v87, 0, s[8:9]
	v_add_u32_e32 v15, v15, v87
	s_nop 1
	v_mov_b32_dpp v87, v15 row_bcast:31 row_mask:0xf bank_mask:0xf
	v_cndmask_b32_e64 v87, 0, v87, s[10:11]
	v_add_u32_e32 v15, v15, v87
	s_and_saveexec_b64 s[30:31], s[12:13]
	s_cbranch_execz .LBB73_12
; %bb.11:                               ;   in Loop: Header=BB73_4 Depth=2
	ds_write_b32 v21, v15 offset:8192
.LBB73_12:                              ;   in Loop: Header=BB73_4 Depth=2
	s_or_b64 exec, exec, s[30:31]
	s_waitcnt lgkmcnt(0)
	s_barrier
	s_and_saveexec_b64 s[30:31], s[14:15]
	s_cbranch_execz .LBB73_14
; %bb.13:                               ;   in Loop: Header=BB73_4 Depth=2
	ds_read_b32 v87, v22 offset:8192
	s_waitcnt lgkmcnt(0)
	s_nop 0
	v_mov_b32_dpp v88, v87 row_shr:1 row_mask:0xf bank_mask:0xf
	v_cndmask_b32_e64 v88, v88, 0, s[20:21]
	v_add_u32_e32 v87, v88, v87
	s_nop 1
	v_mov_b32_dpp v88, v87 row_shr:2 row_mask:0xf bank_mask:0xf
	v_cndmask_b32_e64 v88, 0, v88, s[22:23]
	v_add_u32_e32 v87, v87, v88
	ds_write_b32 v22, v87 offset:8192
.LBB73_14:                              ;   in Loop: Header=BB73_4 Depth=2
	s_or_b64 exec, exec, s[30:31]
	v_mov_b32_e32 v87, 0
	s_waitcnt lgkmcnt(0)
	s_barrier
	s_and_saveexec_b64 s[30:31], s[16:17]
	s_cbranch_execz .LBB73_3
; %bb.15:                               ;   in Loop: Header=BB73_4 Depth=2
	ds_read_b32 v87, v21 offset:8188
	s_branch .LBB73_3
.LBB73_16:
	ds_read_u16 v8, v86
	ds_read_u16 v9, v85
	;; [unrolled: 1-line block ×32, first 2 shown]
	s_lshl_b64 s[0:1], s[28:29], 2
	s_add_u32 s0, s26, s0
	s_waitcnt lgkmcnt(8)
	v_add_u32_sdwa v0, v0, v23 dst_sel:DWORD dst_unused:UNUSED_PAD src0_sel:DWORD src1_sel:WORD_0
	v_add_u32_sdwa v1, v1, v25 dst_sel:DWORD dst_unused:UNUSED_PAD src0_sel:DWORD src1_sel:WORD_0
	;; [unrolled: 1-line block ×6, first 2 shown]
	s_addc_u32 s1, s27, s1
	v_lshlrev_b32_e32 v8, 2, v10
	v_add_u32_sdwa v4, v4, v30 dst_sel:DWORD dst_unused:UNUSED_PAD src0_sel:DWORD src1_sel:WORD_0
	v_add_u32_sdwa v5, v5, v32 dst_sel:DWORD dst_unused:UNUSED_PAD src0_sel:DWORD src1_sel:WORD_0
	;; [unrolled: 1-line block ×3, first 2 shown]
	s_waitcnt lgkmcnt(0)
	v_add_u32_sdwa v12, v12, v37 dst_sel:DWORD dst_unused:UNUSED_PAD src0_sel:DWORD src1_sel:WORD_0
	v_add_u32_sdwa v13, v13, v39 dst_sel:DWORD dst_unused:UNUSED_PAD src0_sel:DWORD src1_sel:WORD_0
	;; [unrolled: 1-line block ×23, first 2 shown]
	global_store_dwordx4 v8, v[0:3], s[0:1]
	global_store_dwordx4 v8, v[4:7], s[0:1] offset:16
	global_store_dwordx4 v8, v[12:15], s[0:1] offset:32
	;; [unrolled: 1-line block ×7, first 2 shown]
	s_endpgm
	.section	.rodata,"a",@progbits
	.p2align	6, 0x0
	.amdhsa_kernel _Z11rank_kernelIhLj4ELb0EL18RadixRankAlgorithm1ELj256ELj32ELj10EEvPKT_Pi
		.amdhsa_group_segment_fixed_size 8208
		.amdhsa_private_segment_fixed_size 0
		.amdhsa_kernarg_size 16
		.amdhsa_user_sgpr_count 6
		.amdhsa_user_sgpr_private_segment_buffer 1
		.amdhsa_user_sgpr_dispatch_ptr 0
		.amdhsa_user_sgpr_queue_ptr 0
		.amdhsa_user_sgpr_kernarg_segment_ptr 1
		.amdhsa_user_sgpr_dispatch_id 0
		.amdhsa_user_sgpr_flat_scratch_init 0
		.amdhsa_user_sgpr_kernarg_preload_length 0
		.amdhsa_user_sgpr_kernarg_preload_offset 0
		.amdhsa_user_sgpr_private_segment_size 0
		.amdhsa_uses_dynamic_stack 0
		.amdhsa_system_sgpr_private_segment_wavefront_offset 0
		.amdhsa_system_sgpr_workgroup_id_x 1
		.amdhsa_system_sgpr_workgroup_id_y 0
		.amdhsa_system_sgpr_workgroup_id_z 0
		.amdhsa_system_sgpr_workgroup_info 0
		.amdhsa_system_vgpr_workitem_id 0
		.amdhsa_next_free_vgpr 89
		.amdhsa_next_free_sgpr 44
		.amdhsa_accum_offset 92
		.amdhsa_reserve_vcc 1
		.amdhsa_reserve_flat_scratch 0
		.amdhsa_float_round_mode_32 0
		.amdhsa_float_round_mode_16_64 0
		.amdhsa_float_denorm_mode_32 3
		.amdhsa_float_denorm_mode_16_64 3
		.amdhsa_dx10_clamp 1
		.amdhsa_ieee_mode 1
		.amdhsa_fp16_overflow 0
		.amdhsa_tg_split 0
		.amdhsa_exception_fp_ieee_invalid_op 0
		.amdhsa_exception_fp_denorm_src 0
		.amdhsa_exception_fp_ieee_div_zero 0
		.amdhsa_exception_fp_ieee_overflow 0
		.amdhsa_exception_fp_ieee_underflow 0
		.amdhsa_exception_fp_ieee_inexact 0
		.amdhsa_exception_int_div_zero 0
	.end_amdhsa_kernel
	.section	.text._Z11rank_kernelIhLj4ELb0EL18RadixRankAlgorithm1ELj256ELj32ELj10EEvPKT_Pi,"axG",@progbits,_Z11rank_kernelIhLj4ELb0EL18RadixRankAlgorithm1ELj256ELj32ELj10EEvPKT_Pi,comdat
.Lfunc_end73:
	.size	_Z11rank_kernelIhLj4ELb0EL18RadixRankAlgorithm1ELj256ELj32ELj10EEvPKT_Pi, .Lfunc_end73-_Z11rank_kernelIhLj4ELb0EL18RadixRankAlgorithm1ELj256ELj32ELj10EEvPKT_Pi
                                        ; -- End function
	.section	.AMDGPU.csdata,"",@progbits
; Kernel info:
; codeLenInByte = 3304
; NumSgprs: 48
; NumVgprs: 89
; NumAgprs: 0
; TotalNumVgprs: 89
; ScratchSize: 0
; MemoryBound: 0
; FloatMode: 240
; IeeeMode: 1
; LDSByteSize: 8208 bytes/workgroup (compile time only)
; SGPRBlocks: 5
; VGPRBlocks: 11
; NumSGPRsForWavesPerEU: 48
; NumVGPRsForWavesPerEU: 89
; AccumOffset: 92
; Occupancy: 5
; WaveLimiterHint : 0
; COMPUTE_PGM_RSRC2:SCRATCH_EN: 0
; COMPUTE_PGM_RSRC2:USER_SGPR: 6
; COMPUTE_PGM_RSRC2:TRAP_HANDLER: 0
; COMPUTE_PGM_RSRC2:TGID_X_EN: 1
; COMPUTE_PGM_RSRC2:TGID_Y_EN: 0
; COMPUTE_PGM_RSRC2:TGID_Z_EN: 0
; COMPUTE_PGM_RSRC2:TIDIG_COMP_CNT: 0
; COMPUTE_PGM_RSRC3_GFX90A:ACCUM_OFFSET: 22
; COMPUTE_PGM_RSRC3_GFX90A:TG_SPLIT: 0
	.section	.text._Z11rank_kernelIhLj4ELb0EL18RadixRankAlgorithm2ELj256ELj32ELj10EEvPKT_Pi,"axG",@progbits,_Z11rank_kernelIhLj4ELb0EL18RadixRankAlgorithm2ELj256ELj32ELj10EEvPKT_Pi,comdat
	.protected	_Z11rank_kernelIhLj4ELb0EL18RadixRankAlgorithm2ELj256ELj32ELj10EEvPKT_Pi ; -- Begin function _Z11rank_kernelIhLj4ELb0EL18RadixRankAlgorithm2ELj256ELj32ELj10EEvPKT_Pi
	.globl	_Z11rank_kernelIhLj4ELb0EL18RadixRankAlgorithm2ELj256ELj32ELj10EEvPKT_Pi
	.p2align	8
	.type	_Z11rank_kernelIhLj4ELb0EL18RadixRankAlgorithm2ELj256ELj32ELj10EEvPKT_Pi,@function
_Z11rank_kernelIhLj4ELb0EL18RadixRankAlgorithm2ELj256ELj32ELj10EEvPKT_Pi: ; @_Z11rank_kernelIhLj4ELb0EL18RadixRankAlgorithm2ELj256ELj32ELj10EEvPKT_Pi
; %bb.0:
	s_load_dwordx4 s[24:27], s[4:5], 0x0
	s_load_dword s2, s[4:5], 0x1c
	s_lshl_b32 s28, s6, 13
	v_and_b32_e32 v16, 0x3ff, v0
	v_lshlrev_b32_e32 v10, 5, v16
	s_waitcnt lgkmcnt(0)
	s_add_u32 s0, s24, s28
	s_addc_u32 s1, s25, 0
	global_load_dwordx4 v[2:5], v10, s[0:1]
	global_load_dwordx4 v[6:9], v10, s[0:1] offset:16
	s_lshr_b32 s0, s2, 16
	v_bfe_u32 v1, v0, 10, 10
	v_bfe_u32 v0, v0, 20, 10
	s_and_b32 s1, s2, 0xffff
	v_mad_u32_u24 v0, v0, s0, v1
	v_mad_u64_u32 v[0:1], s[0:1], v0, s1, v[16:17]
	v_lshrrev_b32_e32 v14, 6, v0
	v_mbcnt_lo_u32_b32 v0, -1, 0
	v_mbcnt_hi_u32_b32 v0, -1, v0
	v_and_b32_e32 v1, 15, v0
	v_cmp_eq_u32_e64 s[0:1], 0, v1
	v_cmp_lt_u32_e64 s[2:3], 1, v1
	v_cmp_lt_u32_e64 s[4:5], 3, v1
	;; [unrolled: 1-line block ×3, first 2 shown]
	v_and_b32_e32 v1, 16, v0
	v_cmp_eq_u32_e64 s[8:9], 0, v1
	v_or_b32_e32 v1, 63, v16
	v_cmp_eq_u32_e64 s[12:13], v1, v16
	v_add_u32_e32 v1, -1, v0
	v_and_b32_e32 v11, 64, v0
	v_cmp_lt_i32_e32 vcc, v1, v11
	v_cndmask_b32_e32 v1, v1, v0, vcc
	v_lshlrev_b32_e32 v17, 2, v1
	v_lshrrev_b32_e32 v1, 4, v16
	s_mov_b32 s29, 0
	v_cmp_lt_u32_e64 s[10:11], 31, v0
	v_cmp_eq_u32_e64 s[18:19], 0, v0
	v_and_b32_e32 v18, 12, v1
	v_and_b32_e32 v0, 3, v0
	v_mov_b32_e32 v12, 0
	v_lshlrev_b32_e32 v15, 2, v16
	v_cmp_gt_u32_e64 s[14:15], 4, v16
	v_cmp_lt_u32_e64 s[16:17], 63, v16
	v_cmp_eq_u32_e64 s[20:21], 0, v0
	v_cmp_lt_u32_e64 s[22:23], 1, v0
	v_add_u32_e32 v19, -4, v18
	s_mov_b32 s33, s29
	s_branch .LBB74_2
.LBB74_1:                               ;   in Loop: Header=BB74_2 Depth=1
	s_add_i32 s33, s33, 1
	s_cmp_eq_u32 s33, 10
	s_cbranch_scc1 .LBB74_74
.LBB74_2:                               ; =>This Loop Header: Depth=1
                                        ;     Child Loop BB74_4 Depth 2
	s_mov_b64 s[30:31], -1
	s_mov_b32 s34, 28
	s_branch .LBB74_4
.LBB74_3:                               ;   in Loop: Header=BB74_4 Depth=2
	s_or_b64 exec, exec, s[24:25]
	s_waitcnt lgkmcnt(0)
	v_add_u32_e32 v0, v1, v0
	ds_bpermute_b32 v0, v17, v0
	s_xor_b64 s[24:25], s[30:31], -1
	s_mov_b32 s34, 24
	s_andn2_b64 vcc, exec, s[24:25]
	s_mov_b64 s[30:31], 0
	s_waitcnt lgkmcnt(0)
	v_cndmask_b32_e64 v0, v0, v1, s[18:19]
	ds_write_b32 v15, v0 offset:16
	s_waitcnt lgkmcnt(0)
	s_barrier
	s_cbranch_vccz .LBB74_1
.LBB74_4:                               ;   Parent Loop BB74_2 Depth=1
                                        ; =>  This Inner Loop Header: Depth=2
	s_waitcnt vmcnt(1)
	v_lshlrev_b32_sdwa v0, s34, v2 dst_sel:DWORD dst_unused:UNUSED_PAD src0_sel:DWORD src1_sel:BYTE_0
	v_bfe_u32 v13, v0, 28, 1
	v_add_co_u32_e32 v16, vcc, -1, v13
	v_addc_co_u32_e64 v20, s[24:25], 0, -1, vcc
	v_cmp_ne_u32_e32 vcc, 0, v13
	v_lshrrev_b32_e32 v1, 28, v0
	v_xor_b32_e32 v13, vcc_hi, v20
	v_and_b32_e32 v20, exec_hi, v13
	v_lshlrev_b32_e32 v13, 30, v1
	v_xor_b32_e32 v16, vcc_lo, v16
	v_cmp_gt_i64_e32 vcc, 0, v[12:13]
	v_not_b32_e32 v13, v13
	v_ashrrev_i32_e32 v13, 31, v13
	v_and_b32_e32 v16, exec_lo, v16
	v_xor_b32_e32 v21, vcc_hi, v13
	v_xor_b32_e32 v13, vcc_lo, v13
	v_and_b32_e32 v16, v16, v13
	v_lshlrev_b32_e32 v13, 29, v1
	v_mad_u32_u24 v11, v1, 5, v14
	v_not_b32_e32 v1, v13
	v_cmp_gt_i64_e32 vcc, 0, v[12:13]
	v_ashrrev_i32_e32 v1, 31, v1
	v_and_b32_e32 v20, v20, v21
	v_xor_b32_e32 v13, vcc_hi, v1
	v_and_b32_e32 v20, v20, v13
	v_and_b32_e32 v13, 0xf0000000, v0
	v_not_b32_e32 v0, v13
	v_xor_b32_e32 v1, vcc_lo, v1
	v_cmp_gt_i64_e32 vcc, 0, v[12:13]
	v_ashrrev_i32_e32 v0, 31, v0
	v_and_b32_e32 v16, v16, v1
	v_xor_b32_e32 v1, vcc_hi, v0
	v_xor_b32_e32 v0, vcc_lo, v0
	v_and_b32_e32 v0, v16, v0
	v_and_b32_e32 v1, v20, v1
	v_mbcnt_lo_u32_b32 v13, v0, 0
	v_mbcnt_hi_u32_b32 v16, v1, v13
	v_cmp_eq_u32_e32 vcc, 0, v16
	v_cmp_ne_u64_e64 s[24:25], 0, v[0:1]
	v_lshl_add_u32 v11, v11, 2, 16
	s_and_b64 s[36:37], vcc, s[24:25]
	ds_write_b32 v15, v12 offset:16
	s_waitcnt lgkmcnt(0)
	s_barrier
	s_waitcnt lgkmcnt(0)
	; wave barrier
	s_and_saveexec_b64 s[24:25], s[36:37]
	s_cbranch_execz .LBB74_6
; %bb.5:                                ;   in Loop: Header=BB74_4 Depth=2
	v_bcnt_u32_b32 v0, v0, 0
	v_bcnt_u32_b32 v0, v1, v0
	ds_write_b32 v11, v0
.LBB74_6:                               ;   in Loop: Header=BB74_4 Depth=2
	s_or_b64 exec, exec, s[24:25]
	v_lshlrev_b32_sdwa v0, s34, v2 dst_sel:DWORD dst_unused:UNUSED_PAD src0_sel:DWORD src1_sel:BYTE_1
	v_lshrrev_b32_e32 v1, 28, v0
	v_mul_u32_u24_e32 v13, 5, v1
	v_add_lshl_u32 v13, v13, v14, 2
	; wave barrier
	v_add_u32_e32 v21, 16, v13
	ds_read_b32 v20, v13 offset:16
	v_bfe_u32 v13, v0, 28, 1
	v_add_co_u32_e32 v22, vcc, -1, v13
	v_addc_co_u32_e64 v23, s[24:25], 0, -1, vcc
	v_cmp_ne_u32_e32 vcc, 0, v13
	v_xor_b32_e32 v13, vcc_hi, v23
	v_and_b32_e32 v23, exec_hi, v13
	v_lshlrev_b32_e32 v13, 30, v1
	v_xor_b32_e32 v22, vcc_lo, v22
	v_cmp_gt_i64_e32 vcc, 0, v[12:13]
	v_not_b32_e32 v13, v13
	v_ashrrev_i32_e32 v13, 31, v13
	v_and_b32_e32 v22, exec_lo, v22
	v_xor_b32_e32 v24, vcc_hi, v13
	v_xor_b32_e32 v13, vcc_lo, v13
	v_and_b32_e32 v22, v22, v13
	v_lshlrev_b32_e32 v13, 29, v1
	v_not_b32_e32 v1, v13
	v_cmp_gt_i64_e32 vcc, 0, v[12:13]
	v_ashrrev_i32_e32 v1, 31, v1
	v_and_b32_e32 v23, v23, v24
	v_xor_b32_e32 v13, vcc_hi, v1
	v_and_b32_e32 v23, v23, v13
	v_and_b32_e32 v13, 0xf0000000, v0
	v_not_b32_e32 v0, v13
	v_xor_b32_e32 v1, vcc_lo, v1
	v_cmp_gt_i64_e32 vcc, 0, v[12:13]
	v_ashrrev_i32_e32 v0, 31, v0
	v_and_b32_e32 v22, v22, v1
	v_xor_b32_e32 v1, vcc_hi, v0
	v_xor_b32_e32 v0, vcc_lo, v0
	v_and_b32_e32 v0, v22, v0
	v_and_b32_e32 v1, v23, v1
	v_mbcnt_lo_u32_b32 v13, v0, 0
	v_mbcnt_hi_u32_b32 v22, v1, v13
	v_cmp_eq_u32_e32 vcc, 0, v22
	v_cmp_ne_u64_e64 s[24:25], 0, v[0:1]
	s_and_b64 s[36:37], vcc, s[24:25]
	; wave barrier
	s_and_saveexec_b64 s[24:25], s[36:37]
	s_cbranch_execz .LBB74_8
; %bb.7:                                ;   in Loop: Header=BB74_4 Depth=2
	v_bcnt_u32_b32 v0, v0, 0
	v_bcnt_u32_b32 v0, v1, v0
	s_waitcnt lgkmcnt(0)
	v_add_u32_e32 v0, v20, v0
	ds_write_b32 v21, v0
.LBB74_8:                               ;   in Loop: Header=BB74_4 Depth=2
	s_or_b64 exec, exec, s[24:25]
	v_lshlrev_b32_sdwa v0, s34, v2 dst_sel:DWORD dst_unused:UNUSED_PAD src0_sel:DWORD src1_sel:BYTE_2
	v_lshrrev_b32_e32 v1, 28, v0
	v_mul_u32_u24_e32 v13, 5, v1
	v_add_lshl_u32 v13, v13, v14, 2
	; wave barrier
	v_add_u32_e32 v24, 16, v13
	ds_read_b32 v23, v13 offset:16
	v_bfe_u32 v13, v0, 28, 1
	v_add_co_u32_e32 v25, vcc, -1, v13
	v_addc_co_u32_e64 v26, s[24:25], 0, -1, vcc
	v_cmp_ne_u32_e32 vcc, 0, v13
	v_xor_b32_e32 v13, vcc_hi, v26
	v_and_b32_e32 v26, exec_hi, v13
	v_lshlrev_b32_e32 v13, 30, v1
	v_xor_b32_e32 v25, vcc_lo, v25
	v_cmp_gt_i64_e32 vcc, 0, v[12:13]
	v_not_b32_e32 v13, v13
	v_ashrrev_i32_e32 v13, 31, v13
	v_and_b32_e32 v25, exec_lo, v25
	v_xor_b32_e32 v27, vcc_hi, v13
	v_xor_b32_e32 v13, vcc_lo, v13
	v_and_b32_e32 v25, v25, v13
	v_lshlrev_b32_e32 v13, 29, v1
	v_not_b32_e32 v1, v13
	v_cmp_gt_i64_e32 vcc, 0, v[12:13]
	v_ashrrev_i32_e32 v1, 31, v1
	v_and_b32_e32 v26, v26, v27
	v_xor_b32_e32 v13, vcc_hi, v1
	v_and_b32_e32 v26, v26, v13
	v_and_b32_e32 v13, 0xf0000000, v0
	v_not_b32_e32 v0, v13
	v_xor_b32_e32 v1, vcc_lo, v1
	v_cmp_gt_i64_e32 vcc, 0, v[12:13]
	v_ashrrev_i32_e32 v0, 31, v0
	v_and_b32_e32 v25, v25, v1
	v_xor_b32_e32 v1, vcc_hi, v0
	v_xor_b32_e32 v0, vcc_lo, v0
	v_and_b32_e32 v0, v25, v0
	v_and_b32_e32 v1, v26, v1
	v_mbcnt_lo_u32_b32 v13, v0, 0
	v_mbcnt_hi_u32_b32 v25, v1, v13
	v_cmp_eq_u32_e32 vcc, 0, v25
	v_cmp_ne_u64_e64 s[24:25], 0, v[0:1]
	s_and_b64 s[36:37], vcc, s[24:25]
	; wave barrier
	s_and_saveexec_b64 s[24:25], s[36:37]
	s_cbranch_execz .LBB74_10
; %bb.9:                                ;   in Loop: Header=BB74_4 Depth=2
	v_bcnt_u32_b32 v0, v0, 0
	v_bcnt_u32_b32 v0, v1, v0
	s_waitcnt lgkmcnt(0)
	v_add_u32_e32 v0, v23, v0
	ds_write_b32 v24, v0
.LBB74_10:                              ;   in Loop: Header=BB74_4 Depth=2
	s_or_b64 exec, exec, s[24:25]
	v_lshlrev_b32_sdwa v0, s34, v2 dst_sel:DWORD dst_unused:UNUSED_PAD src0_sel:DWORD src1_sel:BYTE_3
	v_lshrrev_b32_e32 v1, 28, v0
	v_mul_u32_u24_e32 v13, 5, v1
	v_add_lshl_u32 v13, v13, v14, 2
	; wave barrier
	v_add_u32_e32 v27, 16, v13
	ds_read_b32 v26, v13 offset:16
	v_bfe_u32 v13, v0, 28, 1
	v_add_co_u32_e32 v28, vcc, -1, v13
	v_addc_co_u32_e64 v29, s[24:25], 0, -1, vcc
	v_cmp_ne_u32_e32 vcc, 0, v13
	v_xor_b32_e32 v13, vcc_hi, v29
	v_and_b32_e32 v29, exec_hi, v13
	v_lshlrev_b32_e32 v13, 30, v1
	v_xor_b32_e32 v28, vcc_lo, v28
	v_cmp_gt_i64_e32 vcc, 0, v[12:13]
	v_not_b32_e32 v13, v13
	v_ashrrev_i32_e32 v13, 31, v13
	v_and_b32_e32 v28, exec_lo, v28
	v_xor_b32_e32 v30, vcc_hi, v13
	v_xor_b32_e32 v13, vcc_lo, v13
	v_and_b32_e32 v28, v28, v13
	v_lshlrev_b32_e32 v13, 29, v1
	v_not_b32_e32 v1, v13
	v_cmp_gt_i64_e32 vcc, 0, v[12:13]
	v_ashrrev_i32_e32 v1, 31, v1
	v_and_b32_e32 v29, v29, v30
	v_xor_b32_e32 v13, vcc_hi, v1
	v_and_b32_e32 v29, v29, v13
	v_and_b32_e32 v13, 0xf0000000, v0
	v_not_b32_e32 v0, v13
	v_xor_b32_e32 v1, vcc_lo, v1
	v_cmp_gt_i64_e32 vcc, 0, v[12:13]
	v_ashrrev_i32_e32 v0, 31, v0
	v_and_b32_e32 v28, v28, v1
	v_xor_b32_e32 v1, vcc_hi, v0
	v_xor_b32_e32 v0, vcc_lo, v0
	v_and_b32_e32 v0, v28, v0
	v_and_b32_e32 v1, v29, v1
	v_mbcnt_lo_u32_b32 v13, v0, 0
	v_mbcnt_hi_u32_b32 v28, v1, v13
	v_cmp_eq_u32_e32 vcc, 0, v28
	v_cmp_ne_u64_e64 s[24:25], 0, v[0:1]
	s_and_b64 s[36:37], vcc, s[24:25]
	; wave barrier
	s_and_saveexec_b64 s[24:25], s[36:37]
	s_cbranch_execz .LBB74_12
; %bb.11:                               ;   in Loop: Header=BB74_4 Depth=2
	v_bcnt_u32_b32 v0, v0, 0
	v_bcnt_u32_b32 v0, v1, v0
	s_waitcnt lgkmcnt(0)
	v_add_u32_e32 v0, v26, v0
	ds_write_b32 v27, v0
.LBB74_12:                              ;   in Loop: Header=BB74_4 Depth=2
	s_or_b64 exec, exec, s[24:25]
	v_lshlrev_b32_sdwa v0, s34, v3 dst_sel:DWORD dst_unused:UNUSED_PAD src0_sel:DWORD src1_sel:BYTE_0
	v_lshrrev_b32_e32 v1, 28, v0
	v_mul_u32_u24_e32 v13, 5, v1
	v_add_lshl_u32 v13, v13, v14, 2
	; wave barrier
	v_add_u32_e32 v30, 16, v13
	ds_read_b32 v29, v13 offset:16
	v_bfe_u32 v13, v0, 28, 1
	v_add_co_u32_e32 v31, vcc, -1, v13
	v_addc_co_u32_e64 v32, s[24:25], 0, -1, vcc
	v_cmp_ne_u32_e32 vcc, 0, v13
	v_xor_b32_e32 v13, vcc_hi, v32
	v_and_b32_e32 v32, exec_hi, v13
	v_lshlrev_b32_e32 v13, 30, v1
	v_xor_b32_e32 v31, vcc_lo, v31
	v_cmp_gt_i64_e32 vcc, 0, v[12:13]
	v_not_b32_e32 v13, v13
	v_ashrrev_i32_e32 v13, 31, v13
	v_and_b32_e32 v31, exec_lo, v31
	v_xor_b32_e32 v33, vcc_hi, v13
	v_xor_b32_e32 v13, vcc_lo, v13
	v_and_b32_e32 v31, v31, v13
	v_lshlrev_b32_e32 v13, 29, v1
	v_not_b32_e32 v1, v13
	v_cmp_gt_i64_e32 vcc, 0, v[12:13]
	v_ashrrev_i32_e32 v1, 31, v1
	v_and_b32_e32 v32, v32, v33
	v_xor_b32_e32 v13, vcc_hi, v1
	v_and_b32_e32 v32, v32, v13
	v_and_b32_e32 v13, 0xf0000000, v0
	v_not_b32_e32 v0, v13
	v_xor_b32_e32 v1, vcc_lo, v1
	v_cmp_gt_i64_e32 vcc, 0, v[12:13]
	v_ashrrev_i32_e32 v0, 31, v0
	v_and_b32_e32 v31, v31, v1
	v_xor_b32_e32 v1, vcc_hi, v0
	v_xor_b32_e32 v0, vcc_lo, v0
	v_and_b32_e32 v0, v31, v0
	v_and_b32_e32 v1, v32, v1
	v_mbcnt_lo_u32_b32 v13, v0, 0
	v_mbcnt_hi_u32_b32 v31, v1, v13
	v_cmp_eq_u32_e32 vcc, 0, v31
	v_cmp_ne_u64_e64 s[24:25], 0, v[0:1]
	s_and_b64 s[36:37], vcc, s[24:25]
	; wave barrier
	s_and_saveexec_b64 s[24:25], s[36:37]
	s_cbranch_execz .LBB74_14
; %bb.13:                               ;   in Loop: Header=BB74_4 Depth=2
	v_bcnt_u32_b32 v0, v0, 0
	v_bcnt_u32_b32 v0, v1, v0
	s_waitcnt lgkmcnt(0)
	v_add_u32_e32 v0, v29, v0
	ds_write_b32 v30, v0
.LBB74_14:                              ;   in Loop: Header=BB74_4 Depth=2
	s_or_b64 exec, exec, s[24:25]
	v_lshlrev_b32_sdwa v0, s34, v3 dst_sel:DWORD dst_unused:UNUSED_PAD src0_sel:DWORD src1_sel:BYTE_1
	v_lshrrev_b32_e32 v1, 28, v0
	v_mul_u32_u24_e32 v13, 5, v1
	v_add_lshl_u32 v13, v13, v14, 2
	; wave barrier
	v_add_u32_e32 v33, 16, v13
	ds_read_b32 v32, v13 offset:16
	v_bfe_u32 v13, v0, 28, 1
	v_add_co_u32_e32 v34, vcc, -1, v13
	v_addc_co_u32_e64 v35, s[24:25], 0, -1, vcc
	v_cmp_ne_u32_e32 vcc, 0, v13
	v_xor_b32_e32 v13, vcc_hi, v35
	v_and_b32_e32 v35, exec_hi, v13
	v_lshlrev_b32_e32 v13, 30, v1
	v_xor_b32_e32 v34, vcc_lo, v34
	v_cmp_gt_i64_e32 vcc, 0, v[12:13]
	v_not_b32_e32 v13, v13
	v_ashrrev_i32_e32 v13, 31, v13
	v_and_b32_e32 v34, exec_lo, v34
	v_xor_b32_e32 v36, vcc_hi, v13
	v_xor_b32_e32 v13, vcc_lo, v13
	v_and_b32_e32 v34, v34, v13
	v_lshlrev_b32_e32 v13, 29, v1
	v_not_b32_e32 v1, v13
	v_cmp_gt_i64_e32 vcc, 0, v[12:13]
	v_ashrrev_i32_e32 v1, 31, v1
	v_and_b32_e32 v35, v35, v36
	v_xor_b32_e32 v13, vcc_hi, v1
	v_and_b32_e32 v35, v35, v13
	v_and_b32_e32 v13, 0xf0000000, v0
	v_not_b32_e32 v0, v13
	v_xor_b32_e32 v1, vcc_lo, v1
	v_cmp_gt_i64_e32 vcc, 0, v[12:13]
	v_ashrrev_i32_e32 v0, 31, v0
	v_and_b32_e32 v34, v34, v1
	v_xor_b32_e32 v1, vcc_hi, v0
	v_xor_b32_e32 v0, vcc_lo, v0
	v_and_b32_e32 v0, v34, v0
	v_and_b32_e32 v1, v35, v1
	v_mbcnt_lo_u32_b32 v13, v0, 0
	v_mbcnt_hi_u32_b32 v35, v1, v13
	v_cmp_eq_u32_e32 vcc, 0, v35
	v_cmp_ne_u64_e64 s[24:25], 0, v[0:1]
	s_and_b64 s[36:37], vcc, s[24:25]
	; wave barrier
	s_and_saveexec_b64 s[24:25], s[36:37]
	s_cbranch_execz .LBB74_16
; %bb.15:                               ;   in Loop: Header=BB74_4 Depth=2
	v_bcnt_u32_b32 v0, v0, 0
	v_bcnt_u32_b32 v0, v1, v0
	s_waitcnt lgkmcnt(0)
	v_add_u32_e32 v0, v32, v0
	ds_write_b32 v33, v0
.LBB74_16:                              ;   in Loop: Header=BB74_4 Depth=2
	s_or_b64 exec, exec, s[24:25]
	v_lshlrev_b32_sdwa v0, s34, v3 dst_sel:DWORD dst_unused:UNUSED_PAD src0_sel:DWORD src1_sel:BYTE_2
	v_lshrrev_b32_e32 v1, 28, v0
	v_mul_u32_u24_e32 v13, 5, v1
	v_add_lshl_u32 v13, v13, v14, 2
	; wave barrier
	v_add_u32_e32 v37, 16, v13
	ds_read_b32 v34, v13 offset:16
	v_bfe_u32 v13, v0, 28, 1
	v_add_co_u32_e32 v36, vcc, -1, v13
	v_addc_co_u32_e64 v38, s[24:25], 0, -1, vcc
	v_cmp_ne_u32_e32 vcc, 0, v13
	v_xor_b32_e32 v13, vcc_hi, v38
	v_and_b32_e32 v38, exec_hi, v13
	v_lshlrev_b32_e32 v13, 30, v1
	v_xor_b32_e32 v36, vcc_lo, v36
	v_cmp_gt_i64_e32 vcc, 0, v[12:13]
	v_not_b32_e32 v13, v13
	v_ashrrev_i32_e32 v13, 31, v13
	v_and_b32_e32 v36, exec_lo, v36
	v_xor_b32_e32 v39, vcc_hi, v13
	v_xor_b32_e32 v13, vcc_lo, v13
	v_and_b32_e32 v36, v36, v13
	v_lshlrev_b32_e32 v13, 29, v1
	v_not_b32_e32 v1, v13
	v_cmp_gt_i64_e32 vcc, 0, v[12:13]
	v_ashrrev_i32_e32 v1, 31, v1
	v_and_b32_e32 v38, v38, v39
	v_xor_b32_e32 v13, vcc_hi, v1
	v_and_b32_e32 v38, v38, v13
	v_and_b32_e32 v13, 0xf0000000, v0
	v_not_b32_e32 v0, v13
	v_xor_b32_e32 v1, vcc_lo, v1
	v_cmp_gt_i64_e32 vcc, 0, v[12:13]
	v_ashrrev_i32_e32 v0, 31, v0
	v_and_b32_e32 v36, v36, v1
	v_xor_b32_e32 v1, vcc_hi, v0
	v_xor_b32_e32 v0, vcc_lo, v0
	v_and_b32_e32 v0, v36, v0
	v_and_b32_e32 v1, v38, v1
	v_mbcnt_lo_u32_b32 v13, v0, 0
	v_mbcnt_hi_u32_b32 v36, v1, v13
	v_cmp_eq_u32_e32 vcc, 0, v36
	v_cmp_ne_u64_e64 s[24:25], 0, v[0:1]
	s_and_b64 s[36:37], vcc, s[24:25]
	; wave barrier
	s_and_saveexec_b64 s[24:25], s[36:37]
	s_cbranch_execz .LBB74_18
; %bb.17:                               ;   in Loop: Header=BB74_4 Depth=2
	v_bcnt_u32_b32 v0, v0, 0
	v_bcnt_u32_b32 v0, v1, v0
	s_waitcnt lgkmcnt(0)
	v_add_u32_e32 v0, v34, v0
	ds_write_b32 v37, v0
.LBB74_18:                              ;   in Loop: Header=BB74_4 Depth=2
	s_or_b64 exec, exec, s[24:25]
	v_lshlrev_b32_sdwa v0, s34, v3 dst_sel:DWORD dst_unused:UNUSED_PAD src0_sel:DWORD src1_sel:BYTE_3
	v_lshrrev_b32_e32 v1, 28, v0
	v_mul_u32_u24_e32 v13, 5, v1
	v_add_lshl_u32 v13, v13, v14, 2
	; wave barrier
	v_add_u32_e32 v40, 16, v13
	ds_read_b32 v38, v13 offset:16
	v_bfe_u32 v13, v0, 28, 1
	v_add_co_u32_e32 v39, vcc, -1, v13
	v_addc_co_u32_e64 v41, s[24:25], 0, -1, vcc
	v_cmp_ne_u32_e32 vcc, 0, v13
	v_xor_b32_e32 v13, vcc_hi, v41
	v_and_b32_e32 v41, exec_hi, v13
	v_lshlrev_b32_e32 v13, 30, v1
	v_xor_b32_e32 v39, vcc_lo, v39
	v_cmp_gt_i64_e32 vcc, 0, v[12:13]
	v_not_b32_e32 v13, v13
	v_ashrrev_i32_e32 v13, 31, v13
	v_and_b32_e32 v39, exec_lo, v39
	v_xor_b32_e32 v42, vcc_hi, v13
	v_xor_b32_e32 v13, vcc_lo, v13
	v_and_b32_e32 v39, v39, v13
	v_lshlrev_b32_e32 v13, 29, v1
	v_not_b32_e32 v1, v13
	v_cmp_gt_i64_e32 vcc, 0, v[12:13]
	v_ashrrev_i32_e32 v1, 31, v1
	v_and_b32_e32 v41, v41, v42
	v_xor_b32_e32 v13, vcc_hi, v1
	v_and_b32_e32 v41, v41, v13
	v_and_b32_e32 v13, 0xf0000000, v0
	v_not_b32_e32 v0, v13
	v_xor_b32_e32 v1, vcc_lo, v1
	v_cmp_gt_i64_e32 vcc, 0, v[12:13]
	v_ashrrev_i32_e32 v0, 31, v0
	v_and_b32_e32 v39, v39, v1
	v_xor_b32_e32 v1, vcc_hi, v0
	v_xor_b32_e32 v0, vcc_lo, v0
	v_and_b32_e32 v0, v39, v0
	v_and_b32_e32 v1, v41, v1
	v_mbcnt_lo_u32_b32 v13, v0, 0
	v_mbcnt_hi_u32_b32 v39, v1, v13
	v_cmp_eq_u32_e32 vcc, 0, v39
	v_cmp_ne_u64_e64 s[24:25], 0, v[0:1]
	s_and_b64 s[36:37], vcc, s[24:25]
	; wave barrier
	s_and_saveexec_b64 s[24:25], s[36:37]
	s_cbranch_execz .LBB74_20
; %bb.19:                               ;   in Loop: Header=BB74_4 Depth=2
	v_bcnt_u32_b32 v0, v0, 0
	v_bcnt_u32_b32 v0, v1, v0
	s_waitcnt lgkmcnt(0)
	v_add_u32_e32 v0, v38, v0
	ds_write_b32 v40, v0
.LBB74_20:                              ;   in Loop: Header=BB74_4 Depth=2
	s_or_b64 exec, exec, s[24:25]
	v_lshlrev_b32_sdwa v0, s34, v4 dst_sel:DWORD dst_unused:UNUSED_PAD src0_sel:DWORD src1_sel:BYTE_0
	v_lshrrev_b32_e32 v1, 28, v0
	v_mul_u32_u24_e32 v13, 5, v1
	v_add_lshl_u32 v13, v13, v14, 2
	; wave barrier
	v_add_u32_e32 v42, 16, v13
	ds_read_b32 v41, v13 offset:16
	v_bfe_u32 v13, v0, 28, 1
	v_add_co_u32_e32 v43, vcc, -1, v13
	v_addc_co_u32_e64 v44, s[24:25], 0, -1, vcc
	v_cmp_ne_u32_e32 vcc, 0, v13
	v_xor_b32_e32 v13, vcc_hi, v44
	v_and_b32_e32 v44, exec_hi, v13
	v_lshlrev_b32_e32 v13, 30, v1
	v_xor_b32_e32 v43, vcc_lo, v43
	v_cmp_gt_i64_e32 vcc, 0, v[12:13]
	v_not_b32_e32 v13, v13
	v_ashrrev_i32_e32 v13, 31, v13
	v_and_b32_e32 v43, exec_lo, v43
	v_xor_b32_e32 v45, vcc_hi, v13
	v_xor_b32_e32 v13, vcc_lo, v13
	v_and_b32_e32 v43, v43, v13
	v_lshlrev_b32_e32 v13, 29, v1
	v_not_b32_e32 v1, v13
	v_cmp_gt_i64_e32 vcc, 0, v[12:13]
	v_ashrrev_i32_e32 v1, 31, v1
	v_and_b32_e32 v44, v44, v45
	v_xor_b32_e32 v13, vcc_hi, v1
	v_and_b32_e32 v44, v44, v13
	v_and_b32_e32 v13, 0xf0000000, v0
	v_not_b32_e32 v0, v13
	v_xor_b32_e32 v1, vcc_lo, v1
	v_cmp_gt_i64_e32 vcc, 0, v[12:13]
	v_ashrrev_i32_e32 v0, 31, v0
	v_and_b32_e32 v43, v43, v1
	v_xor_b32_e32 v1, vcc_hi, v0
	v_xor_b32_e32 v0, vcc_lo, v0
	v_and_b32_e32 v0, v43, v0
	v_and_b32_e32 v1, v44, v1
	v_mbcnt_lo_u32_b32 v13, v0, 0
	v_mbcnt_hi_u32_b32 v43, v1, v13
	v_cmp_eq_u32_e32 vcc, 0, v43
	v_cmp_ne_u64_e64 s[24:25], 0, v[0:1]
	s_and_b64 s[36:37], vcc, s[24:25]
	; wave barrier
	s_and_saveexec_b64 s[24:25], s[36:37]
	s_cbranch_execz .LBB74_22
; %bb.21:                               ;   in Loop: Header=BB74_4 Depth=2
	v_bcnt_u32_b32 v0, v0, 0
	v_bcnt_u32_b32 v0, v1, v0
	s_waitcnt lgkmcnt(0)
	v_add_u32_e32 v0, v41, v0
	ds_write_b32 v42, v0
.LBB74_22:                              ;   in Loop: Header=BB74_4 Depth=2
	s_or_b64 exec, exec, s[24:25]
	v_lshlrev_b32_sdwa v0, s34, v4 dst_sel:DWORD dst_unused:UNUSED_PAD src0_sel:DWORD src1_sel:BYTE_1
	v_lshrrev_b32_e32 v1, 28, v0
	v_mul_u32_u24_e32 v13, 5, v1
	v_add_lshl_u32 v13, v13, v14, 2
	; wave barrier
	v_add_u32_e32 v45, 16, v13
	ds_read_b32 v44, v13 offset:16
	v_bfe_u32 v13, v0, 28, 1
	v_add_co_u32_e32 v46, vcc, -1, v13
	v_addc_co_u32_e64 v47, s[24:25], 0, -1, vcc
	v_cmp_ne_u32_e32 vcc, 0, v13
	v_xor_b32_e32 v13, vcc_hi, v47
	v_and_b32_e32 v47, exec_hi, v13
	v_lshlrev_b32_e32 v13, 30, v1
	v_xor_b32_e32 v46, vcc_lo, v46
	v_cmp_gt_i64_e32 vcc, 0, v[12:13]
	v_not_b32_e32 v13, v13
	v_ashrrev_i32_e32 v13, 31, v13
	v_and_b32_e32 v46, exec_lo, v46
	v_xor_b32_e32 v48, vcc_hi, v13
	v_xor_b32_e32 v13, vcc_lo, v13
	v_and_b32_e32 v46, v46, v13
	v_lshlrev_b32_e32 v13, 29, v1
	v_not_b32_e32 v1, v13
	v_cmp_gt_i64_e32 vcc, 0, v[12:13]
	v_ashrrev_i32_e32 v1, 31, v1
	v_and_b32_e32 v47, v47, v48
	v_xor_b32_e32 v13, vcc_hi, v1
	v_and_b32_e32 v47, v47, v13
	v_and_b32_e32 v13, 0xf0000000, v0
	v_not_b32_e32 v0, v13
	v_xor_b32_e32 v1, vcc_lo, v1
	v_cmp_gt_i64_e32 vcc, 0, v[12:13]
	v_ashrrev_i32_e32 v0, 31, v0
	v_and_b32_e32 v46, v46, v1
	v_xor_b32_e32 v1, vcc_hi, v0
	v_xor_b32_e32 v0, vcc_lo, v0
	v_and_b32_e32 v0, v46, v0
	v_and_b32_e32 v1, v47, v1
	v_mbcnt_lo_u32_b32 v13, v0, 0
	v_mbcnt_hi_u32_b32 v46, v1, v13
	v_cmp_eq_u32_e32 vcc, 0, v46
	v_cmp_ne_u64_e64 s[24:25], 0, v[0:1]
	s_and_b64 s[36:37], vcc, s[24:25]
	; wave barrier
	s_and_saveexec_b64 s[24:25], s[36:37]
	s_cbranch_execz .LBB74_24
; %bb.23:                               ;   in Loop: Header=BB74_4 Depth=2
	v_bcnt_u32_b32 v0, v0, 0
	v_bcnt_u32_b32 v0, v1, v0
	s_waitcnt lgkmcnt(0)
	v_add_u32_e32 v0, v44, v0
	ds_write_b32 v45, v0
.LBB74_24:                              ;   in Loop: Header=BB74_4 Depth=2
	s_or_b64 exec, exec, s[24:25]
	v_lshlrev_b32_sdwa v0, s34, v4 dst_sel:DWORD dst_unused:UNUSED_PAD src0_sel:DWORD src1_sel:BYTE_2
	v_lshrrev_b32_e32 v1, 28, v0
	v_mul_u32_u24_e32 v13, 5, v1
	v_add_lshl_u32 v13, v13, v14, 2
	; wave barrier
	v_add_u32_e32 v48, 16, v13
	ds_read_b32 v47, v13 offset:16
	v_bfe_u32 v13, v0, 28, 1
	v_add_co_u32_e32 v49, vcc, -1, v13
	v_addc_co_u32_e64 v50, s[24:25], 0, -1, vcc
	v_cmp_ne_u32_e32 vcc, 0, v13
	v_xor_b32_e32 v13, vcc_hi, v50
	v_and_b32_e32 v50, exec_hi, v13
	v_lshlrev_b32_e32 v13, 30, v1
	v_xor_b32_e32 v49, vcc_lo, v49
	v_cmp_gt_i64_e32 vcc, 0, v[12:13]
	v_not_b32_e32 v13, v13
	v_ashrrev_i32_e32 v13, 31, v13
	v_and_b32_e32 v49, exec_lo, v49
	v_xor_b32_e32 v51, vcc_hi, v13
	v_xor_b32_e32 v13, vcc_lo, v13
	v_and_b32_e32 v49, v49, v13
	v_lshlrev_b32_e32 v13, 29, v1
	v_not_b32_e32 v1, v13
	v_cmp_gt_i64_e32 vcc, 0, v[12:13]
	v_ashrrev_i32_e32 v1, 31, v1
	v_and_b32_e32 v50, v50, v51
	v_xor_b32_e32 v13, vcc_hi, v1
	v_and_b32_e32 v50, v50, v13
	v_and_b32_e32 v13, 0xf0000000, v0
	v_not_b32_e32 v0, v13
	v_xor_b32_e32 v1, vcc_lo, v1
	v_cmp_gt_i64_e32 vcc, 0, v[12:13]
	v_ashrrev_i32_e32 v0, 31, v0
	v_and_b32_e32 v49, v49, v1
	v_xor_b32_e32 v1, vcc_hi, v0
	v_xor_b32_e32 v0, vcc_lo, v0
	v_and_b32_e32 v0, v49, v0
	v_and_b32_e32 v1, v50, v1
	v_mbcnt_lo_u32_b32 v13, v0, 0
	v_mbcnt_hi_u32_b32 v49, v1, v13
	v_cmp_eq_u32_e32 vcc, 0, v49
	v_cmp_ne_u64_e64 s[24:25], 0, v[0:1]
	s_and_b64 s[36:37], vcc, s[24:25]
	; wave barrier
	s_and_saveexec_b64 s[24:25], s[36:37]
	s_cbranch_execz .LBB74_26
; %bb.25:                               ;   in Loop: Header=BB74_4 Depth=2
	v_bcnt_u32_b32 v0, v0, 0
	v_bcnt_u32_b32 v0, v1, v0
	s_waitcnt lgkmcnt(0)
	v_add_u32_e32 v0, v47, v0
	ds_write_b32 v48, v0
.LBB74_26:                              ;   in Loop: Header=BB74_4 Depth=2
	s_or_b64 exec, exec, s[24:25]
	v_lshlrev_b32_sdwa v0, s34, v4 dst_sel:DWORD dst_unused:UNUSED_PAD src0_sel:DWORD src1_sel:BYTE_3
	v_lshrrev_b32_e32 v1, 28, v0
	v_mul_u32_u24_e32 v13, 5, v1
	v_add_lshl_u32 v13, v13, v14, 2
	; wave barrier
	v_add_u32_e32 v51, 16, v13
	ds_read_b32 v50, v13 offset:16
	v_bfe_u32 v13, v0, 28, 1
	v_add_co_u32_e32 v52, vcc, -1, v13
	v_addc_co_u32_e64 v53, s[24:25], 0, -1, vcc
	v_cmp_ne_u32_e32 vcc, 0, v13
	v_xor_b32_e32 v13, vcc_hi, v53
	v_and_b32_e32 v53, exec_hi, v13
	v_lshlrev_b32_e32 v13, 30, v1
	v_xor_b32_e32 v52, vcc_lo, v52
	v_cmp_gt_i64_e32 vcc, 0, v[12:13]
	v_not_b32_e32 v13, v13
	v_ashrrev_i32_e32 v13, 31, v13
	v_and_b32_e32 v52, exec_lo, v52
	v_xor_b32_e32 v54, vcc_hi, v13
	v_xor_b32_e32 v13, vcc_lo, v13
	v_and_b32_e32 v52, v52, v13
	v_lshlrev_b32_e32 v13, 29, v1
	v_not_b32_e32 v1, v13
	v_cmp_gt_i64_e32 vcc, 0, v[12:13]
	v_ashrrev_i32_e32 v1, 31, v1
	v_and_b32_e32 v53, v53, v54
	v_xor_b32_e32 v13, vcc_hi, v1
	v_and_b32_e32 v53, v53, v13
	v_and_b32_e32 v13, 0xf0000000, v0
	v_not_b32_e32 v0, v13
	v_xor_b32_e32 v1, vcc_lo, v1
	v_cmp_gt_i64_e32 vcc, 0, v[12:13]
	v_ashrrev_i32_e32 v0, 31, v0
	v_and_b32_e32 v52, v52, v1
	v_xor_b32_e32 v1, vcc_hi, v0
	v_xor_b32_e32 v0, vcc_lo, v0
	v_and_b32_e32 v0, v52, v0
	v_and_b32_e32 v1, v53, v1
	v_mbcnt_lo_u32_b32 v13, v0, 0
	v_mbcnt_hi_u32_b32 v52, v1, v13
	v_cmp_eq_u32_e32 vcc, 0, v52
	v_cmp_ne_u64_e64 s[24:25], 0, v[0:1]
	s_and_b64 s[36:37], vcc, s[24:25]
	; wave barrier
	s_and_saveexec_b64 s[24:25], s[36:37]
	s_cbranch_execz .LBB74_28
; %bb.27:                               ;   in Loop: Header=BB74_4 Depth=2
	v_bcnt_u32_b32 v0, v0, 0
	v_bcnt_u32_b32 v0, v1, v0
	s_waitcnt lgkmcnt(0)
	v_add_u32_e32 v0, v50, v0
	ds_write_b32 v51, v0
.LBB74_28:                              ;   in Loop: Header=BB74_4 Depth=2
	s_or_b64 exec, exec, s[24:25]
	v_lshlrev_b32_sdwa v0, s34, v5 dst_sel:DWORD dst_unused:UNUSED_PAD src0_sel:DWORD src1_sel:BYTE_0
	v_lshrrev_b32_e32 v1, 28, v0
	v_mul_u32_u24_e32 v13, 5, v1
	v_add_lshl_u32 v13, v13, v14, 2
	; wave barrier
	v_add_u32_e32 v54, 16, v13
	ds_read_b32 v53, v13 offset:16
	v_bfe_u32 v13, v0, 28, 1
	v_add_co_u32_e32 v55, vcc, -1, v13
	v_addc_co_u32_e64 v56, s[24:25], 0, -1, vcc
	v_cmp_ne_u32_e32 vcc, 0, v13
	v_xor_b32_e32 v13, vcc_hi, v56
	v_and_b32_e32 v56, exec_hi, v13
	v_lshlrev_b32_e32 v13, 30, v1
	v_xor_b32_e32 v55, vcc_lo, v55
	v_cmp_gt_i64_e32 vcc, 0, v[12:13]
	v_not_b32_e32 v13, v13
	v_ashrrev_i32_e32 v13, 31, v13
	v_and_b32_e32 v55, exec_lo, v55
	v_xor_b32_e32 v57, vcc_hi, v13
	v_xor_b32_e32 v13, vcc_lo, v13
	v_and_b32_e32 v55, v55, v13
	v_lshlrev_b32_e32 v13, 29, v1
	v_not_b32_e32 v1, v13
	v_cmp_gt_i64_e32 vcc, 0, v[12:13]
	v_ashrrev_i32_e32 v1, 31, v1
	v_and_b32_e32 v56, v56, v57
	v_xor_b32_e32 v13, vcc_hi, v1
	v_and_b32_e32 v56, v56, v13
	v_and_b32_e32 v13, 0xf0000000, v0
	v_not_b32_e32 v0, v13
	v_xor_b32_e32 v1, vcc_lo, v1
	v_cmp_gt_i64_e32 vcc, 0, v[12:13]
	v_ashrrev_i32_e32 v0, 31, v0
	v_and_b32_e32 v55, v55, v1
	v_xor_b32_e32 v1, vcc_hi, v0
	v_xor_b32_e32 v0, vcc_lo, v0
	v_and_b32_e32 v0, v55, v0
	v_and_b32_e32 v1, v56, v1
	v_mbcnt_lo_u32_b32 v13, v0, 0
	v_mbcnt_hi_u32_b32 v55, v1, v13
	v_cmp_eq_u32_e32 vcc, 0, v55
	v_cmp_ne_u64_e64 s[24:25], 0, v[0:1]
	s_and_b64 s[36:37], vcc, s[24:25]
	; wave barrier
	s_and_saveexec_b64 s[24:25], s[36:37]
	s_cbranch_execz .LBB74_30
; %bb.29:                               ;   in Loop: Header=BB74_4 Depth=2
	v_bcnt_u32_b32 v0, v0, 0
	v_bcnt_u32_b32 v0, v1, v0
	s_waitcnt lgkmcnt(0)
	v_add_u32_e32 v0, v53, v0
	ds_write_b32 v54, v0
.LBB74_30:                              ;   in Loop: Header=BB74_4 Depth=2
	s_or_b64 exec, exec, s[24:25]
	v_lshlrev_b32_sdwa v0, s34, v5 dst_sel:DWORD dst_unused:UNUSED_PAD src0_sel:DWORD src1_sel:BYTE_1
	v_lshrrev_b32_e32 v1, 28, v0
	v_mul_u32_u24_e32 v13, 5, v1
	v_add_lshl_u32 v13, v13, v14, 2
	; wave barrier
	v_add_u32_e32 v57, 16, v13
	ds_read_b32 v56, v13 offset:16
	v_bfe_u32 v13, v0, 28, 1
	v_add_co_u32_e32 v58, vcc, -1, v13
	v_addc_co_u32_e64 v59, s[24:25], 0, -1, vcc
	v_cmp_ne_u32_e32 vcc, 0, v13
	v_xor_b32_e32 v13, vcc_hi, v59
	v_and_b32_e32 v59, exec_hi, v13
	v_lshlrev_b32_e32 v13, 30, v1
	v_xor_b32_e32 v58, vcc_lo, v58
	v_cmp_gt_i64_e32 vcc, 0, v[12:13]
	v_not_b32_e32 v13, v13
	v_ashrrev_i32_e32 v13, 31, v13
	v_and_b32_e32 v58, exec_lo, v58
	v_xor_b32_e32 v60, vcc_hi, v13
	v_xor_b32_e32 v13, vcc_lo, v13
	v_and_b32_e32 v58, v58, v13
	v_lshlrev_b32_e32 v13, 29, v1
	v_not_b32_e32 v1, v13
	v_cmp_gt_i64_e32 vcc, 0, v[12:13]
	v_ashrrev_i32_e32 v1, 31, v1
	v_and_b32_e32 v59, v59, v60
	v_xor_b32_e32 v13, vcc_hi, v1
	v_and_b32_e32 v59, v59, v13
	v_and_b32_e32 v13, 0xf0000000, v0
	v_not_b32_e32 v0, v13
	v_xor_b32_e32 v1, vcc_lo, v1
	v_cmp_gt_i64_e32 vcc, 0, v[12:13]
	v_ashrrev_i32_e32 v0, 31, v0
	v_and_b32_e32 v58, v58, v1
	v_xor_b32_e32 v1, vcc_hi, v0
	v_xor_b32_e32 v0, vcc_lo, v0
	v_and_b32_e32 v0, v58, v0
	v_and_b32_e32 v1, v59, v1
	v_mbcnt_lo_u32_b32 v13, v0, 0
	v_mbcnt_hi_u32_b32 v58, v1, v13
	v_cmp_eq_u32_e32 vcc, 0, v58
	v_cmp_ne_u64_e64 s[24:25], 0, v[0:1]
	s_and_b64 s[36:37], vcc, s[24:25]
	; wave barrier
	s_and_saveexec_b64 s[24:25], s[36:37]
	s_cbranch_execz .LBB74_32
; %bb.31:                               ;   in Loop: Header=BB74_4 Depth=2
	v_bcnt_u32_b32 v0, v0, 0
	v_bcnt_u32_b32 v0, v1, v0
	s_waitcnt lgkmcnt(0)
	v_add_u32_e32 v0, v56, v0
	ds_write_b32 v57, v0
.LBB74_32:                              ;   in Loop: Header=BB74_4 Depth=2
	s_or_b64 exec, exec, s[24:25]
	v_lshlrev_b32_sdwa v0, s34, v5 dst_sel:DWORD dst_unused:UNUSED_PAD src0_sel:DWORD src1_sel:BYTE_2
	v_lshrrev_b32_e32 v1, 28, v0
	v_mul_u32_u24_e32 v13, 5, v1
	v_add_lshl_u32 v13, v13, v14, 2
	; wave barrier
	v_add_u32_e32 v60, 16, v13
	ds_read_b32 v59, v13 offset:16
	v_bfe_u32 v13, v0, 28, 1
	v_add_co_u32_e32 v61, vcc, -1, v13
	v_addc_co_u32_e64 v62, s[24:25], 0, -1, vcc
	v_cmp_ne_u32_e32 vcc, 0, v13
	v_xor_b32_e32 v13, vcc_hi, v62
	v_and_b32_e32 v62, exec_hi, v13
	v_lshlrev_b32_e32 v13, 30, v1
	v_xor_b32_e32 v61, vcc_lo, v61
	v_cmp_gt_i64_e32 vcc, 0, v[12:13]
	v_not_b32_e32 v13, v13
	v_ashrrev_i32_e32 v13, 31, v13
	v_and_b32_e32 v61, exec_lo, v61
	v_xor_b32_e32 v63, vcc_hi, v13
	v_xor_b32_e32 v13, vcc_lo, v13
	v_and_b32_e32 v61, v61, v13
	v_lshlrev_b32_e32 v13, 29, v1
	v_not_b32_e32 v1, v13
	v_cmp_gt_i64_e32 vcc, 0, v[12:13]
	v_ashrrev_i32_e32 v1, 31, v1
	v_and_b32_e32 v62, v62, v63
	v_xor_b32_e32 v13, vcc_hi, v1
	v_and_b32_e32 v62, v62, v13
	v_and_b32_e32 v13, 0xf0000000, v0
	v_not_b32_e32 v0, v13
	v_xor_b32_e32 v1, vcc_lo, v1
	v_cmp_gt_i64_e32 vcc, 0, v[12:13]
	v_ashrrev_i32_e32 v0, 31, v0
	v_and_b32_e32 v61, v61, v1
	v_xor_b32_e32 v1, vcc_hi, v0
	v_xor_b32_e32 v0, vcc_lo, v0
	v_and_b32_e32 v0, v61, v0
	v_and_b32_e32 v1, v62, v1
	v_mbcnt_lo_u32_b32 v13, v0, 0
	v_mbcnt_hi_u32_b32 v61, v1, v13
	v_cmp_eq_u32_e32 vcc, 0, v61
	v_cmp_ne_u64_e64 s[24:25], 0, v[0:1]
	s_and_b64 s[36:37], vcc, s[24:25]
	; wave barrier
	s_and_saveexec_b64 s[24:25], s[36:37]
	s_cbranch_execz .LBB74_34
; %bb.33:                               ;   in Loop: Header=BB74_4 Depth=2
	v_bcnt_u32_b32 v0, v0, 0
	v_bcnt_u32_b32 v0, v1, v0
	s_waitcnt lgkmcnt(0)
	v_add_u32_e32 v0, v59, v0
	ds_write_b32 v60, v0
.LBB74_34:                              ;   in Loop: Header=BB74_4 Depth=2
	s_or_b64 exec, exec, s[24:25]
	v_lshlrev_b32_sdwa v0, s34, v5 dst_sel:DWORD dst_unused:UNUSED_PAD src0_sel:DWORD src1_sel:BYTE_3
	v_lshrrev_b32_e32 v1, 28, v0
	v_mul_u32_u24_e32 v13, 5, v1
	v_add_lshl_u32 v13, v13, v14, 2
	; wave barrier
	v_add_u32_e32 v63, 16, v13
	ds_read_b32 v62, v13 offset:16
	v_bfe_u32 v13, v0, 28, 1
	v_add_co_u32_e32 v64, vcc, -1, v13
	v_addc_co_u32_e64 v65, s[24:25], 0, -1, vcc
	v_cmp_ne_u32_e32 vcc, 0, v13
	v_xor_b32_e32 v13, vcc_hi, v65
	v_and_b32_e32 v65, exec_hi, v13
	v_lshlrev_b32_e32 v13, 30, v1
	v_xor_b32_e32 v64, vcc_lo, v64
	v_cmp_gt_i64_e32 vcc, 0, v[12:13]
	v_not_b32_e32 v13, v13
	v_ashrrev_i32_e32 v13, 31, v13
	v_and_b32_e32 v64, exec_lo, v64
	v_xor_b32_e32 v66, vcc_hi, v13
	v_xor_b32_e32 v13, vcc_lo, v13
	v_and_b32_e32 v64, v64, v13
	v_lshlrev_b32_e32 v13, 29, v1
	v_not_b32_e32 v1, v13
	v_cmp_gt_i64_e32 vcc, 0, v[12:13]
	v_ashrrev_i32_e32 v1, 31, v1
	v_and_b32_e32 v65, v65, v66
	v_xor_b32_e32 v13, vcc_hi, v1
	v_and_b32_e32 v65, v65, v13
	v_and_b32_e32 v13, 0xf0000000, v0
	v_not_b32_e32 v0, v13
	v_xor_b32_e32 v1, vcc_lo, v1
	v_cmp_gt_i64_e32 vcc, 0, v[12:13]
	v_ashrrev_i32_e32 v0, 31, v0
	v_and_b32_e32 v64, v64, v1
	v_xor_b32_e32 v1, vcc_hi, v0
	v_xor_b32_e32 v0, vcc_lo, v0
	v_and_b32_e32 v0, v64, v0
	v_and_b32_e32 v1, v65, v1
	v_mbcnt_lo_u32_b32 v13, v0, 0
	v_mbcnt_hi_u32_b32 v64, v1, v13
	v_cmp_eq_u32_e32 vcc, 0, v64
	v_cmp_ne_u64_e64 s[24:25], 0, v[0:1]
	s_and_b64 s[36:37], vcc, s[24:25]
	; wave barrier
	s_and_saveexec_b64 s[24:25], s[36:37]
	s_cbranch_execz .LBB74_36
; %bb.35:                               ;   in Loop: Header=BB74_4 Depth=2
	v_bcnt_u32_b32 v0, v0, 0
	v_bcnt_u32_b32 v0, v1, v0
	s_waitcnt lgkmcnt(0)
	v_add_u32_e32 v0, v62, v0
	ds_write_b32 v63, v0
.LBB74_36:                              ;   in Loop: Header=BB74_4 Depth=2
	s_or_b64 exec, exec, s[24:25]
	s_waitcnt vmcnt(0)
	v_lshlrev_b32_sdwa v0, s34, v6 dst_sel:DWORD dst_unused:UNUSED_PAD src0_sel:DWORD src1_sel:BYTE_0
	v_lshrrev_b32_e32 v1, 28, v0
	v_mul_u32_u24_e32 v13, 5, v1
	v_add_lshl_u32 v13, v13, v14, 2
	; wave barrier
	v_add_u32_e32 v66, 16, v13
	ds_read_b32 v65, v13 offset:16
	v_bfe_u32 v13, v0, 28, 1
	v_add_co_u32_e32 v67, vcc, -1, v13
	v_addc_co_u32_e64 v68, s[24:25], 0, -1, vcc
	v_cmp_ne_u32_e32 vcc, 0, v13
	v_xor_b32_e32 v13, vcc_hi, v68
	v_and_b32_e32 v68, exec_hi, v13
	v_lshlrev_b32_e32 v13, 30, v1
	v_xor_b32_e32 v67, vcc_lo, v67
	v_cmp_gt_i64_e32 vcc, 0, v[12:13]
	v_not_b32_e32 v13, v13
	v_ashrrev_i32_e32 v13, 31, v13
	v_and_b32_e32 v67, exec_lo, v67
	v_xor_b32_e32 v69, vcc_hi, v13
	v_xor_b32_e32 v13, vcc_lo, v13
	v_and_b32_e32 v67, v67, v13
	v_lshlrev_b32_e32 v13, 29, v1
	v_not_b32_e32 v1, v13
	v_cmp_gt_i64_e32 vcc, 0, v[12:13]
	v_ashrrev_i32_e32 v1, 31, v1
	v_and_b32_e32 v68, v68, v69
	v_xor_b32_e32 v13, vcc_hi, v1
	v_and_b32_e32 v68, v68, v13
	v_and_b32_e32 v13, 0xf0000000, v0
	v_not_b32_e32 v0, v13
	v_xor_b32_e32 v1, vcc_lo, v1
	v_cmp_gt_i64_e32 vcc, 0, v[12:13]
	v_ashrrev_i32_e32 v0, 31, v0
	v_and_b32_e32 v67, v67, v1
	v_xor_b32_e32 v1, vcc_hi, v0
	v_xor_b32_e32 v0, vcc_lo, v0
	v_and_b32_e32 v0, v67, v0
	v_and_b32_e32 v1, v68, v1
	v_mbcnt_lo_u32_b32 v13, v0, 0
	v_mbcnt_hi_u32_b32 v67, v1, v13
	v_cmp_eq_u32_e32 vcc, 0, v67
	v_cmp_ne_u64_e64 s[24:25], 0, v[0:1]
	s_and_b64 s[36:37], vcc, s[24:25]
	; wave barrier
	s_and_saveexec_b64 s[24:25], s[36:37]
	s_cbranch_execz .LBB74_38
; %bb.37:                               ;   in Loop: Header=BB74_4 Depth=2
	v_bcnt_u32_b32 v0, v0, 0
	v_bcnt_u32_b32 v0, v1, v0
	s_waitcnt lgkmcnt(0)
	v_add_u32_e32 v0, v65, v0
	ds_write_b32 v66, v0
.LBB74_38:                              ;   in Loop: Header=BB74_4 Depth=2
	s_or_b64 exec, exec, s[24:25]
	v_lshlrev_b32_sdwa v0, s34, v6 dst_sel:DWORD dst_unused:UNUSED_PAD src0_sel:DWORD src1_sel:BYTE_1
	v_lshrrev_b32_e32 v1, 28, v0
	v_mul_u32_u24_e32 v13, 5, v1
	v_add_lshl_u32 v13, v13, v14, 2
	; wave barrier
	v_add_u32_e32 v69, 16, v13
	ds_read_b32 v68, v13 offset:16
	v_bfe_u32 v13, v0, 28, 1
	v_add_co_u32_e32 v70, vcc, -1, v13
	v_addc_co_u32_e64 v71, s[24:25], 0, -1, vcc
	v_cmp_ne_u32_e32 vcc, 0, v13
	v_xor_b32_e32 v13, vcc_hi, v71
	v_and_b32_e32 v71, exec_hi, v13
	v_lshlrev_b32_e32 v13, 30, v1
	v_xor_b32_e32 v70, vcc_lo, v70
	v_cmp_gt_i64_e32 vcc, 0, v[12:13]
	v_not_b32_e32 v13, v13
	v_ashrrev_i32_e32 v13, 31, v13
	v_and_b32_e32 v70, exec_lo, v70
	v_xor_b32_e32 v72, vcc_hi, v13
	v_xor_b32_e32 v13, vcc_lo, v13
	v_and_b32_e32 v70, v70, v13
	v_lshlrev_b32_e32 v13, 29, v1
	v_not_b32_e32 v1, v13
	v_cmp_gt_i64_e32 vcc, 0, v[12:13]
	v_ashrrev_i32_e32 v1, 31, v1
	v_and_b32_e32 v71, v71, v72
	v_xor_b32_e32 v13, vcc_hi, v1
	v_and_b32_e32 v71, v71, v13
	v_and_b32_e32 v13, 0xf0000000, v0
	v_not_b32_e32 v0, v13
	v_xor_b32_e32 v1, vcc_lo, v1
	v_cmp_gt_i64_e32 vcc, 0, v[12:13]
	v_ashrrev_i32_e32 v0, 31, v0
	v_and_b32_e32 v70, v70, v1
	v_xor_b32_e32 v1, vcc_hi, v0
	v_xor_b32_e32 v0, vcc_lo, v0
	v_and_b32_e32 v0, v70, v0
	v_and_b32_e32 v1, v71, v1
	v_mbcnt_lo_u32_b32 v13, v0, 0
	v_mbcnt_hi_u32_b32 v70, v1, v13
	v_cmp_eq_u32_e32 vcc, 0, v70
	v_cmp_ne_u64_e64 s[24:25], 0, v[0:1]
	s_and_b64 s[36:37], vcc, s[24:25]
	; wave barrier
	s_and_saveexec_b64 s[24:25], s[36:37]
	s_cbranch_execz .LBB74_40
; %bb.39:                               ;   in Loop: Header=BB74_4 Depth=2
	v_bcnt_u32_b32 v0, v0, 0
	v_bcnt_u32_b32 v0, v1, v0
	s_waitcnt lgkmcnt(0)
	v_add_u32_e32 v0, v68, v0
	ds_write_b32 v69, v0
.LBB74_40:                              ;   in Loop: Header=BB74_4 Depth=2
	s_or_b64 exec, exec, s[24:25]
	v_lshlrev_b32_sdwa v0, s34, v6 dst_sel:DWORD dst_unused:UNUSED_PAD src0_sel:DWORD src1_sel:BYTE_2
	v_lshrrev_b32_e32 v1, 28, v0
	v_mul_u32_u24_e32 v13, 5, v1
	v_add_lshl_u32 v13, v13, v14, 2
	; wave barrier
	v_add_u32_e32 v72, 16, v13
	ds_read_b32 v71, v13 offset:16
	v_bfe_u32 v13, v0, 28, 1
	v_add_co_u32_e32 v73, vcc, -1, v13
	v_addc_co_u32_e64 v74, s[24:25], 0, -1, vcc
	v_cmp_ne_u32_e32 vcc, 0, v13
	v_xor_b32_e32 v13, vcc_hi, v74
	v_and_b32_e32 v74, exec_hi, v13
	v_lshlrev_b32_e32 v13, 30, v1
	v_xor_b32_e32 v73, vcc_lo, v73
	v_cmp_gt_i64_e32 vcc, 0, v[12:13]
	v_not_b32_e32 v13, v13
	v_ashrrev_i32_e32 v13, 31, v13
	v_and_b32_e32 v73, exec_lo, v73
	v_xor_b32_e32 v75, vcc_hi, v13
	v_xor_b32_e32 v13, vcc_lo, v13
	v_and_b32_e32 v73, v73, v13
	v_lshlrev_b32_e32 v13, 29, v1
	v_not_b32_e32 v1, v13
	v_cmp_gt_i64_e32 vcc, 0, v[12:13]
	v_ashrrev_i32_e32 v1, 31, v1
	v_and_b32_e32 v74, v74, v75
	v_xor_b32_e32 v13, vcc_hi, v1
	v_and_b32_e32 v74, v74, v13
	v_and_b32_e32 v13, 0xf0000000, v0
	v_not_b32_e32 v0, v13
	v_xor_b32_e32 v1, vcc_lo, v1
	v_cmp_gt_i64_e32 vcc, 0, v[12:13]
	v_ashrrev_i32_e32 v0, 31, v0
	v_and_b32_e32 v73, v73, v1
	v_xor_b32_e32 v1, vcc_hi, v0
	v_xor_b32_e32 v0, vcc_lo, v0
	v_and_b32_e32 v0, v73, v0
	v_and_b32_e32 v1, v74, v1
	v_mbcnt_lo_u32_b32 v13, v0, 0
	v_mbcnt_hi_u32_b32 v73, v1, v13
	v_cmp_eq_u32_e32 vcc, 0, v73
	v_cmp_ne_u64_e64 s[24:25], 0, v[0:1]
	s_and_b64 s[36:37], vcc, s[24:25]
	; wave barrier
	s_and_saveexec_b64 s[24:25], s[36:37]
	s_cbranch_execz .LBB74_42
; %bb.41:                               ;   in Loop: Header=BB74_4 Depth=2
	v_bcnt_u32_b32 v0, v0, 0
	v_bcnt_u32_b32 v0, v1, v0
	s_waitcnt lgkmcnt(0)
	v_add_u32_e32 v0, v71, v0
	ds_write_b32 v72, v0
.LBB74_42:                              ;   in Loop: Header=BB74_4 Depth=2
	s_or_b64 exec, exec, s[24:25]
	v_lshlrev_b32_sdwa v0, s34, v6 dst_sel:DWORD dst_unused:UNUSED_PAD src0_sel:DWORD src1_sel:BYTE_3
	v_lshrrev_b32_e32 v1, 28, v0
	v_mul_u32_u24_e32 v13, 5, v1
	v_add_lshl_u32 v13, v13, v14, 2
	; wave barrier
	v_add_u32_e32 v75, 16, v13
	ds_read_b32 v74, v13 offset:16
	v_bfe_u32 v13, v0, 28, 1
	v_add_co_u32_e32 v76, vcc, -1, v13
	v_addc_co_u32_e64 v77, s[24:25], 0, -1, vcc
	v_cmp_ne_u32_e32 vcc, 0, v13
	v_xor_b32_e32 v13, vcc_hi, v77
	v_and_b32_e32 v77, exec_hi, v13
	v_lshlrev_b32_e32 v13, 30, v1
	v_xor_b32_e32 v76, vcc_lo, v76
	v_cmp_gt_i64_e32 vcc, 0, v[12:13]
	v_not_b32_e32 v13, v13
	v_ashrrev_i32_e32 v13, 31, v13
	v_and_b32_e32 v76, exec_lo, v76
	v_xor_b32_e32 v78, vcc_hi, v13
	v_xor_b32_e32 v13, vcc_lo, v13
	v_and_b32_e32 v76, v76, v13
	v_lshlrev_b32_e32 v13, 29, v1
	v_not_b32_e32 v1, v13
	v_cmp_gt_i64_e32 vcc, 0, v[12:13]
	v_ashrrev_i32_e32 v1, 31, v1
	v_and_b32_e32 v77, v77, v78
	v_xor_b32_e32 v13, vcc_hi, v1
	v_and_b32_e32 v77, v77, v13
	v_and_b32_e32 v13, 0xf0000000, v0
	v_not_b32_e32 v0, v13
	v_xor_b32_e32 v1, vcc_lo, v1
	v_cmp_gt_i64_e32 vcc, 0, v[12:13]
	v_ashrrev_i32_e32 v0, 31, v0
	v_and_b32_e32 v76, v76, v1
	v_xor_b32_e32 v1, vcc_hi, v0
	v_xor_b32_e32 v0, vcc_lo, v0
	v_and_b32_e32 v0, v76, v0
	v_and_b32_e32 v1, v77, v1
	v_mbcnt_lo_u32_b32 v13, v0, 0
	v_mbcnt_hi_u32_b32 v76, v1, v13
	v_cmp_eq_u32_e32 vcc, 0, v76
	v_cmp_ne_u64_e64 s[24:25], 0, v[0:1]
	s_and_b64 s[36:37], vcc, s[24:25]
	; wave barrier
	s_and_saveexec_b64 s[24:25], s[36:37]
	s_cbranch_execz .LBB74_44
; %bb.43:                               ;   in Loop: Header=BB74_4 Depth=2
	v_bcnt_u32_b32 v0, v0, 0
	v_bcnt_u32_b32 v0, v1, v0
	s_waitcnt lgkmcnt(0)
	v_add_u32_e32 v0, v74, v0
	ds_write_b32 v75, v0
.LBB74_44:                              ;   in Loop: Header=BB74_4 Depth=2
	s_or_b64 exec, exec, s[24:25]
	v_lshlrev_b32_sdwa v0, s34, v7 dst_sel:DWORD dst_unused:UNUSED_PAD src0_sel:DWORD src1_sel:BYTE_0
	v_lshrrev_b32_e32 v1, 28, v0
	v_mul_u32_u24_e32 v13, 5, v1
	v_add_lshl_u32 v13, v13, v14, 2
	; wave barrier
	v_add_u32_e32 v78, 16, v13
	ds_read_b32 v77, v13 offset:16
	v_bfe_u32 v13, v0, 28, 1
	v_add_co_u32_e32 v79, vcc, -1, v13
	v_addc_co_u32_e64 v80, s[24:25], 0, -1, vcc
	v_cmp_ne_u32_e32 vcc, 0, v13
	v_xor_b32_e32 v13, vcc_hi, v80
	v_and_b32_e32 v80, exec_hi, v13
	v_lshlrev_b32_e32 v13, 30, v1
	v_xor_b32_e32 v79, vcc_lo, v79
	v_cmp_gt_i64_e32 vcc, 0, v[12:13]
	v_not_b32_e32 v13, v13
	v_ashrrev_i32_e32 v13, 31, v13
	v_and_b32_e32 v79, exec_lo, v79
	v_xor_b32_e32 v81, vcc_hi, v13
	v_xor_b32_e32 v13, vcc_lo, v13
	v_and_b32_e32 v79, v79, v13
	v_lshlrev_b32_e32 v13, 29, v1
	v_not_b32_e32 v1, v13
	v_cmp_gt_i64_e32 vcc, 0, v[12:13]
	v_ashrrev_i32_e32 v1, 31, v1
	v_and_b32_e32 v80, v80, v81
	v_xor_b32_e32 v13, vcc_hi, v1
	v_and_b32_e32 v80, v80, v13
	v_and_b32_e32 v13, 0xf0000000, v0
	v_not_b32_e32 v0, v13
	v_xor_b32_e32 v1, vcc_lo, v1
	v_cmp_gt_i64_e32 vcc, 0, v[12:13]
	v_ashrrev_i32_e32 v0, 31, v0
	v_and_b32_e32 v79, v79, v1
	v_xor_b32_e32 v1, vcc_hi, v0
	v_xor_b32_e32 v0, vcc_lo, v0
	v_and_b32_e32 v0, v79, v0
	v_and_b32_e32 v1, v80, v1
	v_mbcnt_lo_u32_b32 v13, v0, 0
	v_mbcnt_hi_u32_b32 v79, v1, v13
	v_cmp_eq_u32_e32 vcc, 0, v79
	v_cmp_ne_u64_e64 s[24:25], 0, v[0:1]
	s_and_b64 s[36:37], vcc, s[24:25]
	; wave barrier
	s_and_saveexec_b64 s[24:25], s[36:37]
	s_cbranch_execz .LBB74_46
; %bb.45:                               ;   in Loop: Header=BB74_4 Depth=2
	v_bcnt_u32_b32 v0, v0, 0
	v_bcnt_u32_b32 v0, v1, v0
	s_waitcnt lgkmcnt(0)
	v_add_u32_e32 v0, v77, v0
	ds_write_b32 v78, v0
.LBB74_46:                              ;   in Loop: Header=BB74_4 Depth=2
	s_or_b64 exec, exec, s[24:25]
	v_lshlrev_b32_sdwa v0, s34, v7 dst_sel:DWORD dst_unused:UNUSED_PAD src0_sel:DWORD src1_sel:BYTE_1
	v_lshrrev_b32_e32 v1, 28, v0
	v_mul_u32_u24_e32 v13, 5, v1
	v_add_lshl_u32 v13, v13, v14, 2
	; wave barrier
	v_add_u32_e32 v81, 16, v13
	ds_read_b32 v80, v13 offset:16
	v_bfe_u32 v13, v0, 28, 1
	v_add_co_u32_e32 v82, vcc, -1, v13
	v_addc_co_u32_e64 v83, s[24:25], 0, -1, vcc
	v_cmp_ne_u32_e32 vcc, 0, v13
	v_xor_b32_e32 v13, vcc_hi, v83
	v_and_b32_e32 v83, exec_hi, v13
	v_lshlrev_b32_e32 v13, 30, v1
	v_xor_b32_e32 v82, vcc_lo, v82
	v_cmp_gt_i64_e32 vcc, 0, v[12:13]
	v_not_b32_e32 v13, v13
	v_ashrrev_i32_e32 v13, 31, v13
	v_and_b32_e32 v82, exec_lo, v82
	v_xor_b32_e32 v84, vcc_hi, v13
	v_xor_b32_e32 v13, vcc_lo, v13
	v_and_b32_e32 v82, v82, v13
	v_lshlrev_b32_e32 v13, 29, v1
	v_not_b32_e32 v1, v13
	v_cmp_gt_i64_e32 vcc, 0, v[12:13]
	v_ashrrev_i32_e32 v1, 31, v1
	v_and_b32_e32 v83, v83, v84
	v_xor_b32_e32 v13, vcc_hi, v1
	v_and_b32_e32 v83, v83, v13
	v_and_b32_e32 v13, 0xf0000000, v0
	v_not_b32_e32 v0, v13
	v_xor_b32_e32 v1, vcc_lo, v1
	v_cmp_gt_i64_e32 vcc, 0, v[12:13]
	v_ashrrev_i32_e32 v0, 31, v0
	v_and_b32_e32 v82, v82, v1
	v_xor_b32_e32 v1, vcc_hi, v0
	v_xor_b32_e32 v0, vcc_lo, v0
	v_and_b32_e32 v0, v82, v0
	v_and_b32_e32 v1, v83, v1
	v_mbcnt_lo_u32_b32 v13, v0, 0
	v_mbcnt_hi_u32_b32 v82, v1, v13
	v_cmp_eq_u32_e32 vcc, 0, v82
	v_cmp_ne_u64_e64 s[24:25], 0, v[0:1]
	s_and_b64 s[36:37], vcc, s[24:25]
	; wave barrier
	s_and_saveexec_b64 s[24:25], s[36:37]
	s_cbranch_execz .LBB74_48
; %bb.47:                               ;   in Loop: Header=BB74_4 Depth=2
	v_bcnt_u32_b32 v0, v0, 0
	v_bcnt_u32_b32 v0, v1, v0
	s_waitcnt lgkmcnt(0)
	v_add_u32_e32 v0, v80, v0
	ds_write_b32 v81, v0
.LBB74_48:                              ;   in Loop: Header=BB74_4 Depth=2
	s_or_b64 exec, exec, s[24:25]
	v_lshlrev_b32_sdwa v0, s34, v7 dst_sel:DWORD dst_unused:UNUSED_PAD src0_sel:DWORD src1_sel:BYTE_2
	v_lshrrev_b32_e32 v1, 28, v0
	v_mul_u32_u24_e32 v13, 5, v1
	v_add_lshl_u32 v13, v13, v14, 2
	; wave barrier
	v_add_u32_e32 v84, 16, v13
	ds_read_b32 v83, v13 offset:16
	v_bfe_u32 v13, v0, 28, 1
	v_add_co_u32_e32 v85, vcc, -1, v13
	v_addc_co_u32_e64 v86, s[24:25], 0, -1, vcc
	v_cmp_ne_u32_e32 vcc, 0, v13
	v_xor_b32_e32 v13, vcc_hi, v86
	v_and_b32_e32 v86, exec_hi, v13
	v_lshlrev_b32_e32 v13, 30, v1
	v_xor_b32_e32 v85, vcc_lo, v85
	v_cmp_gt_i64_e32 vcc, 0, v[12:13]
	v_not_b32_e32 v13, v13
	v_ashrrev_i32_e32 v13, 31, v13
	v_and_b32_e32 v85, exec_lo, v85
	v_xor_b32_e32 v87, vcc_hi, v13
	v_xor_b32_e32 v13, vcc_lo, v13
	v_and_b32_e32 v85, v85, v13
	v_lshlrev_b32_e32 v13, 29, v1
	v_not_b32_e32 v1, v13
	v_cmp_gt_i64_e32 vcc, 0, v[12:13]
	v_ashrrev_i32_e32 v1, 31, v1
	v_and_b32_e32 v86, v86, v87
	v_xor_b32_e32 v13, vcc_hi, v1
	v_and_b32_e32 v86, v86, v13
	v_and_b32_e32 v13, 0xf0000000, v0
	v_not_b32_e32 v0, v13
	v_xor_b32_e32 v1, vcc_lo, v1
	v_cmp_gt_i64_e32 vcc, 0, v[12:13]
	v_ashrrev_i32_e32 v0, 31, v0
	v_and_b32_e32 v85, v85, v1
	v_xor_b32_e32 v1, vcc_hi, v0
	v_xor_b32_e32 v0, vcc_lo, v0
	v_and_b32_e32 v0, v85, v0
	v_and_b32_e32 v1, v86, v1
	v_mbcnt_lo_u32_b32 v13, v0, 0
	v_mbcnt_hi_u32_b32 v85, v1, v13
	v_cmp_eq_u32_e32 vcc, 0, v85
	v_cmp_ne_u64_e64 s[24:25], 0, v[0:1]
	s_and_b64 s[36:37], vcc, s[24:25]
	; wave barrier
	s_and_saveexec_b64 s[24:25], s[36:37]
	s_cbranch_execz .LBB74_50
; %bb.49:                               ;   in Loop: Header=BB74_4 Depth=2
	v_bcnt_u32_b32 v0, v0, 0
	v_bcnt_u32_b32 v0, v1, v0
	s_waitcnt lgkmcnt(0)
	v_add_u32_e32 v0, v83, v0
	ds_write_b32 v84, v0
.LBB74_50:                              ;   in Loop: Header=BB74_4 Depth=2
	s_or_b64 exec, exec, s[24:25]
	v_lshlrev_b32_sdwa v0, s34, v7 dst_sel:DWORD dst_unused:UNUSED_PAD src0_sel:DWORD src1_sel:BYTE_3
	v_lshrrev_b32_e32 v1, 28, v0
	v_mul_u32_u24_e32 v13, 5, v1
	v_add_lshl_u32 v13, v13, v14, 2
	; wave barrier
	v_add_u32_e32 v87, 16, v13
	ds_read_b32 v86, v13 offset:16
	v_bfe_u32 v13, v0, 28, 1
	v_add_co_u32_e32 v88, vcc, -1, v13
	v_addc_co_u32_e64 v89, s[24:25], 0, -1, vcc
	v_cmp_ne_u32_e32 vcc, 0, v13
	v_xor_b32_e32 v13, vcc_hi, v89
	v_and_b32_e32 v89, exec_hi, v13
	v_lshlrev_b32_e32 v13, 30, v1
	v_xor_b32_e32 v88, vcc_lo, v88
	v_cmp_gt_i64_e32 vcc, 0, v[12:13]
	v_not_b32_e32 v13, v13
	v_ashrrev_i32_e32 v13, 31, v13
	v_and_b32_e32 v88, exec_lo, v88
	v_xor_b32_e32 v90, vcc_hi, v13
	v_xor_b32_e32 v13, vcc_lo, v13
	v_and_b32_e32 v88, v88, v13
	v_lshlrev_b32_e32 v13, 29, v1
	v_not_b32_e32 v1, v13
	v_cmp_gt_i64_e32 vcc, 0, v[12:13]
	v_ashrrev_i32_e32 v1, 31, v1
	v_and_b32_e32 v89, v89, v90
	v_xor_b32_e32 v13, vcc_hi, v1
	v_and_b32_e32 v89, v89, v13
	v_and_b32_e32 v13, 0xf0000000, v0
	v_not_b32_e32 v0, v13
	v_xor_b32_e32 v1, vcc_lo, v1
	v_cmp_gt_i64_e32 vcc, 0, v[12:13]
	v_ashrrev_i32_e32 v0, 31, v0
	v_and_b32_e32 v88, v88, v1
	v_xor_b32_e32 v1, vcc_hi, v0
	v_xor_b32_e32 v0, vcc_lo, v0
	v_and_b32_e32 v0, v88, v0
	v_and_b32_e32 v1, v89, v1
	v_mbcnt_lo_u32_b32 v13, v0, 0
	v_mbcnt_hi_u32_b32 v88, v1, v13
	v_cmp_eq_u32_e32 vcc, 0, v88
	v_cmp_ne_u64_e64 s[24:25], 0, v[0:1]
	s_and_b64 s[36:37], vcc, s[24:25]
	; wave barrier
	s_and_saveexec_b64 s[24:25], s[36:37]
	s_cbranch_execz .LBB74_52
; %bb.51:                               ;   in Loop: Header=BB74_4 Depth=2
	v_bcnt_u32_b32 v0, v0, 0
	v_bcnt_u32_b32 v0, v1, v0
	s_waitcnt lgkmcnt(0)
	v_add_u32_e32 v0, v86, v0
	ds_write_b32 v87, v0
.LBB74_52:                              ;   in Loop: Header=BB74_4 Depth=2
	s_or_b64 exec, exec, s[24:25]
	v_lshlrev_b32_sdwa v0, s34, v8 dst_sel:DWORD dst_unused:UNUSED_PAD src0_sel:DWORD src1_sel:BYTE_0
	v_lshrrev_b32_e32 v1, 28, v0
	v_mul_u32_u24_e32 v13, 5, v1
	v_add_lshl_u32 v13, v13, v14, 2
	; wave barrier
	v_add_u32_e32 v90, 16, v13
	ds_read_b32 v89, v13 offset:16
	v_bfe_u32 v13, v0, 28, 1
	v_add_co_u32_e32 v91, vcc, -1, v13
	v_addc_co_u32_e64 v92, s[24:25], 0, -1, vcc
	v_cmp_ne_u32_e32 vcc, 0, v13
	v_xor_b32_e32 v13, vcc_hi, v92
	v_and_b32_e32 v92, exec_hi, v13
	v_lshlrev_b32_e32 v13, 30, v1
	v_xor_b32_e32 v91, vcc_lo, v91
	v_cmp_gt_i64_e32 vcc, 0, v[12:13]
	v_not_b32_e32 v13, v13
	v_ashrrev_i32_e32 v13, 31, v13
	v_and_b32_e32 v91, exec_lo, v91
	v_xor_b32_e32 v93, vcc_hi, v13
	v_xor_b32_e32 v13, vcc_lo, v13
	v_and_b32_e32 v91, v91, v13
	v_lshlrev_b32_e32 v13, 29, v1
	v_not_b32_e32 v1, v13
	v_cmp_gt_i64_e32 vcc, 0, v[12:13]
	v_ashrrev_i32_e32 v1, 31, v1
	v_and_b32_e32 v92, v92, v93
	v_xor_b32_e32 v13, vcc_hi, v1
	v_and_b32_e32 v92, v92, v13
	v_and_b32_e32 v13, 0xf0000000, v0
	v_not_b32_e32 v0, v13
	v_xor_b32_e32 v1, vcc_lo, v1
	v_cmp_gt_i64_e32 vcc, 0, v[12:13]
	v_ashrrev_i32_e32 v0, 31, v0
	v_and_b32_e32 v91, v91, v1
	v_xor_b32_e32 v1, vcc_hi, v0
	v_xor_b32_e32 v0, vcc_lo, v0
	v_and_b32_e32 v0, v91, v0
	v_and_b32_e32 v1, v92, v1
	v_mbcnt_lo_u32_b32 v13, v0, 0
	v_mbcnt_hi_u32_b32 v91, v1, v13
	v_cmp_eq_u32_e32 vcc, 0, v91
	v_cmp_ne_u64_e64 s[24:25], 0, v[0:1]
	s_and_b64 s[36:37], vcc, s[24:25]
	; wave barrier
	s_and_saveexec_b64 s[24:25], s[36:37]
	s_cbranch_execz .LBB74_54
; %bb.53:                               ;   in Loop: Header=BB74_4 Depth=2
	v_bcnt_u32_b32 v0, v0, 0
	v_bcnt_u32_b32 v0, v1, v0
	s_waitcnt lgkmcnt(0)
	v_add_u32_e32 v0, v89, v0
	ds_write_b32 v90, v0
.LBB74_54:                              ;   in Loop: Header=BB74_4 Depth=2
	s_or_b64 exec, exec, s[24:25]
	v_lshlrev_b32_sdwa v0, s34, v8 dst_sel:DWORD dst_unused:UNUSED_PAD src0_sel:DWORD src1_sel:BYTE_1
	v_lshrrev_b32_e32 v1, 28, v0
	v_mul_u32_u24_e32 v13, 5, v1
	v_add_lshl_u32 v13, v13, v14, 2
	; wave barrier
	v_add_u32_e32 v93, 16, v13
	ds_read_b32 v92, v13 offset:16
	v_bfe_u32 v13, v0, 28, 1
	v_add_co_u32_e32 v94, vcc, -1, v13
	v_addc_co_u32_e64 v95, s[24:25], 0, -1, vcc
	v_cmp_ne_u32_e32 vcc, 0, v13
	v_xor_b32_e32 v13, vcc_hi, v95
	v_and_b32_e32 v95, exec_hi, v13
	v_lshlrev_b32_e32 v13, 30, v1
	v_xor_b32_e32 v94, vcc_lo, v94
	v_cmp_gt_i64_e32 vcc, 0, v[12:13]
	v_not_b32_e32 v13, v13
	v_ashrrev_i32_e32 v13, 31, v13
	v_and_b32_e32 v94, exec_lo, v94
	v_xor_b32_e32 v96, vcc_hi, v13
	v_xor_b32_e32 v13, vcc_lo, v13
	v_and_b32_e32 v94, v94, v13
	v_lshlrev_b32_e32 v13, 29, v1
	v_not_b32_e32 v1, v13
	v_cmp_gt_i64_e32 vcc, 0, v[12:13]
	v_ashrrev_i32_e32 v1, 31, v1
	v_and_b32_e32 v95, v95, v96
	v_xor_b32_e32 v13, vcc_hi, v1
	v_and_b32_e32 v95, v95, v13
	v_and_b32_e32 v13, 0xf0000000, v0
	v_not_b32_e32 v0, v13
	v_xor_b32_e32 v1, vcc_lo, v1
	v_cmp_gt_i64_e32 vcc, 0, v[12:13]
	v_ashrrev_i32_e32 v0, 31, v0
	v_and_b32_e32 v94, v94, v1
	v_xor_b32_e32 v1, vcc_hi, v0
	v_xor_b32_e32 v0, vcc_lo, v0
	v_and_b32_e32 v0, v94, v0
	v_and_b32_e32 v1, v95, v1
	v_mbcnt_lo_u32_b32 v13, v0, 0
	v_mbcnt_hi_u32_b32 v94, v1, v13
	v_cmp_eq_u32_e32 vcc, 0, v94
	v_cmp_ne_u64_e64 s[24:25], 0, v[0:1]
	s_and_b64 s[36:37], vcc, s[24:25]
	; wave barrier
	s_and_saveexec_b64 s[24:25], s[36:37]
	s_cbranch_execz .LBB74_56
; %bb.55:                               ;   in Loop: Header=BB74_4 Depth=2
	v_bcnt_u32_b32 v0, v0, 0
	v_bcnt_u32_b32 v0, v1, v0
	s_waitcnt lgkmcnt(0)
	v_add_u32_e32 v0, v92, v0
	ds_write_b32 v93, v0
.LBB74_56:                              ;   in Loop: Header=BB74_4 Depth=2
	s_or_b64 exec, exec, s[24:25]
	v_lshlrev_b32_sdwa v0, s34, v8 dst_sel:DWORD dst_unused:UNUSED_PAD src0_sel:DWORD src1_sel:BYTE_2
	v_lshrrev_b32_e32 v1, 28, v0
	v_mul_u32_u24_e32 v13, 5, v1
	v_add_lshl_u32 v13, v13, v14, 2
	; wave barrier
	v_add_u32_e32 v96, 16, v13
	ds_read_b32 v95, v13 offset:16
	v_bfe_u32 v13, v0, 28, 1
	v_add_co_u32_e32 v97, vcc, -1, v13
	v_addc_co_u32_e64 v98, s[24:25], 0, -1, vcc
	v_cmp_ne_u32_e32 vcc, 0, v13
	v_xor_b32_e32 v13, vcc_hi, v98
	v_and_b32_e32 v98, exec_hi, v13
	v_lshlrev_b32_e32 v13, 30, v1
	v_xor_b32_e32 v97, vcc_lo, v97
	v_cmp_gt_i64_e32 vcc, 0, v[12:13]
	v_not_b32_e32 v13, v13
	v_ashrrev_i32_e32 v13, 31, v13
	v_and_b32_e32 v97, exec_lo, v97
	v_xor_b32_e32 v99, vcc_hi, v13
	v_xor_b32_e32 v13, vcc_lo, v13
	v_and_b32_e32 v97, v97, v13
	v_lshlrev_b32_e32 v13, 29, v1
	v_not_b32_e32 v1, v13
	v_cmp_gt_i64_e32 vcc, 0, v[12:13]
	v_ashrrev_i32_e32 v1, 31, v1
	v_and_b32_e32 v98, v98, v99
	v_xor_b32_e32 v13, vcc_hi, v1
	v_and_b32_e32 v98, v98, v13
	v_and_b32_e32 v13, 0xf0000000, v0
	v_not_b32_e32 v0, v13
	v_xor_b32_e32 v1, vcc_lo, v1
	v_cmp_gt_i64_e32 vcc, 0, v[12:13]
	v_ashrrev_i32_e32 v0, 31, v0
	v_and_b32_e32 v97, v97, v1
	v_xor_b32_e32 v1, vcc_hi, v0
	v_xor_b32_e32 v0, vcc_lo, v0
	v_and_b32_e32 v0, v97, v0
	v_and_b32_e32 v1, v98, v1
	v_mbcnt_lo_u32_b32 v13, v0, 0
	v_mbcnt_hi_u32_b32 v97, v1, v13
	v_cmp_eq_u32_e32 vcc, 0, v97
	v_cmp_ne_u64_e64 s[24:25], 0, v[0:1]
	s_and_b64 s[36:37], vcc, s[24:25]
	; wave barrier
	s_and_saveexec_b64 s[24:25], s[36:37]
	s_cbranch_execz .LBB74_58
; %bb.57:                               ;   in Loop: Header=BB74_4 Depth=2
	v_bcnt_u32_b32 v0, v0, 0
	v_bcnt_u32_b32 v0, v1, v0
	s_waitcnt lgkmcnt(0)
	v_add_u32_e32 v0, v95, v0
	ds_write_b32 v96, v0
.LBB74_58:                              ;   in Loop: Header=BB74_4 Depth=2
	s_or_b64 exec, exec, s[24:25]
	v_lshlrev_b32_sdwa v0, s34, v8 dst_sel:DWORD dst_unused:UNUSED_PAD src0_sel:DWORD src1_sel:BYTE_3
	v_lshrrev_b32_e32 v1, 28, v0
	v_mul_u32_u24_e32 v13, 5, v1
	v_add_lshl_u32 v13, v13, v14, 2
	; wave barrier
	v_add_u32_e32 v99, 16, v13
	ds_read_b32 v98, v13 offset:16
	v_bfe_u32 v13, v0, 28, 1
	v_add_co_u32_e32 v100, vcc, -1, v13
	v_addc_co_u32_e64 v101, s[24:25], 0, -1, vcc
	v_cmp_ne_u32_e32 vcc, 0, v13
	v_xor_b32_e32 v13, vcc_hi, v101
	v_and_b32_e32 v101, exec_hi, v13
	v_lshlrev_b32_e32 v13, 30, v1
	v_xor_b32_e32 v100, vcc_lo, v100
	v_cmp_gt_i64_e32 vcc, 0, v[12:13]
	v_not_b32_e32 v13, v13
	v_ashrrev_i32_e32 v13, 31, v13
	v_and_b32_e32 v100, exec_lo, v100
	v_xor_b32_e32 v102, vcc_hi, v13
	v_xor_b32_e32 v13, vcc_lo, v13
	v_and_b32_e32 v100, v100, v13
	v_lshlrev_b32_e32 v13, 29, v1
	v_not_b32_e32 v1, v13
	v_cmp_gt_i64_e32 vcc, 0, v[12:13]
	v_ashrrev_i32_e32 v1, 31, v1
	v_and_b32_e32 v101, v101, v102
	v_xor_b32_e32 v13, vcc_hi, v1
	v_and_b32_e32 v101, v101, v13
	v_and_b32_e32 v13, 0xf0000000, v0
	v_not_b32_e32 v0, v13
	v_xor_b32_e32 v1, vcc_lo, v1
	v_cmp_gt_i64_e32 vcc, 0, v[12:13]
	v_ashrrev_i32_e32 v0, 31, v0
	v_and_b32_e32 v100, v100, v1
	v_xor_b32_e32 v1, vcc_hi, v0
	v_xor_b32_e32 v0, vcc_lo, v0
	v_and_b32_e32 v0, v100, v0
	v_and_b32_e32 v1, v101, v1
	v_mbcnt_lo_u32_b32 v13, v0, 0
	v_mbcnt_hi_u32_b32 v100, v1, v13
	v_cmp_eq_u32_e32 vcc, 0, v100
	v_cmp_ne_u64_e64 s[24:25], 0, v[0:1]
	s_and_b64 s[36:37], vcc, s[24:25]
	; wave barrier
	s_and_saveexec_b64 s[24:25], s[36:37]
	s_cbranch_execz .LBB74_60
; %bb.59:                               ;   in Loop: Header=BB74_4 Depth=2
	v_bcnt_u32_b32 v0, v0, 0
	v_bcnt_u32_b32 v0, v1, v0
	s_waitcnt lgkmcnt(0)
	v_add_u32_e32 v0, v98, v0
	ds_write_b32 v99, v0
.LBB74_60:                              ;   in Loop: Header=BB74_4 Depth=2
	s_or_b64 exec, exec, s[24:25]
	v_lshlrev_b32_sdwa v0, s34, v9 dst_sel:DWORD dst_unused:UNUSED_PAD src0_sel:DWORD src1_sel:BYTE_0
	v_lshrrev_b32_e32 v1, 28, v0
	v_mul_u32_u24_e32 v13, 5, v1
	v_add_lshl_u32 v13, v13, v14, 2
	; wave barrier
	v_add_u32_e32 v103, 16, v13
	ds_read_b32 v101, v13 offset:16
	v_bfe_u32 v13, v0, 28, 1
	v_add_co_u32_e32 v102, vcc, -1, v13
	v_addc_co_u32_e64 v104, s[24:25], 0, -1, vcc
	v_cmp_ne_u32_e32 vcc, 0, v13
	v_xor_b32_e32 v13, vcc_hi, v104
	v_and_b32_e32 v104, exec_hi, v13
	v_lshlrev_b32_e32 v13, 30, v1
	v_xor_b32_e32 v102, vcc_lo, v102
	v_cmp_gt_i64_e32 vcc, 0, v[12:13]
	v_not_b32_e32 v13, v13
	v_ashrrev_i32_e32 v13, 31, v13
	v_and_b32_e32 v102, exec_lo, v102
	v_xor_b32_e32 v105, vcc_hi, v13
	v_xor_b32_e32 v13, vcc_lo, v13
	v_and_b32_e32 v102, v102, v13
	v_lshlrev_b32_e32 v13, 29, v1
	v_not_b32_e32 v1, v13
	v_cmp_gt_i64_e32 vcc, 0, v[12:13]
	v_ashrrev_i32_e32 v1, 31, v1
	v_and_b32_e32 v104, v104, v105
	v_xor_b32_e32 v13, vcc_hi, v1
	v_and_b32_e32 v104, v104, v13
	v_and_b32_e32 v13, 0xf0000000, v0
	v_not_b32_e32 v0, v13
	v_xor_b32_e32 v1, vcc_lo, v1
	v_cmp_gt_i64_e32 vcc, 0, v[12:13]
	v_ashrrev_i32_e32 v0, 31, v0
	v_and_b32_e32 v102, v102, v1
	v_xor_b32_e32 v1, vcc_hi, v0
	v_xor_b32_e32 v0, vcc_lo, v0
	v_and_b32_e32 v0, v102, v0
	v_and_b32_e32 v1, v104, v1
	v_mbcnt_lo_u32_b32 v13, v0, 0
	v_mbcnt_hi_u32_b32 v102, v1, v13
	v_cmp_eq_u32_e32 vcc, 0, v102
	v_cmp_ne_u64_e64 s[24:25], 0, v[0:1]
	s_and_b64 s[36:37], vcc, s[24:25]
	; wave barrier
	s_and_saveexec_b64 s[24:25], s[36:37]
	s_cbranch_execz .LBB74_62
; %bb.61:                               ;   in Loop: Header=BB74_4 Depth=2
	v_bcnt_u32_b32 v0, v0, 0
	v_bcnt_u32_b32 v0, v1, v0
	s_waitcnt lgkmcnt(0)
	v_add_u32_e32 v0, v101, v0
	ds_write_b32 v103, v0
.LBB74_62:                              ;   in Loop: Header=BB74_4 Depth=2
	s_or_b64 exec, exec, s[24:25]
	v_lshlrev_b32_sdwa v0, s34, v9 dst_sel:DWORD dst_unused:UNUSED_PAD src0_sel:DWORD src1_sel:BYTE_1
	v_lshrrev_b32_e32 v1, 28, v0
	v_mul_u32_u24_e32 v13, 5, v1
	v_add_lshl_u32 v13, v13, v14, 2
	; wave barrier
	v_add_u32_e32 v106, 16, v13
	ds_read_b32 v104, v13 offset:16
	v_bfe_u32 v13, v0, 28, 1
	v_add_co_u32_e32 v105, vcc, -1, v13
	v_addc_co_u32_e64 v107, s[24:25], 0, -1, vcc
	v_cmp_ne_u32_e32 vcc, 0, v13
	v_xor_b32_e32 v13, vcc_hi, v107
	v_and_b32_e32 v107, exec_hi, v13
	v_lshlrev_b32_e32 v13, 30, v1
	v_xor_b32_e32 v105, vcc_lo, v105
	v_cmp_gt_i64_e32 vcc, 0, v[12:13]
	v_not_b32_e32 v13, v13
	v_ashrrev_i32_e32 v13, 31, v13
	v_and_b32_e32 v105, exec_lo, v105
	v_xor_b32_e32 v108, vcc_hi, v13
	v_xor_b32_e32 v13, vcc_lo, v13
	v_and_b32_e32 v105, v105, v13
	v_lshlrev_b32_e32 v13, 29, v1
	v_not_b32_e32 v1, v13
	v_cmp_gt_i64_e32 vcc, 0, v[12:13]
	v_ashrrev_i32_e32 v1, 31, v1
	v_and_b32_e32 v107, v107, v108
	v_xor_b32_e32 v13, vcc_hi, v1
	v_and_b32_e32 v107, v107, v13
	v_and_b32_e32 v13, 0xf0000000, v0
	v_not_b32_e32 v0, v13
	v_xor_b32_e32 v1, vcc_lo, v1
	v_cmp_gt_i64_e32 vcc, 0, v[12:13]
	v_ashrrev_i32_e32 v0, 31, v0
	v_and_b32_e32 v105, v105, v1
	v_xor_b32_e32 v1, vcc_hi, v0
	v_xor_b32_e32 v0, vcc_lo, v0
	v_and_b32_e32 v0, v105, v0
	v_and_b32_e32 v1, v107, v1
	v_mbcnt_lo_u32_b32 v13, v0, 0
	v_mbcnt_hi_u32_b32 v105, v1, v13
	v_cmp_eq_u32_e32 vcc, 0, v105
	v_cmp_ne_u64_e64 s[24:25], 0, v[0:1]
	s_and_b64 s[36:37], vcc, s[24:25]
	; wave barrier
	s_and_saveexec_b64 s[24:25], s[36:37]
	s_cbranch_execz .LBB74_64
; %bb.63:                               ;   in Loop: Header=BB74_4 Depth=2
	v_bcnt_u32_b32 v0, v0, 0
	v_bcnt_u32_b32 v0, v1, v0
	s_waitcnt lgkmcnt(0)
	v_add_u32_e32 v0, v104, v0
	ds_write_b32 v106, v0
.LBB74_64:                              ;   in Loop: Header=BB74_4 Depth=2
	s_or_b64 exec, exec, s[24:25]
	v_lshlrev_b32_sdwa v0, s34, v9 dst_sel:DWORD dst_unused:UNUSED_PAD src0_sel:DWORD src1_sel:BYTE_2
	v_lshrrev_b32_e32 v1, 28, v0
	v_mul_u32_u24_e32 v13, 5, v1
	v_add_lshl_u32 v13, v13, v14, 2
	; wave barrier
	v_add_u32_e32 v109, 16, v13
	ds_read_b32 v107, v13 offset:16
	v_bfe_u32 v13, v0, 28, 1
	v_add_co_u32_e32 v108, vcc, -1, v13
	v_addc_co_u32_e64 v110, s[24:25], 0, -1, vcc
	v_cmp_ne_u32_e32 vcc, 0, v13
	v_xor_b32_e32 v13, vcc_hi, v110
	v_and_b32_e32 v110, exec_hi, v13
	v_lshlrev_b32_e32 v13, 30, v1
	v_xor_b32_e32 v108, vcc_lo, v108
	v_cmp_gt_i64_e32 vcc, 0, v[12:13]
	v_not_b32_e32 v13, v13
	v_ashrrev_i32_e32 v13, 31, v13
	v_and_b32_e32 v108, exec_lo, v108
	v_xor_b32_e32 v111, vcc_hi, v13
	v_xor_b32_e32 v13, vcc_lo, v13
	v_and_b32_e32 v108, v108, v13
	v_lshlrev_b32_e32 v13, 29, v1
	v_not_b32_e32 v1, v13
	v_cmp_gt_i64_e32 vcc, 0, v[12:13]
	v_ashrrev_i32_e32 v1, 31, v1
	v_and_b32_e32 v110, v110, v111
	v_xor_b32_e32 v13, vcc_hi, v1
	v_and_b32_e32 v110, v110, v13
	v_and_b32_e32 v13, 0xf0000000, v0
	v_not_b32_e32 v0, v13
	v_xor_b32_e32 v1, vcc_lo, v1
	v_cmp_gt_i64_e32 vcc, 0, v[12:13]
	v_ashrrev_i32_e32 v0, 31, v0
	v_and_b32_e32 v108, v108, v1
	v_xor_b32_e32 v1, vcc_hi, v0
	v_xor_b32_e32 v0, vcc_lo, v0
	v_and_b32_e32 v0, v108, v0
	v_and_b32_e32 v1, v110, v1
	v_mbcnt_lo_u32_b32 v13, v0, 0
	v_mbcnt_hi_u32_b32 v108, v1, v13
	v_cmp_eq_u32_e32 vcc, 0, v108
	v_cmp_ne_u64_e64 s[24:25], 0, v[0:1]
	s_and_b64 s[36:37], vcc, s[24:25]
	; wave barrier
	s_and_saveexec_b64 s[24:25], s[36:37]
	s_cbranch_execz .LBB74_66
; %bb.65:                               ;   in Loop: Header=BB74_4 Depth=2
	v_bcnt_u32_b32 v0, v0, 0
	v_bcnt_u32_b32 v0, v1, v0
	s_waitcnt lgkmcnt(0)
	v_add_u32_e32 v0, v107, v0
	ds_write_b32 v109, v0
.LBB74_66:                              ;   in Loop: Header=BB74_4 Depth=2
	s_or_b64 exec, exec, s[24:25]
	v_lshlrev_b32_sdwa v0, s34, v9 dst_sel:DWORD dst_unused:UNUSED_PAD src0_sel:DWORD src1_sel:BYTE_3
	v_lshrrev_b32_e32 v1, 28, v0
	v_mul_u32_u24_e32 v13, 5, v1
	v_add_lshl_u32 v13, v13, v14, 2
	; wave barrier
	v_add_u32_e32 v111, 16, v13
	ds_read_b32 v110, v13 offset:16
	v_bfe_u32 v13, v0, 28, 1
	v_add_co_u32_e32 v112, vcc, -1, v13
	v_addc_co_u32_e64 v113, s[24:25], 0, -1, vcc
	v_cmp_ne_u32_e32 vcc, 0, v13
	v_xor_b32_e32 v13, vcc_hi, v113
	v_and_b32_e32 v113, exec_hi, v13
	v_lshlrev_b32_e32 v13, 30, v1
	v_xor_b32_e32 v112, vcc_lo, v112
	v_cmp_gt_i64_e32 vcc, 0, v[12:13]
	v_not_b32_e32 v13, v13
	v_ashrrev_i32_e32 v13, 31, v13
	v_and_b32_e32 v112, exec_lo, v112
	v_xor_b32_e32 v114, vcc_hi, v13
	v_xor_b32_e32 v13, vcc_lo, v13
	v_and_b32_e32 v112, v112, v13
	v_lshlrev_b32_e32 v13, 29, v1
	v_not_b32_e32 v1, v13
	v_cmp_gt_i64_e32 vcc, 0, v[12:13]
	v_ashrrev_i32_e32 v1, 31, v1
	v_and_b32_e32 v113, v113, v114
	v_xor_b32_e32 v13, vcc_hi, v1
	v_and_b32_e32 v113, v113, v13
	v_and_b32_e32 v13, 0xf0000000, v0
	v_not_b32_e32 v0, v13
	v_xor_b32_e32 v1, vcc_lo, v1
	v_cmp_gt_i64_e32 vcc, 0, v[12:13]
	v_ashrrev_i32_e32 v0, 31, v0
	v_and_b32_e32 v112, v112, v1
	v_xor_b32_e32 v1, vcc_hi, v0
	v_xor_b32_e32 v0, vcc_lo, v0
	v_and_b32_e32 v0, v112, v0
	v_and_b32_e32 v1, v113, v1
	v_mbcnt_lo_u32_b32 v13, v0, 0
	v_mbcnt_hi_u32_b32 v13, v1, v13
	v_cmp_eq_u32_e32 vcc, 0, v13
	v_cmp_ne_u64_e64 s[24:25], 0, v[0:1]
	s_and_b64 s[34:35], vcc, s[24:25]
	; wave barrier
	s_and_saveexec_b64 s[24:25], s[34:35]
	s_cbranch_execz .LBB74_68
; %bb.67:                               ;   in Loop: Header=BB74_4 Depth=2
	v_bcnt_u32_b32 v0, v0, 0
	v_bcnt_u32_b32 v0, v1, v0
	s_waitcnt lgkmcnt(0)
	v_add_u32_e32 v0, v110, v0
	ds_write_b32 v111, v0
.LBB74_68:                              ;   in Loop: Header=BB74_4 Depth=2
	s_or_b64 exec, exec, s[24:25]
	; wave barrier
	s_waitcnt lgkmcnt(0)
	s_barrier
	ds_read_b32 v0, v15 offset:16
	s_waitcnt lgkmcnt(0)
	s_nop 0
	v_mov_b32_dpp v1, v0 row_shr:1 row_mask:0xf bank_mask:0xf
	v_cndmask_b32_e64 v1, v1, 0, s[0:1]
	v_add_u32_e32 v0, v1, v0
	s_nop 1
	v_mov_b32_dpp v1, v0 row_shr:2 row_mask:0xf bank_mask:0xf
	v_cndmask_b32_e64 v1, 0, v1, s[2:3]
	v_add_u32_e32 v0, v0, v1
	;; [unrolled: 4-line block ×4, first 2 shown]
	s_nop 1
	v_mov_b32_dpp v1, v0 row_bcast:15 row_mask:0xf bank_mask:0xf
	v_cndmask_b32_e64 v1, v1, 0, s[8:9]
	v_add_u32_e32 v0, v0, v1
	s_nop 1
	v_mov_b32_dpp v1, v0 row_bcast:31 row_mask:0xf bank_mask:0xf
	v_cndmask_b32_e64 v1, 0, v1, s[10:11]
	v_add_u32_e32 v0, v0, v1
	s_and_saveexec_b64 s[24:25], s[12:13]
	s_xor_b64 s[24:25], exec, s[24:25]
	s_cbranch_execz .LBB74_70
; %bb.69:                               ;   in Loop: Header=BB74_4 Depth=2
	ds_write_b32 v18, v0
.LBB74_70:                              ;   in Loop: Header=BB74_4 Depth=2
	s_or_b64 exec, exec, s[24:25]
	s_waitcnt lgkmcnt(0)
	s_barrier
	s_and_saveexec_b64 s[24:25], s[14:15]
	s_cbranch_execz .LBB74_72
; %bb.71:                               ;   in Loop: Header=BB74_4 Depth=2
	ds_read_b32 v1, v15
	s_waitcnt lgkmcnt(0)
	s_nop 0
	v_mov_b32_dpp v112, v1 row_shr:1 row_mask:0xf bank_mask:0xf
	v_cndmask_b32_e64 v112, v112, 0, s[20:21]
	v_add_u32_e32 v1, v112, v1
	s_nop 1
	v_mov_b32_dpp v112, v1 row_shr:2 row_mask:0xf bank_mask:0xf
	v_cndmask_b32_e64 v112, 0, v112, s[22:23]
	v_add_u32_e32 v1, v1, v112
	ds_write_b32 v15, v1
.LBB74_72:                              ;   in Loop: Header=BB74_4 Depth=2
	s_or_b64 exec, exec, s[24:25]
	v_mov_b32_e32 v1, 0
	s_waitcnt lgkmcnt(0)
	s_barrier
	s_and_saveexec_b64 s[24:25], s[16:17]
	s_cbranch_execz .LBB74_3
; %bb.73:                               ;   in Loop: Header=BB74_4 Depth=2
	ds_read_b32 v1, v19
	s_branch .LBB74_3
.LBB74_74:
	ds_read_b32 v0, v21
	ds_read_b32 v4, v37
	;; [unrolled: 1-line block ×8, first 2 shown]
	s_lshl_b64 s[0:1], s[28:29], 2
	s_add_u32 s0, s26, s0
	s_waitcnt lgkmcnt(7)
	v_add3_u32 v1, v22, v20, v0
	s_waitcnt lgkmcnt(3)
	v_add3_u32 v3, v28, v26, v2
	;; [unrolled: 2-line block ×3, first 2 shown]
	s_waitcnt lgkmcnt(1)
	v_add_u32_e32 v0, v8, v16
	v_lshlrev_b32_e32 v7, 2, v10
	s_addc_u32 s1, s27, s1
	global_store_dwordx4 v7, v[0:3], s[0:1]
	s_nop 0
	v_add3_u32 v1, v35, v32, v5
	v_add3_u32 v0, v31, v29, v6
	ds_read_b32 v5, v63
	ds_read_b32 v6, v60
	;; [unrolled: 1-line block ×8, first 2 shown]
	s_waitcnt lgkmcnt(8)
	v_add3_u32 v3, v39, v38, v9
	v_add3_u32 v2, v36, v34, v4
	global_store_dwordx4 v7, v[0:3], s[0:1] offset:16
	s_waitcnt lgkmcnt(1)
	v_add3_u32 v1, v46, v44, v14
	s_waitcnt lgkmcnt(0)
	v_add3_u32 v0, v43, v41, v15
	v_add3_u32 v3, v52, v50, v11
	;; [unrolled: 1-line block ×3, first 2 shown]
	global_store_dwordx4 v7, v[0:3], s[0:1] offset:32
	s_nop 0
	v_add3_u32 v1, v58, v56, v8
	v_add3_u32 v0, v55, v53, v10
	ds_read_b32 v4, v111
	ds_read_b32 v8, v109
	;; [unrolled: 1-line block ×16, first 2 shown]
	v_add3_u32 v3, v64, v62, v5
	v_add3_u32 v2, v61, v59, v6
	global_store_dwordx4 v7, v[0:3], s[0:1] offset:48
	s_waitcnt lgkmcnt(1)
	v_add3_u32 v1, v70, v68, v22
	s_waitcnt lgkmcnt(0)
	v_add3_u32 v0, v67, v65, v23
	v_add3_u32 v3, v76, v74, v20
	v_add3_u32 v2, v73, v71, v21
	global_store_dwordx4 v7, v[0:3], s[0:1] offset:64
	s_nop 0
	v_add3_u32 v1, v82, v80, v18
	v_add3_u32 v0, v79, v77, v19
	v_add3_u32 v3, v88, v86, v16
	v_add3_u32 v2, v85, v83, v17
	global_store_dwordx4 v7, v[0:3], s[0:1] offset:80
	s_nop 0
	v_add3_u32 v1, v94, v92, v14
	;; [unrolled: 6-line block ×3, first 2 shown]
	v_add3_u32 v0, v102, v101, v10
	v_add3_u32 v3, v13, v110, v4
	;; [unrolled: 1-line block ×3, first 2 shown]
	global_store_dwordx4 v7, v[0:3], s[0:1] offset:112
	s_endpgm
	.section	.rodata,"a",@progbits
	.p2align	6, 0x0
	.amdhsa_kernel _Z11rank_kernelIhLj4ELb0EL18RadixRankAlgorithm2ELj256ELj32ELj10EEvPKT_Pi
		.amdhsa_group_segment_fixed_size 1040
		.amdhsa_private_segment_fixed_size 0
		.amdhsa_kernarg_size 272
		.amdhsa_user_sgpr_count 6
		.amdhsa_user_sgpr_private_segment_buffer 1
		.amdhsa_user_sgpr_dispatch_ptr 0
		.amdhsa_user_sgpr_queue_ptr 0
		.amdhsa_user_sgpr_kernarg_segment_ptr 1
		.amdhsa_user_sgpr_dispatch_id 0
		.amdhsa_user_sgpr_flat_scratch_init 0
		.amdhsa_user_sgpr_kernarg_preload_length 0
		.amdhsa_user_sgpr_kernarg_preload_offset 0
		.amdhsa_user_sgpr_private_segment_size 0
		.amdhsa_uses_dynamic_stack 0
		.amdhsa_system_sgpr_private_segment_wavefront_offset 0
		.amdhsa_system_sgpr_workgroup_id_x 1
		.amdhsa_system_sgpr_workgroup_id_y 0
		.amdhsa_system_sgpr_workgroup_id_z 0
		.amdhsa_system_sgpr_workgroup_info 0
		.amdhsa_system_vgpr_workitem_id 2
		.amdhsa_next_free_vgpr 115
		.amdhsa_next_free_sgpr 38
		.amdhsa_accum_offset 116
		.amdhsa_reserve_vcc 1
		.amdhsa_reserve_flat_scratch 0
		.amdhsa_float_round_mode_32 0
		.amdhsa_float_round_mode_16_64 0
		.amdhsa_float_denorm_mode_32 3
		.amdhsa_float_denorm_mode_16_64 3
		.amdhsa_dx10_clamp 1
		.amdhsa_ieee_mode 1
		.amdhsa_fp16_overflow 0
		.amdhsa_tg_split 0
		.amdhsa_exception_fp_ieee_invalid_op 0
		.amdhsa_exception_fp_denorm_src 0
		.amdhsa_exception_fp_ieee_div_zero 0
		.amdhsa_exception_fp_ieee_overflow 0
		.amdhsa_exception_fp_ieee_underflow 0
		.amdhsa_exception_fp_ieee_inexact 0
		.amdhsa_exception_int_div_zero 0
	.end_amdhsa_kernel
	.section	.text._Z11rank_kernelIhLj4ELb0EL18RadixRankAlgorithm2ELj256ELj32ELj10EEvPKT_Pi,"axG",@progbits,_Z11rank_kernelIhLj4ELb0EL18RadixRankAlgorithm2ELj256ELj32ELj10EEvPKT_Pi,comdat
.Lfunc_end74:
	.size	_Z11rank_kernelIhLj4ELb0EL18RadixRankAlgorithm2ELj256ELj32ELj10EEvPKT_Pi, .Lfunc_end74-_Z11rank_kernelIhLj4ELb0EL18RadixRankAlgorithm2ELj256ELj32ELj10EEvPKT_Pi
                                        ; -- End function
	.section	.AMDGPU.csdata,"",@progbits
; Kernel info:
; codeLenInByte = 9412
; NumSgprs: 42
; NumVgprs: 115
; NumAgprs: 0
; TotalNumVgprs: 115
; ScratchSize: 0
; MemoryBound: 0
; FloatMode: 240
; IeeeMode: 1
; LDSByteSize: 1040 bytes/workgroup (compile time only)
; SGPRBlocks: 5
; VGPRBlocks: 14
; NumSGPRsForWavesPerEU: 42
; NumVGPRsForWavesPerEU: 115
; AccumOffset: 116
; Occupancy: 4
; WaveLimiterHint : 0
; COMPUTE_PGM_RSRC2:SCRATCH_EN: 0
; COMPUTE_PGM_RSRC2:USER_SGPR: 6
; COMPUTE_PGM_RSRC2:TRAP_HANDLER: 0
; COMPUTE_PGM_RSRC2:TGID_X_EN: 1
; COMPUTE_PGM_RSRC2:TGID_Y_EN: 0
; COMPUTE_PGM_RSRC2:TGID_Z_EN: 0
; COMPUTE_PGM_RSRC2:TIDIG_COMP_CNT: 2
; COMPUTE_PGM_RSRC3_GFX90A:ACCUM_OFFSET: 28
; COMPUTE_PGM_RSRC3_GFX90A:TG_SPLIT: 0
	.section	.text._Z11rank_kernelIhLj4ELb0EL18RadixRankAlgorithm0ELj512ELj1ELj10EEvPKT_Pi,"axG",@progbits,_Z11rank_kernelIhLj4ELb0EL18RadixRankAlgorithm0ELj512ELj1ELj10EEvPKT_Pi,comdat
	.protected	_Z11rank_kernelIhLj4ELb0EL18RadixRankAlgorithm0ELj512ELj1ELj10EEvPKT_Pi ; -- Begin function _Z11rank_kernelIhLj4ELb0EL18RadixRankAlgorithm0ELj512ELj1ELj10EEvPKT_Pi
	.globl	_Z11rank_kernelIhLj4ELb0EL18RadixRankAlgorithm0ELj512ELj1ELj10EEvPKT_Pi
	.p2align	8
	.type	_Z11rank_kernelIhLj4ELb0EL18RadixRankAlgorithm0ELj512ELj1ELj10EEvPKT_Pi,@function
_Z11rank_kernelIhLj4ELb0EL18RadixRankAlgorithm0ELj512ELj1ELj10EEvPKT_Pi: ; @_Z11rank_kernelIhLj4ELb0EL18RadixRankAlgorithm0ELj512ELj1ELj10EEvPKT_Pi
; %bb.0:
	s_load_dwordx4 s[24:27], s[4:5], 0x0
	s_lshl_b32 s28, s6, 9
	v_mbcnt_lo_u32_b32 v3, -1, 0
	v_mbcnt_hi_u32_b32 v12, -1, v3
	v_add_u32_e32 v16, -1, v12
	s_waitcnt lgkmcnt(0)
	s_add_u32 s0, s24, s28
	s_addc_u32 s1, s25, 0
	global_load_ubyte v13, v0, s[0:1]
	v_and_b32_e32 v17, 64, v12
	v_and_b32_e32 v14, 15, v12
	;; [unrolled: 1-line block ×3, first 2 shown]
	v_cmp_lt_i32_e64 s[18:19], v16, v17
	s_movk_i32 s24, 0xe00
	v_cmp_lt_u32_e64 s[2:3], 31, v12
	v_cmp_eq_u32_e64 s[6:7], 0, v12
	v_and_b32_e32 v18, 7, v12
	v_cmp_eq_u32_e64 s[8:9], 0, v14
	v_cmp_lt_u32_e64 s[10:11], 1, v14
	v_cmp_lt_u32_e64 s[12:13], 3, v14
	;; [unrolled: 1-line block ×3, first 2 shown]
	v_cmp_eq_u32_e64 s[16:17], 0, v15
	v_cndmask_b32_e64 v12, v16, v12, s[18:19]
	v_or_b32_e32 v4, 63, v0
	v_lshrrev_b32_e32 v5, 4, v0
	v_lshlrev_b32_e32 v3, 2, v0
	s_mov_b32 s29, 0
	v_mov_b32_e32 v1, 0
	s_mov_b32 s33, 10
	v_lshlrev_b32_e32 v2, 5, v0
	v_cmp_gt_u32_e32 vcc, 8, v0
	v_cmp_lt_u32_e64 s[0:1], 63, v0
	v_cmp_eq_u32_e64 s[4:5], v4, v0
	v_and_b32_e32 v4, 28, v5
	v_or_b32_e32 v5, 0x800, v3
	v_or_b32_e32 v6, 0x1000, v3
	;; [unrolled: 1-line block ×7, first 2 shown]
	v_cmp_eq_u32_e64 s[18:19], 0, v18
	v_cmp_lt_u32_e64 s[20:21], 1, v18
	v_cmp_lt_u32_e64 s[22:23], 3, v18
	v_lshlrev_b32_e32 v12, 2, v12
	s_waitcnt vmcnt(0)
	v_lshlrev_b32_e32 v14, 5, v13
	v_lshrrev_b32_e32 v15, 6, v13
	v_lshlrev_b32_e32 v16, 9, v13
	v_lshrrev_b32_e32 v13, 2, v13
	v_and_or_b32 v14, v14, s24, v0
	v_and_b32_e32 v15, 2, v15
	v_and_or_b32 v16, v16, s24, v0
	v_and_b32_e32 v17, 2, v13
	v_lshl_or_b32 v13, v14, 2, v15
	v_lshl_or_b32 v14, v16, 2, v17
	s_mov_b64 s[24:25], -1
	s_branch .LBB75_2
.LBB75_1:                               ;   in Loop: Header=BB75_2 Depth=1
	s_or_b64 exec, exec, s[30:31]
	s_waitcnt lgkmcnt(0)
	v_add_u32_e32 v16, v17, v16
	ds_bpermute_b32 v16, v12, v16
	ds_read_b32 v18, v1 offset:16412
	s_add_i32 s33, s33, -1
	s_cmp_eq_u32 s33, 0
	s_waitcnt lgkmcnt(1)
	v_cndmask_b32_e64 v19, v16, v17, s[6:7]
	ds_read2_b32 v[16:17], v2 offset1:1
	s_waitcnt lgkmcnt(1)
	v_lshl_add_u32 v22, v18, 16, v19
	ds_read2_b32 v[18:19], v2 offset0:2 offset1:3
	ds_read2_b32 v[20:21], v2 offset0:4 offset1:5
	ds_read_b32 v23, v2 offset:24
	s_waitcnt lgkmcnt(3)
	v_add_u32_e32 v16, v22, v16
	ds_write2_b32 v2, v22, v16 offset1:1
	v_add_u32_e32 v16, v17, v16
	s_waitcnt lgkmcnt(3)
	v_add_u32_e32 v17, v18, v16
	ds_write2_b32 v2, v16, v17 offset0:2 offset1:3
	v_add_u32_e32 v16, v19, v17
	s_waitcnt lgkmcnt(3)
	v_add_u32_e32 v17, v20, v16
	ds_write2_b32 v2, v16, v17 offset0:4 offset1:5
	;; [unrolled: 4-line block ×3, first 2 shown]
	s_waitcnt lgkmcnt(0)
	s_barrier
	s_cbranch_scc1 .LBB75_30
.LBB75_2:                               ; =>This Inner Loop Header: Depth=1
	ds_write_b32 v3, v1
	ds_write_b32 v5, v1
	;; [unrolled: 1-line block ×4, first 2 shown]
	s_and_saveexec_b64 s[30:31], s[24:25]
	s_cbranch_execnz .LBB75_24
; %bb.3:                                ;   in Loop: Header=BB75_2 Depth=1
	s_or_b64 exec, exec, s[30:31]
	s_and_saveexec_b64 s[30:31], s[24:25]
	s_cbranch_execnz .LBB75_25
.LBB75_4:                               ;   in Loop: Header=BB75_2 Depth=1
	s_or_b64 exec, exec, s[30:31]
	s_and_saveexec_b64 s[30:31], s[24:25]
	s_cbranch_execnz .LBB75_26
.LBB75_5:                               ;   in Loop: Header=BB75_2 Depth=1
	s_or_b64 exec, exec, s[30:31]
	s_and_saveexec_b64 s[30:31], s[24:25]
	s_cbranch_execz .LBB75_7
.LBB75_6:                               ;   in Loop: Header=BB75_2 Depth=1
	ds_write_b32 v11, v1
.LBB75_7:                               ;   in Loop: Header=BB75_2 Depth=1
	s_or_b64 exec, exec, s[30:31]
	ds_read_u16 v15, v14
	s_waitcnt lgkmcnt(0)
	v_add_u16_e32 v15, 1, v15
	ds_write_b16 v14, v15
	s_waitcnt lgkmcnt(0)
	s_barrier
	ds_read2_b32 v[16:17], v2 offset1:1
	ds_read2_b32 v[18:19], v2 offset0:2 offset1:3
	ds_read2_b32 v[20:21], v2 offset0:4 offset1:5
	;; [unrolled: 1-line block ×3, first 2 shown]
	s_waitcnt lgkmcnt(3)
	v_add_u32_e32 v15, v17, v16
	s_waitcnt lgkmcnt(2)
	v_add3_u32 v15, v15, v18, v19
	s_waitcnt lgkmcnt(1)
	v_add3_u32 v15, v15, v20, v21
	;; [unrolled: 2-line block ×3, first 2 shown]
	s_nop 1
	v_mov_b32_dpp v16, v15 row_shr:1 row_mask:0xf bank_mask:0xf
	v_cndmask_b32_e64 v16, v16, 0, s[8:9]
	v_add_u32_e32 v15, v16, v15
	s_nop 1
	v_mov_b32_dpp v16, v15 row_shr:2 row_mask:0xf bank_mask:0xf
	v_cndmask_b32_e64 v16, 0, v16, s[10:11]
	v_add_u32_e32 v15, v15, v16
	;; [unrolled: 4-line block ×4, first 2 shown]
	s_nop 1
	v_mov_b32_dpp v16, v15 row_bcast:15 row_mask:0xf bank_mask:0xf
	v_cndmask_b32_e64 v16, v16, 0, s[16:17]
	v_add_u32_e32 v15, v15, v16
	s_nop 1
	v_mov_b32_dpp v16, v15 row_bcast:31 row_mask:0xf bank_mask:0xf
	v_cndmask_b32_e64 v16, 0, v16, s[2:3]
	v_add_u32_e32 v15, v15, v16
	s_and_saveexec_b64 s[30:31], s[4:5]
	s_cbranch_execz .LBB75_9
; %bb.8:                                ;   in Loop: Header=BB75_2 Depth=1
	ds_write_b32 v4, v15 offset:16384
.LBB75_9:                               ;   in Loop: Header=BB75_2 Depth=1
	s_or_b64 exec, exec, s[30:31]
	s_waitcnt lgkmcnt(0)
	s_barrier
	s_and_saveexec_b64 s[30:31], vcc
	s_cbranch_execz .LBB75_11
; %bb.10:                               ;   in Loop: Header=BB75_2 Depth=1
	ds_read_b32 v16, v3 offset:16384
	s_waitcnt lgkmcnt(0)
	s_nop 0
	v_mov_b32_dpp v17, v16 row_shr:1 row_mask:0xf bank_mask:0xf
	v_cndmask_b32_e64 v17, v17, 0, s[18:19]
	v_add_u32_e32 v16, v17, v16
	s_nop 1
	v_mov_b32_dpp v17, v16 row_shr:2 row_mask:0xf bank_mask:0xf
	v_cndmask_b32_e64 v17, 0, v17, s[20:21]
	v_add_u32_e32 v16, v16, v17
	s_nop 1
	v_mov_b32_dpp v17, v16 row_shr:4 row_mask:0xf bank_mask:0xf
	v_cndmask_b32_e64 v17, 0, v17, s[22:23]
	v_add_u32_e32 v16, v16, v17
	ds_write_b32 v3, v16 offset:16384
.LBB75_11:                              ;   in Loop: Header=BB75_2 Depth=1
	s_or_b64 exec, exec, s[30:31]
	v_mov_b32_e32 v16, 0
	s_waitcnt lgkmcnt(0)
	s_barrier
	s_and_saveexec_b64 s[30:31], s[0:1]
	s_cbranch_execz .LBB75_13
; %bb.12:                               ;   in Loop: Header=BB75_2 Depth=1
	ds_read_b32 v16, v4 offset:16380
.LBB75_13:                              ;   in Loop: Header=BB75_2 Depth=1
	s_or_b64 exec, exec, s[30:31]
	s_waitcnt lgkmcnt(0)
	v_add_u32_e32 v15, v16, v15
	ds_bpermute_b32 v15, v12, v15
	ds_read_b32 v18, v1 offset:16412
	s_waitcnt lgkmcnt(1)
	v_cndmask_b32_e64 v15, v15, v16, s[6:7]
	ds_read2_b32 v[16:17], v2 offset1:1
	s_waitcnt lgkmcnt(1)
	v_lshl_add_u32 v15, v18, 16, v15
	ds_read2_b32 v[18:19], v2 offset0:2 offset1:3
	ds_read2_b32 v[20:21], v2 offset0:4 offset1:5
	ds_read_b32 v22, v2 offset:24
	s_waitcnt lgkmcnt(3)
	v_add_u32_e32 v16, v15, v16
	ds_write2_b32 v2, v15, v16 offset1:1
	v_add_u32_e32 v15, v17, v16
	s_waitcnt lgkmcnt(3)
	v_add_u32_e32 v16, v18, v15
	ds_write2_b32 v2, v15, v16 offset0:2 offset1:3
	v_add_u32_e32 v15, v19, v16
	s_waitcnt lgkmcnt(3)
	v_add_u32_e32 v16, v20, v15
	ds_write2_b32 v2, v15, v16 offset0:4 offset1:5
	;; [unrolled: 4-line block ×3, first 2 shown]
	s_waitcnt lgkmcnt(0)
	s_barrier
	ds_write_b32 v3, v1
	ds_write_b32 v5, v1
	;; [unrolled: 1-line block ×4, first 2 shown]
	s_and_saveexec_b64 s[30:31], s[24:25]
	s_cbranch_execnz .LBB75_27
; %bb.14:                               ;   in Loop: Header=BB75_2 Depth=1
	s_or_b64 exec, exec, s[30:31]
	s_and_saveexec_b64 s[30:31], s[24:25]
	s_cbranch_execnz .LBB75_28
.LBB75_15:                              ;   in Loop: Header=BB75_2 Depth=1
	s_or_b64 exec, exec, s[30:31]
	s_and_saveexec_b64 s[30:31], s[24:25]
	s_cbranch_execnz .LBB75_29
.LBB75_16:                              ;   in Loop: Header=BB75_2 Depth=1
	s_or_b64 exec, exec, s[30:31]
	s_and_saveexec_b64 s[30:31], s[24:25]
	s_cbranch_execz .LBB75_18
.LBB75_17:                              ;   in Loop: Header=BB75_2 Depth=1
	ds_write_b32 v11, v1
.LBB75_18:                              ;   in Loop: Header=BB75_2 Depth=1
	s_or_b64 exec, exec, s[30:31]
	ds_read_u16 v15, v13
	s_waitcnt lgkmcnt(0)
	v_add_u16_e32 v16, 1, v15
	ds_write_b16 v13, v16
	s_waitcnt lgkmcnt(0)
	s_barrier
	ds_read2_b32 v[16:17], v2 offset1:1
	ds_read2_b32 v[18:19], v2 offset0:2 offset1:3
	ds_read2_b32 v[20:21], v2 offset0:4 offset1:5
	;; [unrolled: 1-line block ×3, first 2 shown]
	s_waitcnt lgkmcnt(3)
	v_add_u32_e32 v16, v17, v16
	s_waitcnt lgkmcnt(2)
	v_add3_u32 v16, v16, v18, v19
	s_waitcnt lgkmcnt(1)
	v_add3_u32 v16, v16, v20, v21
	s_waitcnt lgkmcnt(0)
	v_add3_u32 v16, v16, v22, v23
	s_nop 1
	v_mov_b32_dpp v17, v16 row_shr:1 row_mask:0xf bank_mask:0xf
	v_cndmask_b32_e64 v17, v17, 0, s[8:9]
	v_add_u32_e32 v16, v17, v16
	s_nop 1
	v_mov_b32_dpp v17, v16 row_shr:2 row_mask:0xf bank_mask:0xf
	v_cndmask_b32_e64 v17, 0, v17, s[10:11]
	v_add_u32_e32 v16, v16, v17
	;; [unrolled: 4-line block ×4, first 2 shown]
	s_nop 1
	v_mov_b32_dpp v17, v16 row_bcast:15 row_mask:0xf bank_mask:0xf
	v_cndmask_b32_e64 v17, v17, 0, s[16:17]
	v_add_u32_e32 v16, v16, v17
	s_nop 1
	v_mov_b32_dpp v17, v16 row_bcast:31 row_mask:0xf bank_mask:0xf
	v_cndmask_b32_e64 v17, 0, v17, s[2:3]
	v_add_u32_e32 v16, v16, v17
	s_and_saveexec_b64 s[30:31], s[4:5]
	s_cbranch_execz .LBB75_20
; %bb.19:                               ;   in Loop: Header=BB75_2 Depth=1
	ds_write_b32 v4, v16 offset:16384
.LBB75_20:                              ;   in Loop: Header=BB75_2 Depth=1
	s_or_b64 exec, exec, s[30:31]
	s_waitcnt lgkmcnt(0)
	s_barrier
	s_and_saveexec_b64 s[30:31], vcc
	s_cbranch_execz .LBB75_22
; %bb.21:                               ;   in Loop: Header=BB75_2 Depth=1
	ds_read_b32 v17, v3 offset:16384
	s_waitcnt lgkmcnt(0)
	s_nop 0
	v_mov_b32_dpp v18, v17 row_shr:1 row_mask:0xf bank_mask:0xf
	v_cndmask_b32_e64 v18, v18, 0, s[18:19]
	v_add_u32_e32 v17, v18, v17
	s_nop 1
	v_mov_b32_dpp v18, v17 row_shr:2 row_mask:0xf bank_mask:0xf
	v_cndmask_b32_e64 v18, 0, v18, s[20:21]
	v_add_u32_e32 v17, v17, v18
	;; [unrolled: 4-line block ×3, first 2 shown]
	ds_write_b32 v3, v17 offset:16384
.LBB75_22:                              ;   in Loop: Header=BB75_2 Depth=1
	s_or_b64 exec, exec, s[30:31]
	v_mov_b32_e32 v17, 0
	s_waitcnt lgkmcnt(0)
	s_barrier
	s_and_saveexec_b64 s[30:31], s[0:1]
	s_cbranch_execz .LBB75_1
; %bb.23:                               ;   in Loop: Header=BB75_2 Depth=1
	ds_read_b32 v17, v4 offset:16380
	s_branch .LBB75_1
.LBB75_24:                              ;   in Loop: Header=BB75_2 Depth=1
	ds_write_b32 v8, v1
	s_or_b64 exec, exec, s[30:31]
	s_and_saveexec_b64 s[30:31], s[24:25]
	s_cbranch_execz .LBB75_4
.LBB75_25:                              ;   in Loop: Header=BB75_2 Depth=1
	ds_write_b32 v9, v1
	s_or_b64 exec, exec, s[30:31]
	s_and_saveexec_b64 s[30:31], s[24:25]
	s_cbranch_execz .LBB75_5
.LBB75_26:                              ;   in Loop: Header=BB75_2 Depth=1
	ds_write_b32 v10, v1
	s_or_b64 exec, exec, s[30:31]
	s_and_saveexec_b64 s[30:31], s[24:25]
	s_cbranch_execnz .LBB75_6
	s_branch .LBB75_7
.LBB75_27:                              ;   in Loop: Header=BB75_2 Depth=1
	ds_write_b32 v8, v1
	s_or_b64 exec, exec, s[30:31]
	s_and_saveexec_b64 s[30:31], s[24:25]
	s_cbranch_execz .LBB75_15
.LBB75_28:                              ;   in Loop: Header=BB75_2 Depth=1
	ds_write_b32 v9, v1
	s_or_b64 exec, exec, s[30:31]
	s_and_saveexec_b64 s[30:31], s[24:25]
	s_cbranch_execz .LBB75_16
.LBB75_29:                              ;   in Loop: Header=BB75_2 Depth=1
	ds_write_b32 v10, v1
	s_or_b64 exec, exec, s[30:31]
	s_and_saveexec_b64 s[30:31], s[24:25]
	s_cbranch_execnz .LBB75_17
	s_branch .LBB75_18
.LBB75_30:
	ds_read_u16 v1, v13
	s_lshl_b64 s[0:1], s[28:29], 2
	s_add_u32 s0, s26, s0
	s_addc_u32 s1, s27, s1
	v_lshlrev_b32_e32 v0, 2, v0
	s_waitcnt lgkmcnt(0)
	v_add_u32_sdwa v1, v1, v15 dst_sel:DWORD dst_unused:UNUSED_PAD src0_sel:DWORD src1_sel:WORD_0
	global_store_dword v0, v1, s[0:1]
	s_endpgm
	.section	.rodata,"a",@progbits
	.p2align	6, 0x0
	.amdhsa_kernel _Z11rank_kernelIhLj4ELb0EL18RadixRankAlgorithm0ELj512ELj1ELj10EEvPKT_Pi
		.amdhsa_group_segment_fixed_size 16416
		.amdhsa_private_segment_fixed_size 0
		.amdhsa_kernarg_size 16
		.amdhsa_user_sgpr_count 6
		.amdhsa_user_sgpr_private_segment_buffer 1
		.amdhsa_user_sgpr_dispatch_ptr 0
		.amdhsa_user_sgpr_queue_ptr 0
		.amdhsa_user_sgpr_kernarg_segment_ptr 1
		.amdhsa_user_sgpr_dispatch_id 0
		.amdhsa_user_sgpr_flat_scratch_init 0
		.amdhsa_user_sgpr_kernarg_preload_length 0
		.amdhsa_user_sgpr_kernarg_preload_offset 0
		.amdhsa_user_sgpr_private_segment_size 0
		.amdhsa_uses_dynamic_stack 0
		.amdhsa_system_sgpr_private_segment_wavefront_offset 0
		.amdhsa_system_sgpr_workgroup_id_x 1
		.amdhsa_system_sgpr_workgroup_id_y 0
		.amdhsa_system_sgpr_workgroup_id_z 0
		.amdhsa_system_sgpr_workgroup_info 0
		.amdhsa_system_vgpr_workitem_id 0
		.amdhsa_next_free_vgpr 24
		.amdhsa_next_free_sgpr 34
		.amdhsa_accum_offset 24
		.amdhsa_reserve_vcc 1
		.amdhsa_reserve_flat_scratch 0
		.amdhsa_float_round_mode_32 0
		.amdhsa_float_round_mode_16_64 0
		.amdhsa_float_denorm_mode_32 3
		.amdhsa_float_denorm_mode_16_64 3
		.amdhsa_dx10_clamp 1
		.amdhsa_ieee_mode 1
		.amdhsa_fp16_overflow 0
		.amdhsa_tg_split 0
		.amdhsa_exception_fp_ieee_invalid_op 0
		.amdhsa_exception_fp_denorm_src 0
		.amdhsa_exception_fp_ieee_div_zero 0
		.amdhsa_exception_fp_ieee_overflow 0
		.amdhsa_exception_fp_ieee_underflow 0
		.amdhsa_exception_fp_ieee_inexact 0
		.amdhsa_exception_int_div_zero 0
	.end_amdhsa_kernel
	.section	.text._Z11rank_kernelIhLj4ELb0EL18RadixRankAlgorithm0ELj512ELj1ELj10EEvPKT_Pi,"axG",@progbits,_Z11rank_kernelIhLj4ELb0EL18RadixRankAlgorithm0ELj512ELj1ELj10EEvPKT_Pi,comdat
.Lfunc_end75:
	.size	_Z11rank_kernelIhLj4ELb0EL18RadixRankAlgorithm0ELj512ELj1ELj10EEvPKT_Pi, .Lfunc_end75-_Z11rank_kernelIhLj4ELb0EL18RadixRankAlgorithm0ELj512ELj1ELj10EEvPKT_Pi
                                        ; -- End function
	.section	.AMDGPU.csdata,"",@progbits
; Kernel info:
; codeLenInByte = 1876
; NumSgprs: 38
; NumVgprs: 24
; NumAgprs: 0
; TotalNumVgprs: 24
; ScratchSize: 0
; MemoryBound: 0
; FloatMode: 240
; IeeeMode: 1
; LDSByteSize: 16416 bytes/workgroup (compile time only)
; SGPRBlocks: 4
; VGPRBlocks: 2
; NumSGPRsForWavesPerEU: 38
; NumVGPRsForWavesPerEU: 24
; AccumOffset: 24
; Occupancy: 6
; WaveLimiterHint : 0
; COMPUTE_PGM_RSRC2:SCRATCH_EN: 0
; COMPUTE_PGM_RSRC2:USER_SGPR: 6
; COMPUTE_PGM_RSRC2:TRAP_HANDLER: 0
; COMPUTE_PGM_RSRC2:TGID_X_EN: 1
; COMPUTE_PGM_RSRC2:TGID_Y_EN: 0
; COMPUTE_PGM_RSRC2:TGID_Z_EN: 0
; COMPUTE_PGM_RSRC2:TIDIG_COMP_CNT: 0
; COMPUTE_PGM_RSRC3_GFX90A:ACCUM_OFFSET: 5
; COMPUTE_PGM_RSRC3_GFX90A:TG_SPLIT: 0
	.section	.text._Z11rank_kernelIhLj4ELb0EL18RadixRankAlgorithm1ELj512ELj1ELj10EEvPKT_Pi,"axG",@progbits,_Z11rank_kernelIhLj4ELb0EL18RadixRankAlgorithm1ELj512ELj1ELj10EEvPKT_Pi,comdat
	.protected	_Z11rank_kernelIhLj4ELb0EL18RadixRankAlgorithm1ELj512ELj1ELj10EEvPKT_Pi ; -- Begin function _Z11rank_kernelIhLj4ELb0EL18RadixRankAlgorithm1ELj512ELj1ELj10EEvPKT_Pi
	.globl	_Z11rank_kernelIhLj4ELb0EL18RadixRankAlgorithm1ELj512ELj1ELj10EEvPKT_Pi
	.p2align	8
	.type	_Z11rank_kernelIhLj4ELb0EL18RadixRankAlgorithm1ELj512ELj1ELj10EEvPKT_Pi,@function
_Z11rank_kernelIhLj4ELb0EL18RadixRankAlgorithm1ELj512ELj1ELj10EEvPKT_Pi: ; @_Z11rank_kernelIhLj4ELb0EL18RadixRankAlgorithm1ELj512ELj1ELj10EEvPKT_Pi
; %bb.0:
	s_load_dwordx4 s[24:27], s[4:5], 0x0
	s_lshl_b32 s28, s6, 9
	v_mbcnt_lo_u32_b32 v3, -1, 0
	v_mbcnt_hi_u32_b32 v3, -1, v3
	v_or_b32_e32 v4, 63, v0
	s_waitcnt lgkmcnt(0)
	s_add_u32 s0, s24, s28
	s_addc_u32 s1, s25, 0
	global_load_ubyte v2, v0, s[0:1]
	v_cmp_eq_u32_e64 s[4:5], v4, v0
	v_add_u32_e32 v4, -1, v3
	v_and_b32_e32 v8, 64, v3
	v_lshrrev_b32_e32 v5, 4, v0
	v_cmp_lt_i32_e64 s[18:19], v4, v8
	v_and_b32_e32 v6, 15, v3
	v_and_b32_e32 v7, 16, v3
	v_cmp_lt_u32_e64 s[2:3], 31, v3
	v_cmp_eq_u32_e64 s[6:7], 0, v3
	v_and_b32_e32 v12, 28, v5
	v_and_b32_e32 v5, 7, v3
	v_cndmask_b32_e64 v3, v4, v3, s[18:19]
	s_movk_i32 s24, 0xe00
	v_cmp_eq_u32_e64 s[18:19], 0, v5
	v_cmp_lt_u32_e64 s[20:21], 1, v5
	v_cmp_lt_u32_e64 s[22:23], 3, v5
	v_lshlrev_b32_e32 v20, 2, v3
	v_lshlrev_b32_e32 v11, 2, v0
	s_mov_b32 s29, 0
	v_mov_b32_e32 v1, 0
	s_mov_b32 s33, 10
	v_lshlrev_b32_e32 v10, 5, v0
	v_cmp_gt_u32_e32 vcc, 8, v0
	v_cmp_lt_u32_e64 s[0:1], 63, v0
	v_or_b32_e32 v13, 0x800, v11
	v_or_b32_e32 v14, 0x1000, v11
	;; [unrolled: 1-line block ×7, first 2 shown]
	v_cmp_eq_u32_e64 s[8:9], 0, v6
	v_cmp_lt_u32_e64 s[10:11], 1, v6
	v_cmp_lt_u32_e64 s[12:13], 3, v6
	;; [unrolled: 1-line block ×3, first 2 shown]
	v_cmp_eq_u32_e64 s[16:17], 0, v7
	s_waitcnt vmcnt(0)
	v_lshlrev_b32_e32 v3, 5, v2
	v_lshrrev_b32_e32 v4, 6, v2
	v_lshlrev_b32_e32 v5, 9, v2
	v_lshrrev_b32_e32 v2, 2, v2
	v_and_or_b32 v3, v3, s24, v0
	v_and_b32_e32 v4, 2, v4
	v_and_or_b32 v5, v5, s24, v0
	v_and_b32_e32 v2, 2, v2
	v_lshl_or_b32 v21, v3, 2, v4
	v_lshl_or_b32 v22, v5, 2, v2
	s_mov_b64 s[24:25], -1
	s_branch .LBB76_2
.LBB76_1:                               ;   in Loop: Header=BB76_2 Depth=1
	s_or_b64 exec, exec, s[30:31]
	s_waitcnt lgkmcnt(0)
	v_add_u32_e32 v3, v24, v3
	ds_bpermute_b32 v3, v20, v3
	ds_read_b32 v25, v1 offset:16412
	s_add_i32 s33, s33, -1
	s_cmp_eq_u32 s33, 0
	s_waitcnt lgkmcnt(1)
	v_cndmask_b32_e64 v3, v3, v24, s[6:7]
	s_waitcnt lgkmcnt(0)
	v_lshl_add_u32 v3, v25, 16, v3
	v_add_u32_e32 v8, v3, v8
	v_add_u32_e32 v9, v8, v9
	ds_write2_b32 v10, v3, v8 offset1:1
	v_add_u32_e32 v3, v9, v6
	v_add_u32_e32 v6, v3, v7
	ds_write2_b32 v10, v9, v3 offset0:2 offset1:3
	v_add_u32_e32 v3, v6, v4
	v_add_u32_e32 v4, v3, v5
	;; [unrolled: 1-line block ×3, first 2 shown]
	ds_write2_b32 v10, v6, v3 offset0:4 offset1:5
	ds_write2_b32 v10, v4, v2 offset0:6 offset1:7
	s_waitcnt lgkmcnt(0)
	s_barrier
	s_cbranch_scc1 .LBB76_30
.LBB76_2:                               ; =>This Inner Loop Header: Depth=1
	ds_write_b32 v11, v1
	ds_write_b32 v13, v1
	;; [unrolled: 1-line block ×4, first 2 shown]
	s_and_saveexec_b64 s[30:31], s[24:25]
	s_cbranch_execnz .LBB76_24
; %bb.3:                                ;   in Loop: Header=BB76_2 Depth=1
	s_or_b64 exec, exec, s[30:31]
	s_and_saveexec_b64 s[30:31], s[24:25]
	s_cbranch_execnz .LBB76_25
.LBB76_4:                               ;   in Loop: Header=BB76_2 Depth=1
	s_or_b64 exec, exec, s[30:31]
	s_and_saveexec_b64 s[30:31], s[24:25]
	s_cbranch_execnz .LBB76_26
.LBB76_5:                               ;   in Loop: Header=BB76_2 Depth=1
	s_or_b64 exec, exec, s[30:31]
	s_and_saveexec_b64 s[30:31], s[24:25]
	s_cbranch_execz .LBB76_7
.LBB76_6:                               ;   in Loop: Header=BB76_2 Depth=1
	ds_write_b32 v19, v1
.LBB76_7:                               ;   in Loop: Header=BB76_2 Depth=1
	s_or_b64 exec, exec, s[30:31]
	ds_read_u16 v2, v22
	s_waitcnt lgkmcnt(0)
	v_add_u16_e32 v2, 1, v2
	ds_write_b16 v22, v2
	s_waitcnt lgkmcnt(0)
	s_barrier
	ds_read2_b32 v[8:9], v10 offset1:1
	ds_read2_b32 v[6:7], v10 offset0:2 offset1:3
	ds_read2_b32 v[4:5], v10 offset0:4 offset1:5
	;; [unrolled: 1-line block ×3, first 2 shown]
	s_waitcnt lgkmcnt(3)
	v_add_u32_e32 v23, v9, v8
	s_waitcnt lgkmcnt(2)
	v_add3_u32 v23, v23, v6, v7
	s_waitcnt lgkmcnt(1)
	v_add3_u32 v23, v23, v4, v5
	;; [unrolled: 2-line block ×3, first 2 shown]
	s_nop 1
	v_mov_b32_dpp v23, v3 row_shr:1 row_mask:0xf bank_mask:0xf
	v_cndmask_b32_e64 v23, v23, 0, s[8:9]
	v_add_u32_e32 v3, v23, v3
	s_nop 1
	v_mov_b32_dpp v23, v3 row_shr:2 row_mask:0xf bank_mask:0xf
	v_cndmask_b32_e64 v23, 0, v23, s[10:11]
	v_add_u32_e32 v3, v3, v23
	;; [unrolled: 4-line block ×4, first 2 shown]
	s_nop 1
	v_mov_b32_dpp v23, v3 row_bcast:15 row_mask:0xf bank_mask:0xf
	v_cndmask_b32_e64 v23, v23, 0, s[16:17]
	v_add_u32_e32 v3, v3, v23
	s_nop 1
	v_mov_b32_dpp v23, v3 row_bcast:31 row_mask:0xf bank_mask:0xf
	v_cndmask_b32_e64 v23, 0, v23, s[2:3]
	v_add_u32_e32 v3, v3, v23
	s_and_saveexec_b64 s[30:31], s[4:5]
	s_cbranch_execz .LBB76_9
; %bb.8:                                ;   in Loop: Header=BB76_2 Depth=1
	ds_write_b32 v12, v3 offset:16384
.LBB76_9:                               ;   in Loop: Header=BB76_2 Depth=1
	s_or_b64 exec, exec, s[30:31]
	s_waitcnt lgkmcnt(0)
	s_barrier
	s_and_saveexec_b64 s[30:31], vcc
	s_cbranch_execz .LBB76_11
; %bb.10:                               ;   in Loop: Header=BB76_2 Depth=1
	ds_read_b32 v23, v11 offset:16384
	s_waitcnt lgkmcnt(0)
	s_nop 0
	v_mov_b32_dpp v24, v23 row_shr:1 row_mask:0xf bank_mask:0xf
	v_cndmask_b32_e64 v24, v24, 0, s[18:19]
	v_add_u32_e32 v23, v24, v23
	s_nop 1
	v_mov_b32_dpp v24, v23 row_shr:2 row_mask:0xf bank_mask:0xf
	v_cndmask_b32_e64 v24, 0, v24, s[20:21]
	v_add_u32_e32 v23, v23, v24
	;; [unrolled: 4-line block ×3, first 2 shown]
	ds_write_b32 v11, v23 offset:16384
.LBB76_11:                              ;   in Loop: Header=BB76_2 Depth=1
	s_or_b64 exec, exec, s[30:31]
	v_mov_b32_e32 v23, 0
	s_waitcnt lgkmcnt(0)
	s_barrier
	s_and_saveexec_b64 s[30:31], s[0:1]
	s_cbranch_execz .LBB76_13
; %bb.12:                               ;   in Loop: Header=BB76_2 Depth=1
	ds_read_b32 v23, v12 offset:16380
.LBB76_13:                              ;   in Loop: Header=BB76_2 Depth=1
	s_or_b64 exec, exec, s[30:31]
	s_waitcnt lgkmcnt(0)
	v_add_u32_e32 v3, v23, v3
	ds_bpermute_b32 v3, v20, v3
	ds_read_b32 v24, v1 offset:16412
	s_waitcnt lgkmcnt(1)
	v_cndmask_b32_e64 v3, v3, v23, s[6:7]
	s_waitcnt lgkmcnt(0)
	v_lshl_add_u32 v3, v24, 16, v3
	v_add_u32_e32 v8, v3, v8
	v_add_u32_e32 v9, v8, v9
	ds_write2_b32 v10, v3, v8 offset1:1
	v_add_u32_e32 v3, v9, v6
	v_add_u32_e32 v6, v3, v7
	ds_write2_b32 v10, v9, v3 offset0:2 offset1:3
	v_add_u32_e32 v3, v6, v4
	v_add_u32_e32 v4, v3, v5
	;; [unrolled: 1-line block ×3, first 2 shown]
	ds_write2_b32 v10, v6, v3 offset0:4 offset1:5
	ds_write2_b32 v10, v4, v2 offset0:6 offset1:7
	s_waitcnt lgkmcnt(0)
	s_barrier
	ds_write_b32 v11, v1
	ds_write_b32 v13, v1
	;; [unrolled: 1-line block ×4, first 2 shown]
	s_and_saveexec_b64 s[30:31], s[24:25]
	s_cbranch_execnz .LBB76_27
; %bb.14:                               ;   in Loop: Header=BB76_2 Depth=1
	s_or_b64 exec, exec, s[30:31]
	s_and_saveexec_b64 s[30:31], s[24:25]
	s_cbranch_execnz .LBB76_28
.LBB76_15:                              ;   in Loop: Header=BB76_2 Depth=1
	s_or_b64 exec, exec, s[30:31]
	s_and_saveexec_b64 s[30:31], s[24:25]
	s_cbranch_execnz .LBB76_29
.LBB76_16:                              ;   in Loop: Header=BB76_2 Depth=1
	s_or_b64 exec, exec, s[30:31]
	s_and_saveexec_b64 s[30:31], s[24:25]
	s_cbranch_execz .LBB76_18
.LBB76_17:                              ;   in Loop: Header=BB76_2 Depth=1
	ds_write_b32 v19, v1
.LBB76_18:                              ;   in Loop: Header=BB76_2 Depth=1
	s_or_b64 exec, exec, s[30:31]
	ds_read_u16 v23, v21
	s_waitcnt lgkmcnt(0)
	v_add_u16_e32 v2, 1, v23
	ds_write_b16 v21, v2
	s_waitcnt lgkmcnt(0)
	s_barrier
	ds_read2_b32 v[8:9], v10 offset1:1
	ds_read2_b32 v[6:7], v10 offset0:2 offset1:3
	ds_read2_b32 v[4:5], v10 offset0:4 offset1:5
	;; [unrolled: 1-line block ×3, first 2 shown]
	s_waitcnt lgkmcnt(3)
	v_add_u32_e32 v24, v9, v8
	s_waitcnt lgkmcnt(2)
	v_add3_u32 v24, v24, v6, v7
	s_waitcnt lgkmcnt(1)
	v_add3_u32 v24, v24, v4, v5
	;; [unrolled: 2-line block ×3, first 2 shown]
	s_nop 1
	v_mov_b32_dpp v24, v3 row_shr:1 row_mask:0xf bank_mask:0xf
	v_cndmask_b32_e64 v24, v24, 0, s[8:9]
	v_add_u32_e32 v3, v24, v3
	s_nop 1
	v_mov_b32_dpp v24, v3 row_shr:2 row_mask:0xf bank_mask:0xf
	v_cndmask_b32_e64 v24, 0, v24, s[10:11]
	v_add_u32_e32 v3, v3, v24
	;; [unrolled: 4-line block ×4, first 2 shown]
	s_nop 1
	v_mov_b32_dpp v24, v3 row_bcast:15 row_mask:0xf bank_mask:0xf
	v_cndmask_b32_e64 v24, v24, 0, s[16:17]
	v_add_u32_e32 v3, v3, v24
	s_nop 1
	v_mov_b32_dpp v24, v3 row_bcast:31 row_mask:0xf bank_mask:0xf
	v_cndmask_b32_e64 v24, 0, v24, s[2:3]
	v_add_u32_e32 v3, v3, v24
	s_and_saveexec_b64 s[30:31], s[4:5]
	s_cbranch_execz .LBB76_20
; %bb.19:                               ;   in Loop: Header=BB76_2 Depth=1
	ds_write_b32 v12, v3 offset:16384
.LBB76_20:                              ;   in Loop: Header=BB76_2 Depth=1
	s_or_b64 exec, exec, s[30:31]
	s_waitcnt lgkmcnt(0)
	s_barrier
	s_and_saveexec_b64 s[30:31], vcc
	s_cbranch_execz .LBB76_22
; %bb.21:                               ;   in Loop: Header=BB76_2 Depth=1
	ds_read_b32 v24, v11 offset:16384
	s_waitcnt lgkmcnt(0)
	s_nop 0
	v_mov_b32_dpp v25, v24 row_shr:1 row_mask:0xf bank_mask:0xf
	v_cndmask_b32_e64 v25, v25, 0, s[18:19]
	v_add_u32_e32 v24, v25, v24
	s_nop 1
	v_mov_b32_dpp v25, v24 row_shr:2 row_mask:0xf bank_mask:0xf
	v_cndmask_b32_e64 v25, 0, v25, s[20:21]
	v_add_u32_e32 v24, v24, v25
	;; [unrolled: 4-line block ×3, first 2 shown]
	ds_write_b32 v11, v24 offset:16384
.LBB76_22:                              ;   in Loop: Header=BB76_2 Depth=1
	s_or_b64 exec, exec, s[30:31]
	v_mov_b32_e32 v24, 0
	s_waitcnt lgkmcnt(0)
	s_barrier
	s_and_saveexec_b64 s[30:31], s[0:1]
	s_cbranch_execz .LBB76_1
; %bb.23:                               ;   in Loop: Header=BB76_2 Depth=1
	ds_read_b32 v24, v12 offset:16380
	s_branch .LBB76_1
.LBB76_24:                              ;   in Loop: Header=BB76_2 Depth=1
	ds_write_b32 v16, v1
	s_or_b64 exec, exec, s[30:31]
	s_and_saveexec_b64 s[30:31], s[24:25]
	s_cbranch_execz .LBB76_4
.LBB76_25:                              ;   in Loop: Header=BB76_2 Depth=1
	ds_write_b32 v17, v1
	s_or_b64 exec, exec, s[30:31]
	s_and_saveexec_b64 s[30:31], s[24:25]
	s_cbranch_execz .LBB76_5
.LBB76_26:                              ;   in Loop: Header=BB76_2 Depth=1
	ds_write_b32 v18, v1
	s_or_b64 exec, exec, s[30:31]
	s_and_saveexec_b64 s[30:31], s[24:25]
	s_cbranch_execnz .LBB76_6
	s_branch .LBB76_7
.LBB76_27:                              ;   in Loop: Header=BB76_2 Depth=1
	ds_write_b32 v16, v1
	s_or_b64 exec, exec, s[30:31]
	s_and_saveexec_b64 s[30:31], s[24:25]
	s_cbranch_execz .LBB76_15
.LBB76_28:                              ;   in Loop: Header=BB76_2 Depth=1
	ds_write_b32 v17, v1
	s_or_b64 exec, exec, s[30:31]
	s_and_saveexec_b64 s[30:31], s[24:25]
	s_cbranch_execz .LBB76_16
.LBB76_29:                              ;   in Loop: Header=BB76_2 Depth=1
	ds_write_b32 v18, v1
	s_or_b64 exec, exec, s[30:31]
	s_and_saveexec_b64 s[30:31], s[24:25]
	s_cbranch_execnz .LBB76_17
	s_branch .LBB76_18
.LBB76_30:
	ds_read_u16 v1, v21
	s_lshl_b64 s[0:1], s[28:29], 2
	s_add_u32 s0, s26, s0
	s_addc_u32 s1, s27, s1
	v_lshlrev_b32_e32 v0, 2, v0
	s_waitcnt lgkmcnt(0)
	v_add_u32_sdwa v1, v1, v23 dst_sel:DWORD dst_unused:UNUSED_PAD src0_sel:DWORD src1_sel:WORD_0
	global_store_dword v0, v1, s[0:1]
	s_endpgm
	.section	.rodata,"a",@progbits
	.p2align	6, 0x0
	.amdhsa_kernel _Z11rank_kernelIhLj4ELb0EL18RadixRankAlgorithm1ELj512ELj1ELj10EEvPKT_Pi
		.amdhsa_group_segment_fixed_size 16416
		.amdhsa_private_segment_fixed_size 0
		.amdhsa_kernarg_size 16
		.amdhsa_user_sgpr_count 6
		.amdhsa_user_sgpr_private_segment_buffer 1
		.amdhsa_user_sgpr_dispatch_ptr 0
		.amdhsa_user_sgpr_queue_ptr 0
		.amdhsa_user_sgpr_kernarg_segment_ptr 1
		.amdhsa_user_sgpr_dispatch_id 0
		.amdhsa_user_sgpr_flat_scratch_init 0
		.amdhsa_user_sgpr_kernarg_preload_length 0
		.amdhsa_user_sgpr_kernarg_preload_offset 0
		.amdhsa_user_sgpr_private_segment_size 0
		.amdhsa_uses_dynamic_stack 0
		.amdhsa_system_sgpr_private_segment_wavefront_offset 0
		.amdhsa_system_sgpr_workgroup_id_x 1
		.amdhsa_system_sgpr_workgroup_id_y 0
		.amdhsa_system_sgpr_workgroup_id_z 0
		.amdhsa_system_sgpr_workgroup_info 0
		.amdhsa_system_vgpr_workitem_id 0
		.amdhsa_next_free_vgpr 26
		.amdhsa_next_free_sgpr 34
		.amdhsa_accum_offset 28
		.amdhsa_reserve_vcc 1
		.amdhsa_reserve_flat_scratch 0
		.amdhsa_float_round_mode_32 0
		.amdhsa_float_round_mode_16_64 0
		.amdhsa_float_denorm_mode_32 3
		.amdhsa_float_denorm_mode_16_64 3
		.amdhsa_dx10_clamp 1
		.amdhsa_ieee_mode 1
		.amdhsa_fp16_overflow 0
		.amdhsa_tg_split 0
		.amdhsa_exception_fp_ieee_invalid_op 0
		.amdhsa_exception_fp_denorm_src 0
		.amdhsa_exception_fp_ieee_div_zero 0
		.amdhsa_exception_fp_ieee_overflow 0
		.amdhsa_exception_fp_ieee_underflow 0
		.amdhsa_exception_fp_ieee_inexact 0
		.amdhsa_exception_int_div_zero 0
	.end_amdhsa_kernel
	.section	.text._Z11rank_kernelIhLj4ELb0EL18RadixRankAlgorithm1ELj512ELj1ELj10EEvPKT_Pi,"axG",@progbits,_Z11rank_kernelIhLj4ELb0EL18RadixRankAlgorithm1ELj512ELj1ELj10EEvPKT_Pi,comdat
.Lfunc_end76:
	.size	_Z11rank_kernelIhLj4ELb0EL18RadixRankAlgorithm1ELj512ELj1ELj10EEvPKT_Pi, .Lfunc_end76-_Z11rank_kernelIhLj4ELb0EL18RadixRankAlgorithm1ELj512ELj1ELj10EEvPKT_Pi
                                        ; -- End function
	.section	.AMDGPU.csdata,"",@progbits
; Kernel info:
; codeLenInByte = 1780
; NumSgprs: 38
; NumVgprs: 26
; NumAgprs: 0
; TotalNumVgprs: 26
; ScratchSize: 0
; MemoryBound: 0
; FloatMode: 240
; IeeeMode: 1
; LDSByteSize: 16416 bytes/workgroup (compile time only)
; SGPRBlocks: 4
; VGPRBlocks: 3
; NumSGPRsForWavesPerEU: 38
; NumVGPRsForWavesPerEU: 26
; AccumOffset: 28
; Occupancy: 6
; WaveLimiterHint : 0
; COMPUTE_PGM_RSRC2:SCRATCH_EN: 0
; COMPUTE_PGM_RSRC2:USER_SGPR: 6
; COMPUTE_PGM_RSRC2:TRAP_HANDLER: 0
; COMPUTE_PGM_RSRC2:TGID_X_EN: 1
; COMPUTE_PGM_RSRC2:TGID_Y_EN: 0
; COMPUTE_PGM_RSRC2:TGID_Z_EN: 0
; COMPUTE_PGM_RSRC2:TIDIG_COMP_CNT: 0
; COMPUTE_PGM_RSRC3_GFX90A:ACCUM_OFFSET: 6
; COMPUTE_PGM_RSRC3_GFX90A:TG_SPLIT: 0
	.section	.text._Z11rank_kernelIhLj4ELb0EL18RadixRankAlgorithm2ELj512ELj1ELj10EEvPKT_Pi,"axG",@progbits,_Z11rank_kernelIhLj4ELb0EL18RadixRankAlgorithm2ELj512ELj1ELj10EEvPKT_Pi,comdat
	.protected	_Z11rank_kernelIhLj4ELb0EL18RadixRankAlgorithm2ELj512ELj1ELj10EEvPKT_Pi ; -- Begin function _Z11rank_kernelIhLj4ELb0EL18RadixRankAlgorithm2ELj512ELj1ELj10EEvPKT_Pi
	.globl	_Z11rank_kernelIhLj4ELb0EL18RadixRankAlgorithm2ELj512ELj1ELj10EEvPKT_Pi
	.p2align	8
	.type	_Z11rank_kernelIhLj4ELb0EL18RadixRankAlgorithm2ELj512ELj1ELj10EEvPKT_Pi,@function
_Z11rank_kernelIhLj4ELb0EL18RadixRankAlgorithm2ELj512ELj1ELj10EEvPKT_Pi: ; @_Z11rank_kernelIhLj4ELb0EL18RadixRankAlgorithm2ELj512ELj1ELj10EEvPKT_Pi
; %bb.0:
	s_load_dwordx4 s[40:43], s[4:5], 0x0
	s_load_dword s24, s[4:5], 0x1c
	s_lshl_b32 s44, s6, 9
	v_and_b32_e32 v2, 0x3ff, v0
	v_mbcnt_lo_u32_b32 v1, -1, 0
	s_waitcnt lgkmcnt(0)
	s_add_u32 s0, s40, s44
	s_addc_u32 s1, s41, 0
	global_load_ubyte v3, v2, s[0:1]
	v_mbcnt_hi_u32_b32 v1, -1, v1
	v_add_u32_e32 v9, -1, v1
	v_and_b32_e32 v10, 64, v1
	v_bfe_u32 v5, v0, 10, 10
	v_bfe_u32 v0, v0, 20, 10
	v_cmp_lt_i32_e64 s[18:19], v9, v10
	s_lshr_b32 s25, s24, 16
	v_and_b32_e32 v6, 15, v1
	v_and_b32_e32 v7, 16, v1
	v_cmp_lt_u32_e32 vcc, 31, v1
	v_cmp_eq_u32_e64 s[4:5], 0, v1
	v_and_b32_e32 v12, 7, v1
	v_cndmask_b32_e64 v1, v9, v1, s[18:19]
	s_and_b32 s24, s24, 0xffff
	v_mad_u32_u24 v0, v0, s25, v5
	v_lshlrev_b32_e32 v18, 2, v1
	v_mov_b32_e32 v4, 0
	v_cmp_eq_u32_e64 s[6:7], 0, v6
	v_cmp_lt_u32_e64 s[8:9], 1, v6
	v_cmp_lt_u32_e64 s[10:11], 3, v6
	;; [unrolled: 1-line block ×3, first 2 shown]
	v_cmp_eq_u32_e64 s[14:15], 0, v7
	v_lshrrev_b32_e32 v11, 4, v2
	v_and_b32_e32 v15, 28, v11
	v_or_b32_e32 v8, 63, v2
	v_cmp_eq_u32_e64 s[16:17], v8, v2
	v_cmp_eq_u32_e64 s[18:19], 0, v12
	v_cmp_lt_u32_e64 s[20:21], 1, v12
	v_cmp_lt_u32_e64 s[22:23], 3, v12
	s_mov_b32 s45, 0
	s_mov_b32 s33, 10
	v_lshlrev_b32_e32 v13, 2, v2
	v_cmp_gt_u32_e64 s[0:1], 8, v2
	v_cmp_lt_u32_e64 s[2:3], 63, v2
	v_add_u32_e32 v19, -4, v15
	s_waitcnt vmcnt(0)
	v_mad_u64_u32 v[0:1], s[24:25], v0, s24, v[2:3]
	v_and_b32_e32 v16, 1, v3
	v_add_co_u32_e64 v20, s[24:25], -1, v16
	v_lshlrev_b32_e32 v5, 30, v3
	v_bfe_u32 v6, v3, 4, 1
	v_addc_co_u32_e64 v21, s[24:25], 0, -1, s[24:25]
	v_cmp_gt_i64_e64 s[34:35], 0, v[4:5]
	v_not_b32_e32 v10, v5
	v_lshlrev_b32_e32 v5, 29, v3
	v_add_co_u32_e64 v22, s[24:25], -1, v6
	v_lshrrev_b32_e32 v9, 4, v3
	v_and_b32_e32 v7, 16, v3
	v_addc_co_u32_e64 v23, s[24:25], 0, -1, s[24:25]
	v_cmp_gt_i64_e64 s[36:37], 0, v[4:5]
	v_not_b32_e32 v6, v5
	v_lshlrev_b32_e32 v5, 28, v3
	v_lshrrev_b32_e32 v1, 6, v0
	v_and_b32_e32 v0, 15, v3
	v_cmp_ne_u32_e64 s[24:25], 0, v7
	v_cmp_gt_i64_e64 s[38:39], 0, v[4:5]
	v_not_b32_e32 v7, v5
	v_lshlrev_b32_e32 v5, 30, v9
	v_mul_u32_u24_e32 v11, 9, v0
	v_ashrrev_i32_e32 v0, 31, v10
	v_cmp_gt_i64_e64 s[26:27], 0, v[4:5]
	v_not_b32_e32 v10, v5
	v_lshlrev_b32_e32 v5, 29, v9
	v_add_lshl_u32 v25, v1, v11, 2
	v_cmp_gt_i64_e64 s[28:29], 0, v[4:5]
	v_not_b32_e32 v11, v5
	v_lshlrev_b32_e32 v5, 28, v9
	v_mul_u32_u24_e32 v8, 9, v9
	v_ashrrev_i32_e32 v12, 31, v11
	v_not_b32_e32 v11, v5
	v_add_lshl_u32 v24, v1, v8, 2
	v_ashrrev_i32_e32 v6, 31, v6
	v_ashrrev_i32_e32 v8, 31, v7
	;; [unrolled: 1-line block ×4, first 2 shown]
	v_cmp_eq_u32_e64 s[40:41], 1, v16
	v_mov_b32_e32 v1, v0
	v_mov_b32_e32 v3, v6
	;; [unrolled: 1-line block ×4, first 2 shown]
	v_cmp_gt_i64_e64 s[30:31], 0, v[4:5]
	v_mov_b32_e32 v5, v12
	v_mov_b32_e32 v11, v14
	v_cndmask_b32_e64 v26, 0, 1, s[40:41]
	v_cndmask_b32_e64 v27, 0, 1, s[34:35]
	;; [unrolled: 1-line block ×4, first 2 shown]
	s_branch .LBB77_2
.LBB77_1:                               ;   in Loop: Header=BB77_2 Depth=1
	s_or_b64 exec, exec, s[34:35]
	s_waitcnt lgkmcnt(0)
	v_add_u32_e32 v16, v17, v16
	ds_bpermute_b32 v16, v18, v16
	s_add_i32 s33, s33, -1
	s_cmp_eq_u32 s33, 0
	s_waitcnt lgkmcnt(0)
	v_cndmask_b32_e64 v16, v16, v17, s[4:5]
	ds_write_b32 v13, v16 offset:32
	s_waitcnt lgkmcnt(0)
	s_barrier
	s_cbranch_scc1 .LBB77_18
.LBB77_2:                               ; =>This Inner Loop Header: Depth=1
	v_cmp_ne_u32_e64 s[34:35], 0, v26
	v_xor_b32_e32 v16, s35, v21
	v_xor_b32_e32 v17, s34, v20
	v_cmp_ne_u32_e64 s[34:35], 0, v27
	v_and_b32_e32 v16, exec_hi, v16
	v_and_b32_e32 v17, exec_lo, v17
	v_xor_b32_e32 v30, s35, v1
	v_xor_b32_e32 v31, s34, v0
	v_cmp_ne_u32_e64 s[34:35], 0, v28
	v_and_b32_e32 v16, v16, v30
	v_and_b32_e32 v17, v17, v31
	v_xor_b32_e32 v30, s35, v3
	v_xor_b32_e32 v31, s34, v6
	v_cmp_ne_u32_e64 s[34:35], 0, v29
	v_and_b32_e32 v16, v16, v30
	v_and_b32_e32 v30, v17, v31
	v_xor_b32_e32 v17, s35, v7
	v_xor_b32_e32 v31, s34, v8
	v_and_b32_e32 v17, v16, v17
	v_and_b32_e32 v16, v30, v31
	v_mbcnt_lo_u32_b32 v30, v16, 0
	v_mbcnt_hi_u32_b32 v30, v17, v30
	v_cmp_eq_u32_e64 s[34:35], 0, v30
	v_cmp_ne_u64_e64 s[36:37], 0, v[16:17]
	s_and_b64 s[36:37], s[36:37], s[34:35]
	ds_write_b32 v13, v4 offset:32
	s_waitcnt lgkmcnt(0)
	s_barrier
	s_waitcnt lgkmcnt(0)
	; wave barrier
	s_and_saveexec_b64 s[34:35], s[36:37]
	s_cbranch_execz .LBB77_4
; %bb.3:                                ;   in Loop: Header=BB77_2 Depth=1
	v_bcnt_u32_b32 v16, v16, 0
	v_bcnt_u32_b32 v16, v17, v16
	ds_write_b32 v25, v16 offset:32
.LBB77_4:                               ;   in Loop: Header=BB77_2 Depth=1
	s_or_b64 exec, exec, s[34:35]
	; wave barrier
	s_waitcnt lgkmcnt(0)
	s_barrier
	ds_read_b32 v16, v13 offset:32
	s_waitcnt lgkmcnt(0)
	s_nop 0
	v_mov_b32_dpp v17, v16 row_shr:1 row_mask:0xf bank_mask:0xf
	v_cndmask_b32_e64 v17, v17, 0, s[6:7]
	v_add_u32_e32 v16, v17, v16
	s_nop 1
	v_mov_b32_dpp v17, v16 row_shr:2 row_mask:0xf bank_mask:0xf
	v_cndmask_b32_e64 v17, 0, v17, s[8:9]
	v_add_u32_e32 v16, v16, v17
	;; [unrolled: 4-line block ×4, first 2 shown]
	s_nop 1
	v_mov_b32_dpp v17, v16 row_bcast:15 row_mask:0xf bank_mask:0xf
	v_cndmask_b32_e64 v17, v17, 0, s[14:15]
	v_add_u32_e32 v16, v16, v17
	s_nop 1
	v_mov_b32_dpp v17, v16 row_bcast:31 row_mask:0xf bank_mask:0xf
	v_cndmask_b32_e32 v17, 0, v17, vcc
	v_add_u32_e32 v16, v16, v17
	s_and_saveexec_b64 s[34:35], s[16:17]
	s_cbranch_execz .LBB77_6
; %bb.5:                                ;   in Loop: Header=BB77_2 Depth=1
	ds_write_b32 v15, v16
.LBB77_6:                               ;   in Loop: Header=BB77_2 Depth=1
	s_or_b64 exec, exec, s[34:35]
	s_waitcnt lgkmcnt(0)
	s_barrier
	s_and_saveexec_b64 s[34:35], s[0:1]
	s_cbranch_execz .LBB77_8
; %bb.7:                                ;   in Loop: Header=BB77_2 Depth=1
	ds_read_b32 v17, v13
	s_waitcnt lgkmcnt(0)
	s_nop 0
	v_mov_b32_dpp v30, v17 row_shr:1 row_mask:0xf bank_mask:0xf
	v_cndmask_b32_e64 v30, v30, 0, s[18:19]
	v_add_u32_e32 v17, v30, v17
	s_nop 1
	v_mov_b32_dpp v30, v17 row_shr:2 row_mask:0xf bank_mask:0xf
	v_cndmask_b32_e64 v30, 0, v30, s[20:21]
	v_add_u32_e32 v17, v17, v30
	;; [unrolled: 4-line block ×3, first 2 shown]
	ds_write_b32 v13, v17
.LBB77_8:                               ;   in Loop: Header=BB77_2 Depth=1
	s_or_b64 exec, exec, s[34:35]
	v_mov_b32_e32 v17, 0
	s_waitcnt lgkmcnt(0)
	s_barrier
	s_and_saveexec_b64 s[34:35], s[2:3]
	s_cbranch_execz .LBB77_10
; %bb.9:                                ;   in Loop: Header=BB77_2 Depth=1
	ds_read_b32 v17, v19
.LBB77_10:                              ;   in Loop: Header=BB77_2 Depth=1
	s_or_b64 exec, exec, s[34:35]
	s_waitcnt lgkmcnt(0)
	v_add_u32_e32 v16, v17, v16
	ds_bpermute_b32 v16, v18, v16
	v_cndmask_b32_e64 v30, 0, 1, s[26:27]
	s_waitcnt lgkmcnt(0)
	v_cndmask_b32_e64 v16, v16, v17, s[4:5]
	ds_write_b32 v13, v16 offset:32
	v_cndmask_b32_e64 v16, 0, 1, s[24:25]
	v_cmp_ne_u32_e64 s[34:35], 0, v16
	v_xor_b32_e32 v16, s35, v23
	v_xor_b32_e32 v17, s34, v22
	v_cmp_ne_u32_e64 s[34:35], 0, v30
	v_and_b32_e32 v16, exec_hi, v16
	v_xor_b32_e32 v30, s35, v9
	v_and_b32_e32 v16, v16, v30
	v_cndmask_b32_e64 v30, 0, 1, s[28:29]
	v_and_b32_e32 v17, exec_lo, v17
	v_xor_b32_e32 v31, s34, v10
	v_cmp_ne_u32_e64 s[34:35], 0, v30
	v_and_b32_e32 v17, v17, v31
	v_xor_b32_e32 v30, s35, v5
	v_xor_b32_e32 v31, s34, v12
	v_and_b32_e32 v16, v16, v30
	v_and_b32_e32 v30, v17, v31
	v_cndmask_b32_e64 v17, 0, 1, s[30:31]
	v_cmp_ne_u32_e64 s[34:35], 0, v17
	v_xor_b32_e32 v17, s35, v11
	v_xor_b32_e32 v31, s34, v14
	v_and_b32_e32 v17, v16, v17
	v_and_b32_e32 v16, v30, v31
	v_mbcnt_lo_u32_b32 v30, v16, 0
	v_mbcnt_hi_u32_b32 v30, v17, v30
	v_cmp_eq_u32_e64 s[34:35], 0, v30
	v_cmp_ne_u64_e64 s[36:37], 0, v[16:17]
	s_and_b64 s[36:37], s[36:37], s[34:35]
	s_waitcnt lgkmcnt(0)
	s_barrier
	ds_write_b32 v13, v4 offset:32
	s_waitcnt lgkmcnt(0)
	s_barrier
	s_waitcnt lgkmcnt(0)
	; wave barrier
	s_and_saveexec_b64 s[34:35], s[36:37]
	s_cbranch_execz .LBB77_12
; %bb.11:                               ;   in Loop: Header=BB77_2 Depth=1
	v_bcnt_u32_b32 v16, v16, 0
	v_bcnt_u32_b32 v16, v17, v16
	ds_write_b32 v24, v16 offset:32
.LBB77_12:                              ;   in Loop: Header=BB77_2 Depth=1
	s_or_b64 exec, exec, s[34:35]
	; wave barrier
	s_waitcnt lgkmcnt(0)
	s_barrier
	ds_read_b32 v16, v13 offset:32
	s_waitcnt lgkmcnt(0)
	s_nop 0
	v_mov_b32_dpp v17, v16 row_shr:1 row_mask:0xf bank_mask:0xf
	v_cndmask_b32_e64 v17, v17, 0, s[6:7]
	v_add_u32_e32 v16, v17, v16
	s_nop 1
	v_mov_b32_dpp v17, v16 row_shr:2 row_mask:0xf bank_mask:0xf
	v_cndmask_b32_e64 v17, 0, v17, s[8:9]
	v_add_u32_e32 v16, v16, v17
	;; [unrolled: 4-line block ×4, first 2 shown]
	s_nop 1
	v_mov_b32_dpp v17, v16 row_bcast:15 row_mask:0xf bank_mask:0xf
	v_cndmask_b32_e64 v17, v17, 0, s[14:15]
	v_add_u32_e32 v16, v16, v17
	s_nop 1
	v_mov_b32_dpp v17, v16 row_bcast:31 row_mask:0xf bank_mask:0xf
	v_cndmask_b32_e32 v17, 0, v17, vcc
	v_add_u32_e32 v16, v16, v17
	s_and_saveexec_b64 s[34:35], s[16:17]
	s_cbranch_execz .LBB77_14
; %bb.13:                               ;   in Loop: Header=BB77_2 Depth=1
	ds_write_b32 v15, v16
.LBB77_14:                              ;   in Loop: Header=BB77_2 Depth=1
	s_or_b64 exec, exec, s[34:35]
	s_waitcnt lgkmcnt(0)
	s_barrier
	s_and_saveexec_b64 s[34:35], s[0:1]
	s_cbranch_execz .LBB77_16
; %bb.15:                               ;   in Loop: Header=BB77_2 Depth=1
	ds_read_b32 v17, v13
	s_waitcnt lgkmcnt(0)
	s_nop 0
	v_mov_b32_dpp v31, v17 row_shr:1 row_mask:0xf bank_mask:0xf
	v_cndmask_b32_e64 v31, v31, 0, s[18:19]
	v_add_u32_e32 v17, v31, v17
	s_nop 1
	v_mov_b32_dpp v31, v17 row_shr:2 row_mask:0xf bank_mask:0xf
	v_cndmask_b32_e64 v31, 0, v31, s[20:21]
	v_add_u32_e32 v17, v17, v31
	;; [unrolled: 4-line block ×3, first 2 shown]
	ds_write_b32 v13, v17
.LBB77_16:                              ;   in Loop: Header=BB77_2 Depth=1
	s_or_b64 exec, exec, s[34:35]
	v_mov_b32_e32 v17, 0
	s_waitcnt lgkmcnt(0)
	s_barrier
	s_and_saveexec_b64 s[34:35], s[2:3]
	s_cbranch_execz .LBB77_1
; %bb.17:                               ;   in Loop: Header=BB77_2 Depth=1
	ds_read_b32 v17, v19
	s_branch .LBB77_1
.LBB77_18:
	ds_read_b32 v0, v24 offset:32
	s_lshl_b64 s[0:1], s[44:45], 2
	s_add_u32 s0, s42, s0
	s_addc_u32 s1, s43, s1
	v_lshlrev_b32_e32 v1, 2, v2
	s_waitcnt lgkmcnt(0)
	v_add_u32_e32 v0, v0, v30
	global_store_dword v1, v0, s[0:1]
	s_endpgm
	.section	.rodata,"a",@progbits
	.p2align	6, 0x0
	.amdhsa_kernel _Z11rank_kernelIhLj4ELb0EL18RadixRankAlgorithm2ELj512ELj1ELj10EEvPKT_Pi
		.amdhsa_group_segment_fixed_size 2080
		.amdhsa_private_segment_fixed_size 0
		.amdhsa_kernarg_size 272
		.amdhsa_user_sgpr_count 6
		.amdhsa_user_sgpr_private_segment_buffer 1
		.amdhsa_user_sgpr_dispatch_ptr 0
		.amdhsa_user_sgpr_queue_ptr 0
		.amdhsa_user_sgpr_kernarg_segment_ptr 1
		.amdhsa_user_sgpr_dispatch_id 0
		.amdhsa_user_sgpr_flat_scratch_init 0
		.amdhsa_user_sgpr_kernarg_preload_length 0
		.amdhsa_user_sgpr_kernarg_preload_offset 0
		.amdhsa_user_sgpr_private_segment_size 0
		.amdhsa_uses_dynamic_stack 0
		.amdhsa_system_sgpr_private_segment_wavefront_offset 0
		.amdhsa_system_sgpr_workgroup_id_x 1
		.amdhsa_system_sgpr_workgroup_id_y 0
		.amdhsa_system_sgpr_workgroup_id_z 0
		.amdhsa_system_sgpr_workgroup_info 0
		.amdhsa_system_vgpr_workitem_id 2
		.amdhsa_next_free_vgpr 32
		.amdhsa_next_free_sgpr 46
		.amdhsa_accum_offset 32
		.amdhsa_reserve_vcc 1
		.amdhsa_reserve_flat_scratch 0
		.amdhsa_float_round_mode_32 0
		.amdhsa_float_round_mode_16_64 0
		.amdhsa_float_denorm_mode_32 3
		.amdhsa_float_denorm_mode_16_64 3
		.amdhsa_dx10_clamp 1
		.amdhsa_ieee_mode 1
		.amdhsa_fp16_overflow 0
		.amdhsa_tg_split 0
		.amdhsa_exception_fp_ieee_invalid_op 0
		.amdhsa_exception_fp_denorm_src 0
		.amdhsa_exception_fp_ieee_div_zero 0
		.amdhsa_exception_fp_ieee_overflow 0
		.amdhsa_exception_fp_ieee_underflow 0
		.amdhsa_exception_fp_ieee_inexact 0
		.amdhsa_exception_int_div_zero 0
	.end_amdhsa_kernel
	.section	.text._Z11rank_kernelIhLj4ELb0EL18RadixRankAlgorithm2ELj512ELj1ELj10EEvPKT_Pi,"axG",@progbits,_Z11rank_kernelIhLj4ELb0EL18RadixRankAlgorithm2ELj512ELj1ELj10EEvPKT_Pi,comdat
.Lfunc_end77:
	.size	_Z11rank_kernelIhLj4ELb0EL18RadixRankAlgorithm2ELj512ELj1ELj10EEvPKT_Pi, .Lfunc_end77-_Z11rank_kernelIhLj4ELb0EL18RadixRankAlgorithm2ELj512ELj1ELj10EEvPKT_Pi
                                        ; -- End function
	.section	.AMDGPU.csdata,"",@progbits
; Kernel info:
; codeLenInByte = 1768
; NumSgprs: 50
; NumVgprs: 32
; NumAgprs: 0
; TotalNumVgprs: 32
; ScratchSize: 0
; MemoryBound: 0
; FloatMode: 240
; IeeeMode: 1
; LDSByteSize: 2080 bytes/workgroup (compile time only)
; SGPRBlocks: 6
; VGPRBlocks: 3
; NumSGPRsForWavesPerEU: 50
; NumVGPRsForWavesPerEU: 32
; AccumOffset: 32
; Occupancy: 8
; WaveLimiterHint : 0
; COMPUTE_PGM_RSRC2:SCRATCH_EN: 0
; COMPUTE_PGM_RSRC2:USER_SGPR: 6
; COMPUTE_PGM_RSRC2:TRAP_HANDLER: 0
; COMPUTE_PGM_RSRC2:TGID_X_EN: 1
; COMPUTE_PGM_RSRC2:TGID_Y_EN: 0
; COMPUTE_PGM_RSRC2:TGID_Z_EN: 0
; COMPUTE_PGM_RSRC2:TIDIG_COMP_CNT: 2
; COMPUTE_PGM_RSRC3_GFX90A:ACCUM_OFFSET: 7
; COMPUTE_PGM_RSRC3_GFX90A:TG_SPLIT: 0
	.section	.text._Z11rank_kernelIhLj4ELb0EL18RadixRankAlgorithm0ELj512ELj4ELj10EEvPKT_Pi,"axG",@progbits,_Z11rank_kernelIhLj4ELb0EL18RadixRankAlgorithm0ELj512ELj4ELj10EEvPKT_Pi,comdat
	.protected	_Z11rank_kernelIhLj4ELb0EL18RadixRankAlgorithm0ELj512ELj4ELj10EEvPKT_Pi ; -- Begin function _Z11rank_kernelIhLj4ELb0EL18RadixRankAlgorithm0ELj512ELj4ELj10EEvPKT_Pi
	.globl	_Z11rank_kernelIhLj4ELb0EL18RadixRankAlgorithm0ELj512ELj4ELj10EEvPKT_Pi
	.p2align	8
	.type	_Z11rank_kernelIhLj4ELb0EL18RadixRankAlgorithm0ELj512ELj4ELj10EEvPKT_Pi,@function
_Z11rank_kernelIhLj4ELb0EL18RadixRankAlgorithm0ELj512ELj4ELj10EEvPKT_Pi: ; @_Z11rank_kernelIhLj4ELb0EL18RadixRankAlgorithm0ELj512ELj4ELj10EEvPKT_Pi
; %bb.0:
	s_load_dwordx4 s[24:27], s[4:5], 0x0
	s_lshl_b32 s28, s6, 11
	v_lshlrev_b32_e32 v2, 2, v0
	v_mbcnt_lo_u32_b32 v4, -1, 0
	v_mbcnt_hi_u32_b32 v12, -1, v4
	s_waitcnt lgkmcnt(0)
	s_add_u32 s0, s24, s28
	s_addc_u32 s1, s25, 0
	global_load_dword v15, v2, s[0:1]
	v_add_u32_e32 v16, -1, v12
	v_and_b32_e32 v17, 64, v12
	s_movk_i32 s24, 0xe00
	v_and_b32_e32 v13, 15, v12
	v_and_b32_e32 v14, 16, v12
	;; [unrolled: 1-line block ×3, first 2 shown]
	v_cmp_lt_i32_e64 s[18:19], v16, v17
	v_cmp_lt_u32_e64 s[2:3], 31, v12
	v_cmp_eq_u32_e64 s[6:7], 0, v12
	v_cmp_eq_u32_e64 s[8:9], 0, v13
	v_cmp_lt_u32_e64 s[10:11], 1, v13
	v_cmp_lt_u32_e64 s[12:13], 3, v13
	;; [unrolled: 1-line block ×3, first 2 shown]
	v_cmp_eq_u32_e64 s[16:17], 0, v14
	v_cndmask_b32_e64 v12, v16, v12, s[18:19]
	v_cmp_eq_u32_e64 s[18:19], 0, v18
	v_cmp_lt_u32_e64 s[20:21], 1, v18
	v_cmp_lt_u32_e64 s[22:23], 3, v18
	v_or_b32_e32 v4, 63, v0
	v_lshrrev_b32_e32 v5, 4, v0
	s_mov_b32 s29, 0
	v_mov_b32_e32 v1, 0
	s_mov_b32 s33, 10
	v_lshlrev_b32_e32 v3, 5, v0
	v_cmp_gt_u32_e32 vcc, 8, v0
	v_cmp_lt_u32_e64 s[0:1], 63, v0
	v_cmp_eq_u32_e64 s[4:5], v4, v0
	v_and_b32_e32 v4, 28, v5
	v_or_b32_e32 v5, 0x800, v2
	v_or_b32_e32 v6, 0x1000, v2
	;; [unrolled: 1-line block ×7, first 2 shown]
	v_lshlrev_b32_e32 v12, 2, v12
	s_waitcnt vmcnt(0)
	v_lshrrev_b32_e32 v28, 19, v15
	v_lshlrev_b32_e32 v13, 5, v15
	v_lshrrev_b32_e32 v14, 6, v15
	v_lshlrev_b32_e32 v16, 9, v15
	v_lshrrev_b32_e32 v17, 2, v15
	v_lshlrev_b32_e32 v18, 1, v15
	v_lshrrev_b32_e32 v19, 10, v15
	v_lshrrev_b32_e32 v20, 7, v15
	;; [unrolled: 1-line block ×9, first 2 shown]
	v_and_or_b32 v28, v28, s24, v0
	v_and_or_b32 v13, v13, s24, v0
	v_and_b32_e32 v14, 2, v14
	v_and_or_b32 v16, v16, s24, v0
	v_and_b32_e32 v17, 2, v17
	;; [unrolled: 2-line block ×7, first 2 shown]
	v_alignbit_b32 v15, v28, v15, 30
	v_lshl_or_b32 v0, v13, 2, v14
	v_lshl_or_b32 v16, v16, 2, v17
	v_lshl_or_b32 v17, v18, 2, v19
	v_lshl_or_b32 v18, v20, 2, v21
	v_lshl_or_b32 v19, v22, 2, v23
	v_lshl_or_b32 v13, v24, 2, v25
	v_lshl_or_b32 v14, v26, 2, v27
	v_and_b32_e32 v15, 0x3ffe, v15
	s_mov_b64 s[24:25], -1
	s_branch .LBB78_2
.LBB78_1:                               ;   in Loop: Header=BB78_2 Depth=1
	s_or_b64 exec, exec, s[30:31]
	s_waitcnt lgkmcnt(0)
	v_add_u32_e32 v24, v25, v24
	ds_bpermute_b32 v24, v12, v24
	ds_read_b32 v26, v1 offset:16412
	s_add_i32 s33, s33, -1
	s_cmp_eq_u32 s33, 0
	s_waitcnt lgkmcnt(1)
	v_cndmask_b32_e64 v27, v24, v25, s[6:7]
	ds_read2_b32 v[24:25], v3 offset1:1
	s_waitcnt lgkmcnt(1)
	v_lshl_add_u32 v30, v26, 16, v27
	ds_read2_b32 v[26:27], v3 offset0:2 offset1:3
	ds_read2_b32 v[28:29], v3 offset0:4 offset1:5
	ds_read_b32 v31, v3 offset:24
	s_waitcnt lgkmcnt(3)
	v_add_u32_e32 v24, v30, v24
	ds_write2_b32 v3, v30, v24 offset1:1
	v_add_u32_e32 v24, v25, v24
	s_waitcnt lgkmcnt(3)
	v_add_u32_e32 v25, v26, v24
	ds_write2_b32 v3, v24, v25 offset0:2 offset1:3
	v_add_u32_e32 v24, v27, v25
	s_waitcnt lgkmcnt(3)
	v_add_u32_e32 v25, v28, v24
	ds_write2_b32 v3, v24, v25 offset0:4 offset1:5
	;; [unrolled: 4-line block ×3, first 2 shown]
	s_waitcnt lgkmcnt(0)
	s_barrier
	s_cbranch_scc1 .LBB78_30
.LBB78_2:                               ; =>This Inner Loop Header: Depth=1
	ds_write_b32 v2, v1
	ds_write_b32 v5, v1
	;; [unrolled: 1-line block ×4, first 2 shown]
	s_and_saveexec_b64 s[30:31], s[24:25]
	s_cbranch_execnz .LBB78_24
; %bb.3:                                ;   in Loop: Header=BB78_2 Depth=1
	s_or_b64 exec, exec, s[30:31]
	s_and_saveexec_b64 s[30:31], s[24:25]
	s_cbranch_execnz .LBB78_25
.LBB78_4:                               ;   in Loop: Header=BB78_2 Depth=1
	s_or_b64 exec, exec, s[30:31]
	s_and_saveexec_b64 s[30:31], s[24:25]
	s_cbranch_execnz .LBB78_26
.LBB78_5:                               ;   in Loop: Header=BB78_2 Depth=1
	s_or_b64 exec, exec, s[30:31]
	s_and_saveexec_b64 s[30:31], s[24:25]
	s_cbranch_execz .LBB78_7
.LBB78_6:                               ;   in Loop: Header=BB78_2 Depth=1
	ds_write_b32 v11, v1
.LBB78_7:                               ;   in Loop: Header=BB78_2 Depth=1
	s_or_b64 exec, exec, s[30:31]
	ds_read_u16 v20, v16
	s_waitcnt lgkmcnt(0)
	v_add_u16_e32 v20, 1, v20
	ds_write_b16 v16, v20
	ds_read_u16 v20, v17
	s_waitcnt lgkmcnt(0)
	v_add_u16_e32 v20, 1, v20
	ds_write_b16 v17, v20
	;; [unrolled: 4-line block ×4, first 2 shown]
	s_waitcnt lgkmcnt(0)
	s_barrier
	ds_read2_b32 v[20:21], v3 offset1:1
	ds_read2_b32 v[22:23], v3 offset0:2 offset1:3
	ds_read2_b32 v[24:25], v3 offset0:4 offset1:5
	;; [unrolled: 1-line block ×3, first 2 shown]
	s_waitcnt lgkmcnt(3)
	v_add_u32_e32 v20, v21, v20
	s_waitcnt lgkmcnt(2)
	v_add3_u32 v20, v20, v22, v23
	s_waitcnt lgkmcnt(1)
	v_add3_u32 v20, v20, v24, v25
	s_waitcnt lgkmcnt(0)
	v_add3_u32 v20, v20, v26, v27
	s_nop 1
	v_mov_b32_dpp v21, v20 row_shr:1 row_mask:0xf bank_mask:0xf
	v_cndmask_b32_e64 v21, v21, 0, s[8:9]
	v_add_u32_e32 v20, v21, v20
	s_nop 1
	v_mov_b32_dpp v21, v20 row_shr:2 row_mask:0xf bank_mask:0xf
	v_cndmask_b32_e64 v21, 0, v21, s[10:11]
	v_add_u32_e32 v20, v20, v21
	;; [unrolled: 4-line block ×4, first 2 shown]
	s_nop 1
	v_mov_b32_dpp v21, v20 row_bcast:15 row_mask:0xf bank_mask:0xf
	v_cndmask_b32_e64 v21, v21, 0, s[16:17]
	v_add_u32_e32 v20, v20, v21
	s_nop 1
	v_mov_b32_dpp v21, v20 row_bcast:31 row_mask:0xf bank_mask:0xf
	v_cndmask_b32_e64 v21, 0, v21, s[2:3]
	v_add_u32_e32 v20, v20, v21
	s_and_saveexec_b64 s[30:31], s[4:5]
	s_cbranch_execz .LBB78_9
; %bb.8:                                ;   in Loop: Header=BB78_2 Depth=1
	ds_write_b32 v4, v20 offset:16384
.LBB78_9:                               ;   in Loop: Header=BB78_2 Depth=1
	s_or_b64 exec, exec, s[30:31]
	s_waitcnt lgkmcnt(0)
	s_barrier
	s_and_saveexec_b64 s[30:31], vcc
	s_cbranch_execz .LBB78_11
; %bb.10:                               ;   in Loop: Header=BB78_2 Depth=1
	ds_read_b32 v21, v2 offset:16384
	s_waitcnt lgkmcnt(0)
	s_nop 0
	v_mov_b32_dpp v22, v21 row_shr:1 row_mask:0xf bank_mask:0xf
	v_cndmask_b32_e64 v22, v22, 0, s[18:19]
	v_add_u32_e32 v21, v22, v21
	s_nop 1
	v_mov_b32_dpp v22, v21 row_shr:2 row_mask:0xf bank_mask:0xf
	v_cndmask_b32_e64 v22, 0, v22, s[20:21]
	v_add_u32_e32 v21, v21, v22
	;; [unrolled: 4-line block ×3, first 2 shown]
	ds_write_b32 v2, v21 offset:16384
.LBB78_11:                              ;   in Loop: Header=BB78_2 Depth=1
	s_or_b64 exec, exec, s[30:31]
	v_mov_b32_e32 v21, 0
	s_waitcnt lgkmcnt(0)
	s_barrier
	s_and_saveexec_b64 s[30:31], s[0:1]
	s_cbranch_execz .LBB78_13
; %bb.12:                               ;   in Loop: Header=BB78_2 Depth=1
	ds_read_b32 v21, v4 offset:16380
.LBB78_13:                              ;   in Loop: Header=BB78_2 Depth=1
	s_or_b64 exec, exec, s[30:31]
	s_waitcnt lgkmcnt(0)
	v_add_u32_e32 v20, v21, v20
	ds_bpermute_b32 v20, v12, v20
	ds_read_b32 v22, v1 offset:16412
	s_waitcnt lgkmcnt(1)
	v_cndmask_b32_e64 v23, v20, v21, s[6:7]
	ds_read2_b32 v[20:21], v3 offset1:1
	s_waitcnt lgkmcnt(1)
	v_lshl_add_u32 v26, v22, 16, v23
	ds_read2_b32 v[22:23], v3 offset0:2 offset1:3
	ds_read2_b32 v[24:25], v3 offset0:4 offset1:5
	ds_read_b32 v27, v3 offset:24
	s_waitcnt lgkmcnt(3)
	v_add_u32_e32 v20, v26, v20
	ds_write2_b32 v3, v26, v20 offset1:1
	v_add_u32_e32 v20, v21, v20
	s_waitcnt lgkmcnt(3)
	v_add_u32_e32 v21, v22, v20
	ds_write2_b32 v3, v20, v21 offset0:2 offset1:3
	v_add_u32_e32 v20, v23, v21
	s_waitcnt lgkmcnt(3)
	v_add_u32_e32 v21, v24, v20
	ds_write2_b32 v3, v20, v21 offset0:4 offset1:5
	;; [unrolled: 4-line block ×3, first 2 shown]
	s_waitcnt lgkmcnt(0)
	s_barrier
	ds_write_b32 v2, v1
	ds_write_b32 v5, v1
	;; [unrolled: 1-line block ×4, first 2 shown]
	s_and_saveexec_b64 s[30:31], s[24:25]
	s_cbranch_execnz .LBB78_27
; %bb.14:                               ;   in Loop: Header=BB78_2 Depth=1
	s_or_b64 exec, exec, s[30:31]
	s_and_saveexec_b64 s[30:31], s[24:25]
	s_cbranch_execnz .LBB78_28
.LBB78_15:                              ;   in Loop: Header=BB78_2 Depth=1
	s_or_b64 exec, exec, s[30:31]
	s_and_saveexec_b64 s[30:31], s[24:25]
	s_cbranch_execnz .LBB78_29
.LBB78_16:                              ;   in Loop: Header=BB78_2 Depth=1
	s_or_b64 exec, exec, s[30:31]
	s_and_saveexec_b64 s[30:31], s[24:25]
	s_cbranch_execz .LBB78_18
.LBB78_17:                              ;   in Loop: Header=BB78_2 Depth=1
	ds_write_b32 v11, v1
.LBB78_18:                              ;   in Loop: Header=BB78_2 Depth=1
	s_or_b64 exec, exec, s[30:31]
	ds_read_u16 v20, v0
	s_waitcnt lgkmcnt(0)
	v_add_u16_e32 v21, 1, v20
	ds_write_b16 v0, v21
	ds_read_u16 v21, v13
	s_waitcnt lgkmcnt(0)
	v_add_u16_e32 v22, 1, v21
	ds_write_b16 v13, v22
	;; [unrolled: 4-line block ×4, first 2 shown]
	s_waitcnt lgkmcnt(0)
	s_barrier
	ds_read2_b32 v[24:25], v3 offset1:1
	ds_read2_b32 v[26:27], v3 offset0:2 offset1:3
	ds_read2_b32 v[28:29], v3 offset0:4 offset1:5
	;; [unrolled: 1-line block ×3, first 2 shown]
	s_waitcnt lgkmcnt(3)
	v_add_u32_e32 v24, v25, v24
	s_waitcnt lgkmcnt(2)
	v_add3_u32 v24, v24, v26, v27
	s_waitcnt lgkmcnt(1)
	v_add3_u32 v24, v24, v28, v29
	;; [unrolled: 2-line block ×3, first 2 shown]
	s_nop 1
	v_mov_b32_dpp v25, v24 row_shr:1 row_mask:0xf bank_mask:0xf
	v_cndmask_b32_e64 v25, v25, 0, s[8:9]
	v_add_u32_e32 v24, v25, v24
	s_nop 1
	v_mov_b32_dpp v25, v24 row_shr:2 row_mask:0xf bank_mask:0xf
	v_cndmask_b32_e64 v25, 0, v25, s[10:11]
	v_add_u32_e32 v24, v24, v25
	;; [unrolled: 4-line block ×4, first 2 shown]
	s_nop 1
	v_mov_b32_dpp v25, v24 row_bcast:15 row_mask:0xf bank_mask:0xf
	v_cndmask_b32_e64 v25, v25, 0, s[16:17]
	v_add_u32_e32 v24, v24, v25
	s_nop 1
	v_mov_b32_dpp v25, v24 row_bcast:31 row_mask:0xf bank_mask:0xf
	v_cndmask_b32_e64 v25, 0, v25, s[2:3]
	v_add_u32_e32 v24, v24, v25
	s_and_saveexec_b64 s[30:31], s[4:5]
	s_cbranch_execz .LBB78_20
; %bb.19:                               ;   in Loop: Header=BB78_2 Depth=1
	ds_write_b32 v4, v24 offset:16384
.LBB78_20:                              ;   in Loop: Header=BB78_2 Depth=1
	s_or_b64 exec, exec, s[30:31]
	s_waitcnt lgkmcnt(0)
	s_barrier
	s_and_saveexec_b64 s[30:31], vcc
	s_cbranch_execz .LBB78_22
; %bb.21:                               ;   in Loop: Header=BB78_2 Depth=1
	ds_read_b32 v25, v2 offset:16384
	s_waitcnt lgkmcnt(0)
	s_nop 0
	v_mov_b32_dpp v26, v25 row_shr:1 row_mask:0xf bank_mask:0xf
	v_cndmask_b32_e64 v26, v26, 0, s[18:19]
	v_add_u32_e32 v25, v26, v25
	s_nop 1
	v_mov_b32_dpp v26, v25 row_shr:2 row_mask:0xf bank_mask:0xf
	v_cndmask_b32_e64 v26, 0, v26, s[20:21]
	v_add_u32_e32 v25, v25, v26
	;; [unrolled: 4-line block ×3, first 2 shown]
	ds_write_b32 v2, v25 offset:16384
.LBB78_22:                              ;   in Loop: Header=BB78_2 Depth=1
	s_or_b64 exec, exec, s[30:31]
	v_mov_b32_e32 v25, 0
	s_waitcnt lgkmcnt(0)
	s_barrier
	s_and_saveexec_b64 s[30:31], s[0:1]
	s_cbranch_execz .LBB78_1
; %bb.23:                               ;   in Loop: Header=BB78_2 Depth=1
	ds_read_b32 v25, v4 offset:16380
	s_branch .LBB78_1
.LBB78_24:                              ;   in Loop: Header=BB78_2 Depth=1
	ds_write_b32 v8, v1
	s_or_b64 exec, exec, s[30:31]
	s_and_saveexec_b64 s[30:31], s[24:25]
	s_cbranch_execz .LBB78_4
.LBB78_25:                              ;   in Loop: Header=BB78_2 Depth=1
	ds_write_b32 v9, v1
	s_or_b64 exec, exec, s[30:31]
	s_and_saveexec_b64 s[30:31], s[24:25]
	s_cbranch_execz .LBB78_5
.LBB78_26:                              ;   in Loop: Header=BB78_2 Depth=1
	ds_write_b32 v10, v1
	s_or_b64 exec, exec, s[30:31]
	s_and_saveexec_b64 s[30:31], s[24:25]
	s_cbranch_execnz .LBB78_6
	s_branch .LBB78_7
.LBB78_27:                              ;   in Loop: Header=BB78_2 Depth=1
	ds_write_b32 v8, v1
	s_or_b64 exec, exec, s[30:31]
	s_and_saveexec_b64 s[30:31], s[24:25]
	s_cbranch_execz .LBB78_15
.LBB78_28:                              ;   in Loop: Header=BB78_2 Depth=1
	ds_write_b32 v9, v1
	s_or_b64 exec, exec, s[30:31]
	s_and_saveexec_b64 s[30:31], s[24:25]
	s_cbranch_execz .LBB78_16
.LBB78_29:                              ;   in Loop: Header=BB78_2 Depth=1
	ds_write_b32 v10, v1
	s_or_b64 exec, exec, s[30:31]
	s_and_saveexec_b64 s[30:31], s[24:25]
	s_cbranch_execnz .LBB78_17
	s_branch .LBB78_18
.LBB78_30:
	ds_read_u16 v0, v0
	ds_read_u16 v1, v13
	;; [unrolled: 1-line block ×4, first 2 shown]
	s_lshl_b64 s[0:1], s[28:29], 2
	s_add_u32 s0, s26, s0
	s_waitcnt lgkmcnt(3)
	v_add_u32_sdwa v4, v0, v20 dst_sel:DWORD dst_unused:UNUSED_PAD src0_sel:DWORD src1_sel:WORD_0
	s_waitcnt lgkmcnt(2)
	v_add_u32_sdwa v5, v1, v21 dst_sel:DWORD dst_unused:UNUSED_PAD src0_sel:DWORD src1_sel:WORD_0
	;; [unrolled: 2-line block ×4, first 2 shown]
	s_addc_u32 s1, s27, s1
	v_lshlrev_b32_e32 v0, 2, v2
	global_store_dwordx4 v0, v[4:7], s[0:1]
	s_endpgm
	.section	.rodata,"a",@progbits
	.p2align	6, 0x0
	.amdhsa_kernel _Z11rank_kernelIhLj4ELb0EL18RadixRankAlgorithm0ELj512ELj4ELj10EEvPKT_Pi
		.amdhsa_group_segment_fixed_size 16416
		.amdhsa_private_segment_fixed_size 0
		.amdhsa_kernarg_size 16
		.amdhsa_user_sgpr_count 6
		.amdhsa_user_sgpr_private_segment_buffer 1
		.amdhsa_user_sgpr_dispatch_ptr 0
		.amdhsa_user_sgpr_queue_ptr 0
		.amdhsa_user_sgpr_kernarg_segment_ptr 1
		.amdhsa_user_sgpr_dispatch_id 0
		.amdhsa_user_sgpr_flat_scratch_init 0
		.amdhsa_user_sgpr_kernarg_preload_length 0
		.amdhsa_user_sgpr_kernarg_preload_offset 0
		.amdhsa_user_sgpr_private_segment_size 0
		.amdhsa_uses_dynamic_stack 0
		.amdhsa_system_sgpr_private_segment_wavefront_offset 0
		.amdhsa_system_sgpr_workgroup_id_x 1
		.amdhsa_system_sgpr_workgroup_id_y 0
		.amdhsa_system_sgpr_workgroup_id_z 0
		.amdhsa_system_sgpr_workgroup_info 0
		.amdhsa_system_vgpr_workitem_id 0
		.amdhsa_next_free_vgpr 32
		.amdhsa_next_free_sgpr 34
		.amdhsa_accum_offset 32
		.amdhsa_reserve_vcc 1
		.amdhsa_reserve_flat_scratch 0
		.amdhsa_float_round_mode_32 0
		.amdhsa_float_round_mode_16_64 0
		.amdhsa_float_denorm_mode_32 3
		.amdhsa_float_denorm_mode_16_64 3
		.amdhsa_dx10_clamp 1
		.amdhsa_ieee_mode 1
		.amdhsa_fp16_overflow 0
		.amdhsa_tg_split 0
		.amdhsa_exception_fp_ieee_invalid_op 0
		.amdhsa_exception_fp_denorm_src 0
		.amdhsa_exception_fp_ieee_div_zero 0
		.amdhsa_exception_fp_ieee_overflow 0
		.amdhsa_exception_fp_ieee_underflow 0
		.amdhsa_exception_fp_ieee_inexact 0
		.amdhsa_exception_int_div_zero 0
	.end_amdhsa_kernel
	.section	.text._Z11rank_kernelIhLj4ELb0EL18RadixRankAlgorithm0ELj512ELj4ELj10EEvPKT_Pi,"axG",@progbits,_Z11rank_kernelIhLj4ELb0EL18RadixRankAlgorithm0ELj512ELj4ELj10EEvPKT_Pi,comdat
.Lfunc_end78:
	.size	_Z11rank_kernelIhLj4ELb0EL18RadixRankAlgorithm0ELj512ELj4ELj10EEvPKT_Pi, .Lfunc_end78-_Z11rank_kernelIhLj4ELb0EL18RadixRankAlgorithm0ELj512ELj4ELj10EEvPKT_Pi
                                        ; -- End function
	.section	.AMDGPU.csdata,"",@progbits
; Kernel info:
; codeLenInByte = 2248
; NumSgprs: 38
; NumVgprs: 32
; NumAgprs: 0
; TotalNumVgprs: 32
; ScratchSize: 0
; MemoryBound: 0
; FloatMode: 240
; IeeeMode: 1
; LDSByteSize: 16416 bytes/workgroup (compile time only)
; SGPRBlocks: 4
; VGPRBlocks: 3
; NumSGPRsForWavesPerEU: 38
; NumVGPRsForWavesPerEU: 32
; AccumOffset: 32
; Occupancy: 6
; WaveLimiterHint : 0
; COMPUTE_PGM_RSRC2:SCRATCH_EN: 0
; COMPUTE_PGM_RSRC2:USER_SGPR: 6
; COMPUTE_PGM_RSRC2:TRAP_HANDLER: 0
; COMPUTE_PGM_RSRC2:TGID_X_EN: 1
; COMPUTE_PGM_RSRC2:TGID_Y_EN: 0
; COMPUTE_PGM_RSRC2:TGID_Z_EN: 0
; COMPUTE_PGM_RSRC2:TIDIG_COMP_CNT: 0
; COMPUTE_PGM_RSRC3_GFX90A:ACCUM_OFFSET: 7
; COMPUTE_PGM_RSRC3_GFX90A:TG_SPLIT: 0
	.section	.text._Z11rank_kernelIhLj4ELb0EL18RadixRankAlgorithm1ELj512ELj4ELj10EEvPKT_Pi,"axG",@progbits,_Z11rank_kernelIhLj4ELb0EL18RadixRankAlgorithm1ELj512ELj4ELj10EEvPKT_Pi,comdat
	.protected	_Z11rank_kernelIhLj4ELb0EL18RadixRankAlgorithm1ELj512ELj4ELj10EEvPKT_Pi ; -- Begin function _Z11rank_kernelIhLj4ELb0EL18RadixRankAlgorithm1ELj512ELj4ELj10EEvPKT_Pi
	.globl	_Z11rank_kernelIhLj4ELb0EL18RadixRankAlgorithm1ELj512ELj4ELj10EEvPKT_Pi
	.p2align	8
	.type	_Z11rank_kernelIhLj4ELb0EL18RadixRankAlgorithm1ELj512ELj4ELj10EEvPKT_Pi,@function
_Z11rank_kernelIhLj4ELb0EL18RadixRankAlgorithm1ELj512ELj4ELj10EEvPKT_Pi: ; @_Z11rank_kernelIhLj4ELb0EL18RadixRankAlgorithm1ELj512ELj4ELj10EEvPKT_Pi
; %bb.0:
	s_load_dwordx4 s[24:27], s[4:5], 0x0
	s_lshl_b32 s28, s6, 11
	v_lshlrev_b32_e32 v2, 2, v0
	v_mbcnt_lo_u32_b32 v4, -1, 0
	v_mbcnt_hi_u32_b32 v4, -1, v4
	s_waitcnt lgkmcnt(0)
	s_add_u32 s0, s24, s28
	s_addc_u32 s1, s25, 0
	global_load_dword v1, v2, s[0:1]
	v_or_b32_e32 v5, 63, v0
	v_cmp_eq_u32_e64 s[4:5], v5, v0
	v_add_u32_e32 v5, -1, v4
	v_and_b32_e32 v9, 64, v4
	v_lshrrev_b32_e32 v6, 4, v0
	v_cmp_lt_i32_e64 s[18:19], v5, v9
	v_and_b32_e32 v7, 15, v4
	v_and_b32_e32 v8, 16, v4
	v_cmp_lt_u32_e64 s[2:3], 31, v4
	v_cmp_eq_u32_e64 s[6:7], 0, v4
	v_and_b32_e32 v11, 28, v6
	v_and_b32_e32 v6, 7, v4
	v_cndmask_b32_e64 v4, v5, v4, s[18:19]
	s_movk_i32 s24, 0xe00
	v_cmp_eq_u32_e64 s[16:17], 0, v8
	v_cmp_eq_u32_e64 s[18:19], 0, v6
	v_cmp_lt_u32_e64 s[20:21], 1, v6
	v_cmp_lt_u32_e64 s[22:23], 3, v6
	v_lshlrev_b32_e32 v19, 2, v4
	v_lshlrev_b32_e32 v10, 5, v0
	v_cmp_gt_u32_e32 vcc, 8, v0
	v_cmp_lt_u32_e64 s[0:1], 63, v0
	v_cmp_eq_u32_e64 s[8:9], 0, v7
	v_cmp_lt_u32_e64 s[10:11], 1, v7
	v_cmp_lt_u32_e64 s[12:13], 3, v7
	;; [unrolled: 1-line block ×3, first 2 shown]
	s_mov_b32 s29, 0
	v_mov_b32_e32 v3, 0
	s_mov_b32 s33, 10
	v_or_b32_e32 v12, 0x800, v2
	v_or_b32_e32 v13, 0x1000, v2
	v_or_b32_e32 v14, 0x1800, v2
	v_or_b32_e32 v15, 0x2000, v2
	v_or_b32_e32 v16, 0x2800, v2
	v_or_b32_e32 v17, 0x3000, v2
	v_or_b32_e32 v18, 0x3800, v2
	s_waitcnt vmcnt(0)
	v_lshlrev_b32_e32 v4, 5, v1
	v_lshlrev_b32_e32 v6, 9, v1
	;; [unrolled: 1-line block ×3, first 2 shown]
	v_lshrrev_b32_e32 v20, 7, v1
	v_lshrrev_b32_e32 v22, 15, v1
	;; [unrolled: 1-line block ×12, first 2 shown]
	v_and_or_b32 v4, v4, s24, v0
	v_and_or_b32 v6, v6, s24, v0
	;; [unrolled: 1-line block ×8, first 2 shown]
	v_and_b32_e32 v5, 2, v5
	v_and_b32_e32 v7, 2, v7
	;; [unrolled: 1-line block ×7, first 2 shown]
	v_alignbit_b32 v0, v0, v1, 30
	v_lshl_or_b32 v20, v4, 2, v5
	v_lshl_or_b32 v24, v6, 2, v7
	;; [unrolled: 1-line block ×7, first 2 shown]
	v_and_b32_e32 v23, 0x3ffe, v0
	s_mov_b64 s[24:25], -1
	s_branch .LBB79_2
.LBB79_1:                               ;   in Loop: Header=BB79_2 Depth=1
	s_or_b64 exec, exec, s[30:31]
	s_waitcnt lgkmcnt(0)
	v_add_u32_e32 v1, v32, v1
	ds_bpermute_b32 v1, v19, v1
	ds_read_b32 v33, v3 offset:16412
	s_add_i32 s33, s33, -1
	s_cmp_eq_u32 s33, 0
	s_waitcnt lgkmcnt(1)
	v_cndmask_b32_e64 v1, v1, v32, s[6:7]
	s_waitcnt lgkmcnt(0)
	v_lshl_add_u32 v1, v33, 16, v1
	v_add_u32_e32 v8, v1, v8
	v_add_u32_e32 v9, v8, v9
	ds_write2_b32 v10, v1, v8 offset1:1
	v_add_u32_e32 v1, v9, v6
	v_add_u32_e32 v6, v1, v7
	ds_write2_b32 v10, v9, v1 offset0:2 offset1:3
	v_add_u32_e32 v1, v6, v4
	v_add_u32_e32 v4, v1, v5
	;; [unrolled: 1-line block ×3, first 2 shown]
	ds_write2_b32 v10, v6, v1 offset0:4 offset1:5
	ds_write2_b32 v10, v4, v0 offset0:6 offset1:7
	s_waitcnt lgkmcnt(0)
	s_barrier
	s_cbranch_scc1 .LBB79_30
.LBB79_2:                               ; =>This Inner Loop Header: Depth=1
	ds_write_b32 v2, v3
	ds_write_b32 v12, v3
	;; [unrolled: 1-line block ×4, first 2 shown]
	s_and_saveexec_b64 s[30:31], s[24:25]
	s_cbranch_execnz .LBB79_24
; %bb.3:                                ;   in Loop: Header=BB79_2 Depth=1
	s_or_b64 exec, exec, s[30:31]
	s_and_saveexec_b64 s[30:31], s[24:25]
	s_cbranch_execnz .LBB79_25
.LBB79_4:                               ;   in Loop: Header=BB79_2 Depth=1
	s_or_b64 exec, exec, s[30:31]
	s_and_saveexec_b64 s[30:31], s[24:25]
	s_cbranch_execnz .LBB79_26
.LBB79_5:                               ;   in Loop: Header=BB79_2 Depth=1
	s_or_b64 exec, exec, s[30:31]
	s_and_saveexec_b64 s[30:31], s[24:25]
	s_cbranch_execz .LBB79_7
.LBB79_6:                               ;   in Loop: Header=BB79_2 Depth=1
	ds_write_b32 v18, v3
.LBB79_7:                               ;   in Loop: Header=BB79_2 Depth=1
	s_or_b64 exec, exec, s[30:31]
	ds_read_u16 v0, v24
	s_waitcnt lgkmcnt(0)
	v_add_u16_e32 v0, 1, v0
	ds_write_b16 v24, v0
	ds_read_u16 v0, v25
	s_waitcnt lgkmcnt(0)
	v_add_u16_e32 v0, 1, v0
	ds_write_b16 v25, v0
	;; [unrolled: 4-line block ×4, first 2 shown]
	s_waitcnt lgkmcnt(0)
	s_barrier
	ds_read2_b32 v[8:9], v10 offset1:1
	ds_read2_b32 v[6:7], v10 offset0:2 offset1:3
	ds_read2_b32 v[4:5], v10 offset0:4 offset1:5
	;; [unrolled: 1-line block ×3, first 2 shown]
	s_waitcnt lgkmcnt(3)
	v_add_u32_e32 v28, v9, v8
	s_waitcnt lgkmcnt(2)
	v_add3_u32 v28, v28, v6, v7
	s_waitcnt lgkmcnt(1)
	v_add3_u32 v28, v28, v4, v5
	;; [unrolled: 2-line block ×3, first 2 shown]
	s_nop 1
	v_mov_b32_dpp v28, v1 row_shr:1 row_mask:0xf bank_mask:0xf
	v_cndmask_b32_e64 v28, v28, 0, s[8:9]
	v_add_u32_e32 v1, v28, v1
	s_nop 1
	v_mov_b32_dpp v28, v1 row_shr:2 row_mask:0xf bank_mask:0xf
	v_cndmask_b32_e64 v28, 0, v28, s[10:11]
	v_add_u32_e32 v1, v1, v28
	;; [unrolled: 4-line block ×4, first 2 shown]
	s_nop 1
	v_mov_b32_dpp v28, v1 row_bcast:15 row_mask:0xf bank_mask:0xf
	v_cndmask_b32_e64 v28, v28, 0, s[16:17]
	v_add_u32_e32 v1, v1, v28
	s_nop 1
	v_mov_b32_dpp v28, v1 row_bcast:31 row_mask:0xf bank_mask:0xf
	v_cndmask_b32_e64 v28, 0, v28, s[2:3]
	v_add_u32_e32 v1, v1, v28
	s_and_saveexec_b64 s[30:31], s[4:5]
	s_cbranch_execz .LBB79_9
; %bb.8:                                ;   in Loop: Header=BB79_2 Depth=1
	ds_write_b32 v11, v1 offset:16384
.LBB79_9:                               ;   in Loop: Header=BB79_2 Depth=1
	s_or_b64 exec, exec, s[30:31]
	s_waitcnt lgkmcnt(0)
	s_barrier
	s_and_saveexec_b64 s[30:31], vcc
	s_cbranch_execz .LBB79_11
; %bb.10:                               ;   in Loop: Header=BB79_2 Depth=1
	ds_read_b32 v28, v2 offset:16384
	s_waitcnt lgkmcnt(0)
	s_nop 0
	v_mov_b32_dpp v29, v28 row_shr:1 row_mask:0xf bank_mask:0xf
	v_cndmask_b32_e64 v29, v29, 0, s[18:19]
	v_add_u32_e32 v28, v29, v28
	s_nop 1
	v_mov_b32_dpp v29, v28 row_shr:2 row_mask:0xf bank_mask:0xf
	v_cndmask_b32_e64 v29, 0, v29, s[20:21]
	v_add_u32_e32 v28, v28, v29
	;; [unrolled: 4-line block ×3, first 2 shown]
	ds_write_b32 v2, v28 offset:16384
.LBB79_11:                              ;   in Loop: Header=BB79_2 Depth=1
	s_or_b64 exec, exec, s[30:31]
	v_mov_b32_e32 v28, 0
	s_waitcnt lgkmcnt(0)
	s_barrier
	s_and_saveexec_b64 s[30:31], s[0:1]
	s_cbranch_execz .LBB79_13
; %bb.12:                               ;   in Loop: Header=BB79_2 Depth=1
	ds_read_b32 v28, v11 offset:16380
.LBB79_13:                              ;   in Loop: Header=BB79_2 Depth=1
	s_or_b64 exec, exec, s[30:31]
	s_waitcnt lgkmcnt(0)
	v_add_u32_e32 v1, v28, v1
	ds_bpermute_b32 v1, v19, v1
	ds_read_b32 v29, v3 offset:16412
	s_waitcnt lgkmcnt(1)
	v_cndmask_b32_e64 v1, v1, v28, s[6:7]
	s_waitcnt lgkmcnt(0)
	v_lshl_add_u32 v1, v29, 16, v1
	v_add_u32_e32 v8, v1, v8
	v_add_u32_e32 v9, v8, v9
	ds_write2_b32 v10, v1, v8 offset1:1
	v_add_u32_e32 v1, v9, v6
	v_add_u32_e32 v6, v1, v7
	ds_write2_b32 v10, v9, v1 offset0:2 offset1:3
	v_add_u32_e32 v1, v6, v4
	v_add_u32_e32 v4, v1, v5
	;; [unrolled: 1-line block ×3, first 2 shown]
	ds_write2_b32 v10, v6, v1 offset0:4 offset1:5
	ds_write2_b32 v10, v4, v0 offset0:6 offset1:7
	s_waitcnt lgkmcnt(0)
	s_barrier
	ds_write_b32 v2, v3
	ds_write_b32 v12, v3
	;; [unrolled: 1-line block ×4, first 2 shown]
	s_and_saveexec_b64 s[30:31], s[24:25]
	s_cbranch_execnz .LBB79_27
; %bb.14:                               ;   in Loop: Header=BB79_2 Depth=1
	s_or_b64 exec, exec, s[30:31]
	s_and_saveexec_b64 s[30:31], s[24:25]
	s_cbranch_execnz .LBB79_28
.LBB79_15:                              ;   in Loop: Header=BB79_2 Depth=1
	s_or_b64 exec, exec, s[30:31]
	s_and_saveexec_b64 s[30:31], s[24:25]
	s_cbranch_execnz .LBB79_29
.LBB79_16:                              ;   in Loop: Header=BB79_2 Depth=1
	s_or_b64 exec, exec, s[30:31]
	s_and_saveexec_b64 s[30:31], s[24:25]
	s_cbranch_execz .LBB79_18
.LBB79_17:                              ;   in Loop: Header=BB79_2 Depth=1
	ds_write_b32 v18, v3
.LBB79_18:                              ;   in Loop: Header=BB79_2 Depth=1
	s_or_b64 exec, exec, s[30:31]
	ds_read_u16 v28, v20
	s_waitcnt lgkmcnt(0)
	v_add_u16_e32 v0, 1, v28
	ds_write_b16 v20, v0
	ds_read_u16 v29, v21
	s_waitcnt lgkmcnt(0)
	v_add_u16_e32 v0, 1, v29
	ds_write_b16 v21, v0
	;; [unrolled: 4-line block ×4, first 2 shown]
	s_waitcnt lgkmcnt(0)
	s_barrier
	ds_read2_b32 v[8:9], v10 offset1:1
	ds_read2_b32 v[6:7], v10 offset0:2 offset1:3
	ds_read2_b32 v[4:5], v10 offset0:4 offset1:5
	;; [unrolled: 1-line block ×3, first 2 shown]
	s_waitcnt lgkmcnt(3)
	v_add_u32_e32 v32, v9, v8
	s_waitcnt lgkmcnt(2)
	v_add3_u32 v32, v32, v6, v7
	s_waitcnt lgkmcnt(1)
	v_add3_u32 v32, v32, v4, v5
	;; [unrolled: 2-line block ×3, first 2 shown]
	s_nop 1
	v_mov_b32_dpp v32, v1 row_shr:1 row_mask:0xf bank_mask:0xf
	v_cndmask_b32_e64 v32, v32, 0, s[8:9]
	v_add_u32_e32 v1, v32, v1
	s_nop 1
	v_mov_b32_dpp v32, v1 row_shr:2 row_mask:0xf bank_mask:0xf
	v_cndmask_b32_e64 v32, 0, v32, s[10:11]
	v_add_u32_e32 v1, v1, v32
	;; [unrolled: 4-line block ×4, first 2 shown]
	s_nop 1
	v_mov_b32_dpp v32, v1 row_bcast:15 row_mask:0xf bank_mask:0xf
	v_cndmask_b32_e64 v32, v32, 0, s[16:17]
	v_add_u32_e32 v1, v1, v32
	s_nop 1
	v_mov_b32_dpp v32, v1 row_bcast:31 row_mask:0xf bank_mask:0xf
	v_cndmask_b32_e64 v32, 0, v32, s[2:3]
	v_add_u32_e32 v1, v1, v32
	s_and_saveexec_b64 s[30:31], s[4:5]
	s_cbranch_execz .LBB79_20
; %bb.19:                               ;   in Loop: Header=BB79_2 Depth=1
	ds_write_b32 v11, v1 offset:16384
.LBB79_20:                              ;   in Loop: Header=BB79_2 Depth=1
	s_or_b64 exec, exec, s[30:31]
	s_waitcnt lgkmcnt(0)
	s_barrier
	s_and_saveexec_b64 s[30:31], vcc
	s_cbranch_execz .LBB79_22
; %bb.21:                               ;   in Loop: Header=BB79_2 Depth=1
	ds_read_b32 v32, v2 offset:16384
	s_waitcnt lgkmcnt(0)
	s_nop 0
	v_mov_b32_dpp v33, v32 row_shr:1 row_mask:0xf bank_mask:0xf
	v_cndmask_b32_e64 v33, v33, 0, s[18:19]
	v_add_u32_e32 v32, v33, v32
	s_nop 1
	v_mov_b32_dpp v33, v32 row_shr:2 row_mask:0xf bank_mask:0xf
	v_cndmask_b32_e64 v33, 0, v33, s[20:21]
	v_add_u32_e32 v32, v32, v33
	;; [unrolled: 4-line block ×3, first 2 shown]
	ds_write_b32 v2, v32 offset:16384
.LBB79_22:                              ;   in Loop: Header=BB79_2 Depth=1
	s_or_b64 exec, exec, s[30:31]
	v_mov_b32_e32 v32, 0
	s_waitcnt lgkmcnt(0)
	s_barrier
	s_and_saveexec_b64 s[30:31], s[0:1]
	s_cbranch_execz .LBB79_1
; %bb.23:                               ;   in Loop: Header=BB79_2 Depth=1
	ds_read_b32 v32, v11 offset:16380
	s_branch .LBB79_1
.LBB79_24:                              ;   in Loop: Header=BB79_2 Depth=1
	ds_write_b32 v15, v3
	s_or_b64 exec, exec, s[30:31]
	s_and_saveexec_b64 s[30:31], s[24:25]
	s_cbranch_execz .LBB79_4
.LBB79_25:                              ;   in Loop: Header=BB79_2 Depth=1
	ds_write_b32 v16, v3
	s_or_b64 exec, exec, s[30:31]
	s_and_saveexec_b64 s[30:31], s[24:25]
	s_cbranch_execz .LBB79_5
.LBB79_26:                              ;   in Loop: Header=BB79_2 Depth=1
	ds_write_b32 v17, v3
	s_or_b64 exec, exec, s[30:31]
	s_and_saveexec_b64 s[30:31], s[24:25]
	s_cbranch_execnz .LBB79_6
	s_branch .LBB79_7
.LBB79_27:                              ;   in Loop: Header=BB79_2 Depth=1
	ds_write_b32 v15, v3
	s_or_b64 exec, exec, s[30:31]
	s_and_saveexec_b64 s[30:31], s[24:25]
	s_cbranch_execz .LBB79_15
.LBB79_28:                              ;   in Loop: Header=BB79_2 Depth=1
	ds_write_b32 v16, v3
	s_or_b64 exec, exec, s[30:31]
	s_and_saveexec_b64 s[30:31], s[24:25]
	s_cbranch_execz .LBB79_16
.LBB79_29:                              ;   in Loop: Header=BB79_2 Depth=1
	ds_write_b32 v17, v3
	s_or_b64 exec, exec, s[30:31]
	s_and_saveexec_b64 s[30:31], s[24:25]
	s_cbranch_execnz .LBB79_17
	s_branch .LBB79_18
.LBB79_30:
	ds_read_u16 v0, v20
	ds_read_u16 v1, v21
	ds_read_u16 v3, v22
	ds_read_u16 v7, v23
	s_lshl_b64 s[0:1], s[28:29], 2
	s_add_u32 s0, s26, s0
	s_waitcnt lgkmcnt(3)
	v_add_u32_sdwa v4, v0, v28 dst_sel:DWORD dst_unused:UNUSED_PAD src0_sel:DWORD src1_sel:WORD_0
	s_waitcnt lgkmcnt(2)
	v_add_u32_sdwa v5, v1, v29 dst_sel:DWORD dst_unused:UNUSED_PAD src0_sel:DWORD src1_sel:WORD_0
	;; [unrolled: 2-line block ×4, first 2 shown]
	s_addc_u32 s1, s27, s1
	v_lshlrev_b32_e32 v0, 2, v2
	global_store_dwordx4 v0, v[4:7], s[0:1]
	s_endpgm
	.section	.rodata,"a",@progbits
	.p2align	6, 0x0
	.amdhsa_kernel _Z11rank_kernelIhLj4ELb0EL18RadixRankAlgorithm1ELj512ELj4ELj10EEvPKT_Pi
		.amdhsa_group_segment_fixed_size 16416
		.amdhsa_private_segment_fixed_size 0
		.amdhsa_kernarg_size 16
		.amdhsa_user_sgpr_count 6
		.amdhsa_user_sgpr_private_segment_buffer 1
		.amdhsa_user_sgpr_dispatch_ptr 0
		.amdhsa_user_sgpr_queue_ptr 0
		.amdhsa_user_sgpr_kernarg_segment_ptr 1
		.amdhsa_user_sgpr_dispatch_id 0
		.amdhsa_user_sgpr_flat_scratch_init 0
		.amdhsa_user_sgpr_kernarg_preload_length 0
		.amdhsa_user_sgpr_kernarg_preload_offset 0
		.amdhsa_user_sgpr_private_segment_size 0
		.amdhsa_uses_dynamic_stack 0
		.amdhsa_system_sgpr_private_segment_wavefront_offset 0
		.amdhsa_system_sgpr_workgroup_id_x 1
		.amdhsa_system_sgpr_workgroup_id_y 0
		.amdhsa_system_sgpr_workgroup_id_z 0
		.amdhsa_system_sgpr_workgroup_info 0
		.amdhsa_system_vgpr_workitem_id 0
		.amdhsa_next_free_vgpr 34
		.amdhsa_next_free_sgpr 34
		.amdhsa_accum_offset 36
		.amdhsa_reserve_vcc 1
		.amdhsa_reserve_flat_scratch 0
		.amdhsa_float_round_mode_32 0
		.amdhsa_float_round_mode_16_64 0
		.amdhsa_float_denorm_mode_32 3
		.amdhsa_float_denorm_mode_16_64 3
		.amdhsa_dx10_clamp 1
		.amdhsa_ieee_mode 1
		.amdhsa_fp16_overflow 0
		.amdhsa_tg_split 0
		.amdhsa_exception_fp_ieee_invalid_op 0
		.amdhsa_exception_fp_denorm_src 0
		.amdhsa_exception_fp_ieee_div_zero 0
		.amdhsa_exception_fp_ieee_overflow 0
		.amdhsa_exception_fp_ieee_underflow 0
		.amdhsa_exception_fp_ieee_inexact 0
		.amdhsa_exception_int_div_zero 0
	.end_amdhsa_kernel
	.section	.text._Z11rank_kernelIhLj4ELb0EL18RadixRankAlgorithm1ELj512ELj4ELj10EEvPKT_Pi,"axG",@progbits,_Z11rank_kernelIhLj4ELb0EL18RadixRankAlgorithm1ELj512ELj4ELj10EEvPKT_Pi,comdat
.Lfunc_end79:
	.size	_Z11rank_kernelIhLj4ELb0EL18RadixRankAlgorithm1ELj512ELj4ELj10EEvPKT_Pi, .Lfunc_end79-_Z11rank_kernelIhLj4ELb0EL18RadixRankAlgorithm1ELj512ELj4ELj10EEvPKT_Pi
                                        ; -- End function
	.section	.AMDGPU.csdata,"",@progbits
; Kernel info:
; codeLenInByte = 2152
; NumSgprs: 38
; NumVgprs: 34
; NumAgprs: 0
; TotalNumVgprs: 34
; ScratchSize: 0
; MemoryBound: 0
; FloatMode: 240
; IeeeMode: 1
; LDSByteSize: 16416 bytes/workgroup (compile time only)
; SGPRBlocks: 4
; VGPRBlocks: 4
; NumSGPRsForWavesPerEU: 38
; NumVGPRsForWavesPerEU: 34
; AccumOffset: 36
; Occupancy: 6
; WaveLimiterHint : 0
; COMPUTE_PGM_RSRC2:SCRATCH_EN: 0
; COMPUTE_PGM_RSRC2:USER_SGPR: 6
; COMPUTE_PGM_RSRC2:TRAP_HANDLER: 0
; COMPUTE_PGM_RSRC2:TGID_X_EN: 1
; COMPUTE_PGM_RSRC2:TGID_Y_EN: 0
; COMPUTE_PGM_RSRC2:TGID_Z_EN: 0
; COMPUTE_PGM_RSRC2:TIDIG_COMP_CNT: 0
; COMPUTE_PGM_RSRC3_GFX90A:ACCUM_OFFSET: 8
; COMPUTE_PGM_RSRC3_GFX90A:TG_SPLIT: 0
	.section	.text._Z11rank_kernelIhLj4ELb0EL18RadixRankAlgorithm2ELj512ELj4ELj10EEvPKT_Pi,"axG",@progbits,_Z11rank_kernelIhLj4ELb0EL18RadixRankAlgorithm2ELj512ELj4ELj10EEvPKT_Pi,comdat
	.protected	_Z11rank_kernelIhLj4ELb0EL18RadixRankAlgorithm2ELj512ELj4ELj10EEvPKT_Pi ; -- Begin function _Z11rank_kernelIhLj4ELb0EL18RadixRankAlgorithm2ELj512ELj4ELj10EEvPKT_Pi
	.globl	_Z11rank_kernelIhLj4ELb0EL18RadixRankAlgorithm2ELj512ELj4ELj10EEvPKT_Pi
	.p2align	8
	.type	_Z11rank_kernelIhLj4ELb0EL18RadixRankAlgorithm2ELj512ELj4ELj10EEvPKT_Pi,@function
_Z11rank_kernelIhLj4ELb0EL18RadixRankAlgorithm2ELj512ELj4ELj10EEvPKT_Pi: ; @_Z11rank_kernelIhLj4ELb0EL18RadixRankAlgorithm2ELj512ELj4ELj10EEvPKT_Pi
; %bb.0:
	s_load_dwordx4 s[0:3], s[4:5], 0x0
	s_load_dword s16, s[4:5], 0x1c
	s_lshl_b32 s94, s6, 11
                                        ; implicit-def: $vgpr87 : SGPR spill to VGPR lane
	v_and_b32_e32 v4, 0x3ff, v0
	v_lshlrev_b32_e32 v2, 2, v4
	s_waitcnt lgkmcnt(0)
	s_add_u32 s0, s0, s94
	v_writelane_b32 v87, s0, 0
	v_writelane_b32 v87, s1, 1
	;; [unrolled: 1-line block ×4, first 2 shown]
	s_addc_u32 s1, s1, 0
	v_mbcnt_lo_u32_b32 v5, -1, 0
	global_load_dword v3, v2, s[0:1]
	v_mbcnt_hi_u32_b32 v21, -1, v5
	v_add_u32_e32 v13, -1, v21
	v_and_b32_e32 v15, 64, v21
	v_cmp_lt_i32_e64 s[14:15], v13, v15
	v_bfe_u32 v7, v0, 10, 10
	v_bfe_u32 v0, v0, 20, 10
	v_cndmask_b32_e64 v25, v13, v21, s[14:15]
	s_lshr_b32 s14, s16, 16
	v_and_b32_e32 v5, 15, v21
	v_or_b32_e32 v11, 63, v4
	s_and_b32 s15, s16, 0xffff
	v_mad_u32_u24 v0, v0, s14, v7
	v_cmp_gt_u32_e32 vcc, 8, v4
	v_cmp_lt_u32_e64 s[0:1], 63, v4
	v_lshrrev_b32_e32 v17, 4, v4
	v_cmp_eq_u32_e64 s[2:3], 0, v5
	v_cmp_lt_u32_e64 s[4:5], 1, v5
	v_cmp_lt_u32_e64 s[6:7], 3, v5
	;; [unrolled: 1-line block ×3, first 2 shown]
	v_cmp_eq_u32_e64 s[12:13], v11, v4
	v_mad_u64_u32 v[4:5], s[14:15], v0, s15, v[4:5]
	v_mov_b32_e32 v1, 0
	v_and_b32_e32 v9, 16, v21
	v_lshrrev_b32_e32 v5, 6, v4
	v_mov_b32_e32 v6, v1
	v_mov_b32_e32 v8, v1
	v_cmp_eq_u32_e64 s[10:11], 0, v9
	v_mov_b32_e32 v18, 30
	v_mov_b32_e32 v12, v1
	;; [unrolled: 1-line block ×5, first 2 shown]
	v_and_b32_e32 v51, 28, v17
	v_and_b32_e32 v52, 7, v21
	v_add_u32_e32 v54, -4, v51
	s_mov_b32 s95, 0
	v_cmp_lt_u32_e64 s[78:79], 31, v21
	v_lshlrev_b32_e32 v79, 2, v25
	v_cmp_eq_u32_e64 s[80:81], 0, v21
	v_cmp_eq_u32_e64 s[82:83], 0, v52
	s_mov_b32 s33, 10
	v_cmp_lt_u32_e64 s[84:85], 1, v52
	v_cmp_lt_u32_e64 s[86:87], 3, v52
	s_waitcnt vmcnt(0)
	v_and_b32_e32 v0, 1, v3
	v_add_co_u32_e64 v55, s[14:15], -1, v0
	v_addc_co_u32_e64 v56, s[14:15], 0, -1, s[14:15]
	v_cmp_ne_u64_e64 s[14:15], 0, v[0:1]
	v_bfe_u32 v0, v3, 8, 1
	v_add_co_u32_e64 v57, s[22:23], -1, v0
	v_addc_co_u32_e64 v58, s[22:23], 0, -1, s[22:23]
	v_cmp_ne_u64_e64 s[22:23], 0, v[0:1]
	v_bfe_u32 v0, v3, 16, 1
	v_lshrrev_b32_e32 v4, 8, v3
	v_add_co_u32_e64 v59, s[30:31], -1, v0
	v_lshlrev_b32_e32 v7, 30, v3
	v_lshlrev_b32_e32 v9, 29, v3
	;; [unrolled: 1-line block ×3, first 2 shown]
	v_addc_co_u32_e64 v60, s[30:31], 0, -1, s[30:31]
	v_cmp_gt_i64_e64 s[16:17], 0, v[6:7]
	v_not_b32_e32 v6, v7
	v_cmp_gt_i64_e64 s[18:19], 0, v[8:9]
	v_not_b32_e32 v7, v9
	v_lshlrev_b32_e32 v13, 30, v4
	v_not_b32_e32 v9, v15
	v_cmp_ne_u64_e64 s[30:31], 0, v[0:1]
	v_bfe_u32 v0, v3, 24, 1
	v_lshlrev_b32_e32 v11, 28, v3
	v_lshlrev_b32_e32 v17, 28, v4
	v_ashrrev_i32_e32 v4, 31, v6
	v_ashrrev_i32_e32 v6, 31, v7
	v_cmp_gt_i64_e64 s[24:25], 0, v[12:13]
	v_not_b32_e32 v7, v13
	v_cmp_gt_i64_e64 s[26:27], 0, v[14:15]
	v_ashrrev_i32_e32 v12, 31, v9
	v_lshlrev_b32_sdwa v15, v18, v3 dst_sel:DWORD dst_unused:UNUSED_PAD src0_sel:DWORD src1_sel:WORD_1
	v_mov_b32_e32 v9, 29
	v_add_co_u32_e64 v61, s[40:41], -1, v0
	v_cmp_gt_i64_e64 s[20:21], 0, v[10:11]
	v_cmp_gt_i64_e64 s[28:29], 0, v[16:17]
	v_ashrrev_i32_e32 v10, 31, v7
	v_cmp_gt_i64_e64 s[34:35], 0, v[14:15]
	v_not_b32_e32 v7, v15
	v_lshlrev_b32_sdwa v15, v9, v3 dst_sel:DWORD dst_unused:UNUSED_PAD src0_sel:DWORD src1_sel:WORD_1
	v_mov_b32_e32 v16, 28
	v_addc_co_u32_e64 v62, s[40:41], 0, -1, s[40:41]
	v_cmp_gt_i64_e64 s[36:37], 0, v[14:15]
	v_not_b32_e32 v13, v15
	v_lshlrev_b32_sdwa v15, v16, v3 dst_sel:DWORD dst_unused:UNUSED_PAD src0_sel:DWORD src1_sel:WORD_1
	v_cmp_ne_u64_e64 s[40:41], 0, v[0:1]
	v_bfe_u32 v0, v3, 4, 1
	v_not_b32_e32 v8, v11
	v_not_b32_e32 v11, v17
	v_cmp_gt_i64_e64 s[38:39], 0, v[14:15]
	v_not_b32_e32 v17, v15
	v_lshlrev_b32_sdwa v15, v18, v3 dst_sel:DWORD dst_unused:UNUSED_PAD src0_sel:DWORD src1_sel:BYTE_3
	v_add_co_u32_e64 v63, s[48:49], -1, v0
	v_cmp_gt_i64_e64 s[42:43], 0, v[14:15]
	v_not_b32_e32 v28, v15
	v_lshlrev_b32_sdwa v15, v9, v3 dst_sel:DWORD dst_unused:UNUSED_PAD src0_sel:DWORD src1_sel:BYTE_3
	v_addc_co_u32_e64 v64, s[48:49], 0, -1, s[48:49]
	v_cmp_gt_i64_e64 s[44:45], 0, v[14:15]
	v_not_b32_e32 v9, v15
	v_lshlrev_b32_sdwa v15, v16, v3 dst_sel:DWORD dst_unused:UNUSED_PAD src0_sel:DWORD src1_sel:BYTE_3
	v_lshrrev_b32_e32 v16, 4, v3
	v_cmp_ne_u64_e64 s[48:49], 0, v[0:1]
	v_bfe_u32 v0, v3, 12, 1
	v_cmp_gt_i64_e64 s[46:47], 0, v[14:15]
	v_not_b32_e32 v29, v15
	v_lshlrev_b32_e32 v15, 30, v16
	v_add_co_u32_e64 v65, s[56:57], -1, v0
	v_cmp_gt_i64_e64 s[50:51], 0, v[14:15]
	v_not_b32_e32 v30, v15
	v_lshlrev_b32_e32 v15, 29, v16
	v_addc_co_u32_e64 v66, s[56:57], 0, -1, s[56:57]
	v_cmp_gt_i64_e64 s[52:53], 0, v[14:15]
	v_not_b32_e32 v31, v15
	v_lshlrev_b32_e32 v15, 28, v16
	v_lshrrev_b32_e32 v16, 12, v3
	v_cmp_ne_u64_e64 s[56:57], 0, v[0:1]
	v_bfe_u32 v0, v3, 20, 1
	v_cmp_gt_i64_e64 s[54:55], 0, v[14:15]
	v_not_b32_e32 v32, v15
	v_lshlrev_b32_e32 v15, 30, v16
	v_add_co_u32_e64 v67, s[64:65], -1, v0
	v_cmp_gt_i64_e64 s[58:59], 0, v[14:15]
	v_not_b32_e32 v33, v15
	v_lshlrev_b32_e32 v15, 29, v16
	v_addc_co_u32_e64 v68, s[64:65], 0, -1, s[64:65]
	v_cmp_gt_i64_e64 s[60:61], 0, v[14:15]
	v_not_b32_e32 v35, v15
	v_lshlrev_b32_e32 v15, 28, v16
	v_lshrrev_b32_e32 v16, 20, v3
	v_cmp_ne_u64_e64 s[64:65], 0, v[0:1]
	v_bfe_u32 v0, v3, 28, 1
	v_cmp_gt_i64_e64 s[62:63], 0, v[14:15]
	v_not_b32_e32 v37, v15
	v_lshlrev_b32_e32 v15, 30, v16
	v_add_co_u32_e64 v69, s[68:69], -1, v0
	v_and_b32_e32 v20, 15, v3
	v_cmp_gt_i64_e64 s[66:67], 0, v[14:15]
	v_not_b32_e32 v39, v15
	v_lshlrev_b32_e32 v15, 29, v16
	v_addc_co_u32_e64 v70, s[68:69], 0, -1, s[68:69]
	v_bfe_u32 v22, v3, 8, 4
	v_cmp_gt_i64_e64 s[68:69], 0, v[14:15]
	v_not_b32_e32 v41, v15
	v_lshlrev_b32_e32 v15, 28, v16
	v_mul_u32_u24_e32 v16, 9, v20
	v_bfe_u32 v23, v3, 16, 4
	v_add_lshl_u32 v71, v5, v16, 2
	v_mul_u32_u24_e32 v16, 9, v22
	v_bfe_u32 v24, v3, 24, 4
	v_add_lshl_u32 v72, v5, v16, 2
	v_mul_u32_u24_e32 v16, 9, v23
	v_bfe_u32 v18, v3, 4, 4
	v_cmp_gt_i64_e64 s[70:71], 0, v[14:15]
	v_bfe_u32 v14, v3, 20, 4
	v_add_lshl_u32 v74, v5, v16, 2
	v_mul_u32_u24_e32 v16, 9, v24
	v_bfe_u32 v26, v3, 12, 4
	v_lshrrev_b32_e32 v27, 28, v3
	v_add_lshl_u32 v75, v5, v16, 2
	v_mul_u32_u24_e32 v16, 9, v18
	v_mul_u32_u24_e32 v14, 9, v14
	v_lshlrev_b32_e32 v19, 30, v27
	v_add_lshl_u32 v73, v5, v16, 2
	v_mul_u32_u24_e32 v16, 9, v26
	v_add_lshl_u32 v77, v5, v14, 2
	v_mul_u32_u24_e32 v14, 9, v27
	v_lshlrev_b32_e32 v23, 29, v27
	v_and_b32_e32 v27, 0xf0000000, v3
	v_not_b32_e32 v15, v15
	v_add_lshl_u32 v76, v5, v16, 2
	v_add_lshl_u32 v78, v5, v14, 2
	v_mov_b32_e32 v18, v1
	v_ashrrev_i32_e32 v16, 31, v7
	v_not_b32_e32 v5, v19
	v_mov_b32_e32 v22, v1
	v_not_b32_e32 v3, v23
	v_mov_b32_e32 v26, v1
	v_not_b32_e32 v7, v27
	v_ashrrev_i32_e32 v8, 31, v8
	v_ashrrev_i32_e32 v14, 31, v11
	v_cmp_gt_i64_e64 s[72:73], 0, v[18:19]
	v_ashrrev_i32_e32 v18, 31, v13
	v_ashrrev_i32_e32 v20, 31, v17
	v_cmp_gt_i64_e64 s[74:75], 0, v[22:23]
	;; [unrolled: 3-line block ×3, first 2 shown]
	v_ashrrev_i32_e32 v26, 31, v29
	v_ashrrev_i32_e32 v28, 31, v30
	;; [unrolled: 1-line block ×13, first 2 shown]
	v_mov_b32_e32 v3, v4
	v_mov_b32_e32 v5, v6
	;; [unrolled: 1-line block ×24, first 2 shown]
	v_cmp_ne_u64_e64 s[88:89], 0, v[0:1]
	s_branch .LBB80_2
.LBB80_1:                               ;   in Loop: Header=BB80_2 Depth=1
	s_or_b64 exec, exec, s[90:91]
	s_waitcnt lgkmcnt(0)
	v_add_u32_e32 v52, v53, v52
	ds_bpermute_b32 v52, v79, v52
	s_add_i32 s33, s33, -1
	s_cmp_eq_u32 s33, 0
	s_waitcnt lgkmcnt(0)
	v_cndmask_b32_e64 v52, v52, v53, s[80:81]
	ds_write_b32 v2, v52 offset:32
	s_waitcnt lgkmcnt(0)
	s_barrier
	s_cbranch_scc1 .LBB80_30
.LBB80_2:                               ; =>This Inner Loop Header: Depth=1
	v_cndmask_b32_e64 v0, 0, 1, s[14:15]
	v_cmp_ne_u32_e64 s[90:91], 0, v0
	v_cndmask_b32_e64 v53, 0, 1, s[16:17]
	v_xor_b32_e32 v0, s91, v56
	v_xor_b32_e32 v52, s90, v55
	v_cmp_ne_u32_e64 s[90:91], 0, v53
	v_and_b32_e32 v0, exec_hi, v0
	v_xor_b32_e32 v53, s91, v3
	v_and_b32_e32 v0, v0, v53
	v_cndmask_b32_e64 v53, 0, 1, s[18:19]
	v_xor_b32_e32 v80, s90, v4
	v_cmp_ne_u32_e64 s[90:91], 0, v53
	v_xor_b32_e32 v53, s91, v5
	v_and_b32_e32 v52, exec_lo, v52
	v_and_b32_e32 v0, v0, v53
	v_cndmask_b32_e64 v53, 0, 1, s[20:21]
	v_and_b32_e32 v52, v52, v80
	v_xor_b32_e32 v80, s90, v6
	v_cmp_ne_u32_e64 s[90:91], 0, v53
	v_and_b32_e32 v52, v52, v80
	v_xor_b32_e32 v80, s90, v8
	v_xor_b32_e32 v53, s91, v7
	v_and_b32_e32 v52, v52, v80
	v_and_b32_e32 v53, v0, v53
	v_mbcnt_lo_u32_b32 v0, v52, 0
	v_mbcnt_hi_u32_b32 v0, v53, v0
	v_cmp_eq_u32_e64 s[90:91], 0, v0
	v_cmp_ne_u64_e64 s[92:93], 0, v[52:53]
	s_and_b64 s[92:93], s[92:93], s[90:91]
	ds_write_b32 v2, v1 offset:32
	s_waitcnt lgkmcnt(0)
	s_barrier
	s_waitcnt lgkmcnt(0)
	; wave barrier
	s_and_saveexec_b64 s[90:91], s[92:93]
	s_cbranch_execz .LBB80_4
; %bb.3:                                ;   in Loop: Header=BB80_2 Depth=1
	v_bcnt_u32_b32 v0, v52, 0
	v_bcnt_u32_b32 v0, v53, v0
	ds_write_b32 v71, v0 offset:32
.LBB80_4:                               ;   in Loop: Header=BB80_2 Depth=1
	s_or_b64 exec, exec, s[90:91]
	v_cndmask_b32_e64 v52, 0, 1, s[22:23]
	v_cmp_ne_u32_e64 s[90:91], 0, v52
	v_cndmask_b32_e64 v80, 0, 1, s[24:25]
	v_xor_b32_e32 v52, s91, v58
	v_xor_b32_e32 v53, s90, v57
	v_cmp_ne_u32_e64 s[90:91], 0, v80
	v_and_b32_e32 v52, exec_hi, v52
	v_xor_b32_e32 v80, s91, v9
	v_and_b32_e32 v52, v52, v80
	v_cndmask_b32_e64 v80, 0, 1, s[26:27]
	v_and_b32_e32 v53, exec_lo, v53
	v_xor_b32_e32 v81, s90, v10
	v_cmp_ne_u32_e64 s[90:91], 0, v80
	v_and_b32_e32 v53, v53, v81
	v_xor_b32_e32 v80, s91, v11
	v_xor_b32_e32 v81, s90, v12
	v_and_b32_e32 v52, v52, v80
	v_and_b32_e32 v80, v53, v81
	v_cndmask_b32_e64 v53, 0, 1, s[28:29]
	v_cmp_ne_u32_e64 s[90:91], 0, v53
	v_xor_b32_e32 v53, s91, v13
	v_xor_b32_e32 v81, s90, v14
	; wave barrier
	ds_read_b32 v0, v72 offset:32
	v_and_b32_e32 v53, v52, v53
	v_and_b32_e32 v52, v80, v81
	v_mbcnt_lo_u32_b32 v80, v52, 0
	v_mbcnt_hi_u32_b32 v80, v53, v80
	v_cmp_eq_u32_e64 s[90:91], 0, v80
	v_cmp_ne_u64_e64 s[92:93], 0, v[52:53]
	s_and_b64 s[92:93], s[92:93], s[90:91]
	; wave barrier
	s_and_saveexec_b64 s[90:91], s[92:93]
	s_cbranch_execz .LBB80_6
; %bb.5:                                ;   in Loop: Header=BB80_2 Depth=1
	v_bcnt_u32_b32 v52, v52, 0
	v_bcnt_u32_b32 v52, v53, v52
	s_waitcnt lgkmcnt(0)
	v_add_u32_e32 v0, v0, v52
	ds_write_b32 v72, v0 offset:32
.LBB80_6:                               ;   in Loop: Header=BB80_2 Depth=1
	s_or_b64 exec, exec, s[90:91]
	v_cndmask_b32_e64 v52, 0, 1, s[30:31]
	v_cmp_ne_u32_e64 s[90:91], 0, v52
	v_cndmask_b32_e64 v80, 0, 1, s[34:35]
	v_xor_b32_e32 v52, s91, v60
	v_xor_b32_e32 v53, s90, v59
	v_cmp_ne_u32_e64 s[90:91], 0, v80
	v_and_b32_e32 v52, exec_hi, v52
	v_xor_b32_e32 v80, s91, v15
	v_and_b32_e32 v52, v52, v80
	v_cndmask_b32_e64 v80, 0, 1, s[36:37]
	v_and_b32_e32 v53, exec_lo, v53
	v_xor_b32_e32 v81, s90, v16
	v_cmp_ne_u32_e64 s[90:91], 0, v80
	v_and_b32_e32 v53, v53, v81
	v_xor_b32_e32 v80, s91, v17
	v_xor_b32_e32 v81, s90, v18
	v_and_b32_e32 v52, v52, v80
	v_and_b32_e32 v80, v53, v81
	v_cndmask_b32_e64 v53, 0, 1, s[38:39]
	v_cmp_ne_u32_e64 s[90:91], 0, v53
	v_xor_b32_e32 v53, s91, v19
	v_xor_b32_e32 v81, s90, v20
	; wave barrier
	s_waitcnt lgkmcnt(0)
	ds_read_b32 v0, v74 offset:32
	v_and_b32_e32 v53, v52, v53
	v_and_b32_e32 v52, v80, v81
	v_mbcnt_lo_u32_b32 v80, v52, 0
	v_mbcnt_hi_u32_b32 v80, v53, v80
	v_cmp_eq_u32_e64 s[90:91], 0, v80
	v_cmp_ne_u64_e64 s[92:93], 0, v[52:53]
	s_and_b64 s[92:93], s[92:93], s[90:91]
	; wave barrier
	s_and_saveexec_b64 s[90:91], s[92:93]
	s_cbranch_execz .LBB80_8
; %bb.7:                                ;   in Loop: Header=BB80_2 Depth=1
	v_bcnt_u32_b32 v52, v52, 0
	v_bcnt_u32_b32 v52, v53, v52
	s_waitcnt lgkmcnt(0)
	v_add_u32_e32 v0, v0, v52
	ds_write_b32 v74, v0 offset:32
.LBB80_8:                               ;   in Loop: Header=BB80_2 Depth=1
	s_or_b64 exec, exec, s[90:91]
	v_cndmask_b32_e64 v52, 0, 1, s[40:41]
	v_cmp_ne_u32_e64 s[90:91], 0, v52
	v_cndmask_b32_e64 v80, 0, 1, s[42:43]
	v_xor_b32_e32 v52, s91, v62
	v_xor_b32_e32 v53, s90, v61
	v_cmp_ne_u32_e64 s[90:91], 0, v80
	v_and_b32_e32 v52, exec_hi, v52
	v_xor_b32_e32 v80, s91, v21
	v_and_b32_e32 v52, v52, v80
	v_cndmask_b32_e64 v80, 0, 1, s[44:45]
	v_and_b32_e32 v53, exec_lo, v53
	v_xor_b32_e32 v81, s90, v22
	v_cmp_ne_u32_e64 s[90:91], 0, v80
	v_and_b32_e32 v53, v53, v81
	v_xor_b32_e32 v80, s91, v23
	v_xor_b32_e32 v81, s90, v24
	v_and_b32_e32 v52, v52, v80
	v_and_b32_e32 v80, v53, v81
	v_cndmask_b32_e64 v53, 0, 1, s[46:47]
	v_cmp_ne_u32_e64 s[90:91], 0, v53
	v_xor_b32_e32 v53, s91, v25
	v_xor_b32_e32 v81, s90, v26
	; wave barrier
	s_waitcnt lgkmcnt(0)
	ds_read_b32 v0, v75 offset:32
	v_and_b32_e32 v53, v52, v53
	v_and_b32_e32 v52, v80, v81
	v_mbcnt_lo_u32_b32 v80, v52, 0
	v_mbcnt_hi_u32_b32 v80, v53, v80
	v_cmp_eq_u32_e64 s[90:91], 0, v80
	v_cmp_ne_u64_e64 s[92:93], 0, v[52:53]
	s_and_b64 s[92:93], s[92:93], s[90:91]
	; wave barrier
	s_and_saveexec_b64 s[90:91], s[92:93]
	s_cbranch_execz .LBB80_10
; %bb.9:                                ;   in Loop: Header=BB80_2 Depth=1
	v_bcnt_u32_b32 v52, v52, 0
	v_bcnt_u32_b32 v52, v53, v52
	s_waitcnt lgkmcnt(0)
	v_add_u32_e32 v0, v0, v52
	ds_write_b32 v75, v0 offset:32
.LBB80_10:                              ;   in Loop: Header=BB80_2 Depth=1
	s_or_b64 exec, exec, s[90:91]
	; wave barrier
	s_waitcnt lgkmcnt(0)
	s_barrier
	ds_read_b32 v0, v2 offset:32
	s_waitcnt lgkmcnt(0)
	s_nop 0
	v_mov_b32_dpp v52, v0 row_shr:1 row_mask:0xf bank_mask:0xf
	v_cndmask_b32_e64 v52, v52, 0, s[2:3]
	v_add_u32_e32 v0, v52, v0
	s_nop 1
	v_mov_b32_dpp v52, v0 row_shr:2 row_mask:0xf bank_mask:0xf
	v_cndmask_b32_e64 v52, 0, v52, s[4:5]
	v_add_u32_e32 v0, v0, v52
	;; [unrolled: 4-line block ×4, first 2 shown]
	s_nop 1
	v_mov_b32_dpp v52, v0 row_bcast:15 row_mask:0xf bank_mask:0xf
	v_cndmask_b32_e64 v52, v52, 0, s[10:11]
	v_add_u32_e32 v0, v0, v52
	s_nop 1
	v_mov_b32_dpp v52, v0 row_bcast:31 row_mask:0xf bank_mask:0xf
	v_cndmask_b32_e64 v52, 0, v52, s[78:79]
	v_add_u32_e32 v0, v0, v52
	s_and_saveexec_b64 s[90:91], s[12:13]
	s_xor_b64 s[90:91], exec, s[90:91]
	s_cbranch_execz .LBB80_12
; %bb.11:                               ;   in Loop: Header=BB80_2 Depth=1
	ds_write_b32 v51, v0
.LBB80_12:                              ;   in Loop: Header=BB80_2 Depth=1
	s_or_b64 exec, exec, s[90:91]
	s_waitcnt lgkmcnt(0)
	s_barrier
	s_and_saveexec_b64 s[90:91], vcc
	s_cbranch_execz .LBB80_14
; %bb.13:                               ;   in Loop: Header=BB80_2 Depth=1
	ds_read_b32 v52, v2
	s_waitcnt lgkmcnt(0)
	s_nop 0
	v_mov_b32_dpp v53, v52 row_shr:1 row_mask:0xf bank_mask:0xf
	v_cndmask_b32_e64 v53, v53, 0, s[82:83]
	v_add_u32_e32 v52, v53, v52
	s_nop 1
	v_mov_b32_dpp v53, v52 row_shr:2 row_mask:0xf bank_mask:0xf
	v_cndmask_b32_e64 v53, 0, v53, s[84:85]
	v_add_u32_e32 v52, v52, v53
	;; [unrolled: 4-line block ×3, first 2 shown]
	ds_write_b32 v2, v52
.LBB80_14:                              ;   in Loop: Header=BB80_2 Depth=1
	s_or_b64 exec, exec, s[90:91]
	v_mov_b32_e32 v52, 0
	s_waitcnt lgkmcnt(0)
	s_barrier
	s_and_saveexec_b64 s[90:91], s[0:1]
	s_cbranch_execz .LBB80_16
; %bb.15:                               ;   in Loop: Header=BB80_2 Depth=1
	ds_read_b32 v52, v54
.LBB80_16:                              ;   in Loop: Header=BB80_2 Depth=1
	s_or_b64 exec, exec, s[90:91]
	s_waitcnt lgkmcnt(0)
	v_add_u32_e32 v0, v52, v0
	ds_bpermute_b32 v0, v79, v0
	v_cndmask_b32_e64 v53, 0, 1, s[50:51]
	s_waitcnt lgkmcnt(0)
	v_cndmask_b32_e64 v0, v0, v52, s[80:81]
	ds_write_b32 v2, v0 offset:32
	v_cndmask_b32_e64 v0, 0, 1, s[48:49]
	v_cmp_ne_u32_e64 s[90:91], 0, v0
	v_xor_b32_e32 v0, s91, v64
	v_xor_b32_e32 v52, s90, v63
	v_cmp_ne_u32_e64 s[90:91], 0, v53
	v_and_b32_e32 v0, exec_hi, v0
	v_xor_b32_e32 v53, s91, v27
	v_and_b32_e32 v0, v0, v53
	v_cndmask_b32_e64 v53, 0, 1, s[52:53]
	v_xor_b32_e32 v80, s90, v28
	v_cmp_ne_u32_e64 s[90:91], 0, v53
	v_xor_b32_e32 v53, s91, v29
	v_and_b32_e32 v52, exec_lo, v52
	v_and_b32_e32 v0, v0, v53
	v_cndmask_b32_e64 v53, 0, 1, s[54:55]
	v_and_b32_e32 v52, v52, v80
	v_xor_b32_e32 v80, s90, v30
	v_cmp_ne_u32_e64 s[90:91], 0, v53
	v_and_b32_e32 v52, v52, v80
	v_xor_b32_e32 v80, s90, v32
	v_xor_b32_e32 v53, s91, v31
	v_and_b32_e32 v52, v52, v80
	v_and_b32_e32 v53, v0, v53
	v_mbcnt_lo_u32_b32 v0, v52, 0
	v_mbcnt_hi_u32_b32 v0, v53, v0
	v_cmp_eq_u32_e64 s[90:91], 0, v0
	v_cmp_ne_u64_e64 s[92:93], 0, v[52:53]
	s_and_b64 s[92:93], s[92:93], s[90:91]
	s_waitcnt lgkmcnt(0)
	s_barrier
	ds_write_b32 v2, v1 offset:32
	s_waitcnt lgkmcnt(0)
	s_barrier
	s_waitcnt lgkmcnt(0)
	; wave barrier
	s_and_saveexec_b64 s[90:91], s[92:93]
	s_cbranch_execz .LBB80_18
; %bb.17:                               ;   in Loop: Header=BB80_2 Depth=1
	v_bcnt_u32_b32 v52, v52, 0
	v_bcnt_u32_b32 v52, v53, v52
	ds_write_b32 v73, v52 offset:32
.LBB80_18:                              ;   in Loop: Header=BB80_2 Depth=1
	s_or_b64 exec, exec, s[90:91]
	v_cndmask_b32_e64 v52, 0, 1, s[56:57]
	v_cmp_ne_u32_e64 s[90:91], 0, v52
	v_cndmask_b32_e64 v81, 0, 1, s[58:59]
	v_xor_b32_e32 v52, s91, v66
	v_xor_b32_e32 v53, s90, v65
	v_cmp_ne_u32_e64 s[90:91], 0, v81
	v_and_b32_e32 v52, exec_hi, v52
	v_xor_b32_e32 v81, s91, v33
	v_and_b32_e32 v52, v52, v81
	v_cndmask_b32_e64 v81, 0, 1, s[60:61]
	v_and_b32_e32 v53, exec_lo, v53
	v_xor_b32_e32 v82, s90, v34
	v_cmp_ne_u32_e64 s[90:91], 0, v81
	v_and_b32_e32 v53, v53, v82
	v_xor_b32_e32 v81, s91, v35
	v_xor_b32_e32 v82, s90, v36
	v_and_b32_e32 v52, v52, v81
	v_and_b32_e32 v81, v53, v82
	v_cndmask_b32_e64 v53, 0, 1, s[62:63]
	v_cmp_ne_u32_e64 s[90:91], 0, v53
	v_xor_b32_e32 v53, s91, v37
	v_xor_b32_e32 v82, s90, v38
	; wave barrier
	ds_read_b32 v80, v76 offset:32
	v_and_b32_e32 v53, v52, v53
	v_and_b32_e32 v52, v81, v82
	v_mbcnt_lo_u32_b32 v81, v52, 0
	v_mbcnt_hi_u32_b32 v81, v53, v81
	v_cmp_eq_u32_e64 s[90:91], 0, v81
	v_cmp_ne_u64_e64 s[92:93], 0, v[52:53]
	s_and_b64 s[92:93], s[92:93], s[90:91]
	; wave barrier
	s_and_saveexec_b64 s[90:91], s[92:93]
	s_cbranch_execz .LBB80_20
; %bb.19:                               ;   in Loop: Header=BB80_2 Depth=1
	v_bcnt_u32_b32 v52, v52, 0
	v_bcnt_u32_b32 v52, v53, v52
	s_waitcnt lgkmcnt(0)
	v_add_u32_e32 v52, v80, v52
	ds_write_b32 v76, v52 offset:32
.LBB80_20:                              ;   in Loop: Header=BB80_2 Depth=1
	s_or_b64 exec, exec, s[90:91]
	v_cndmask_b32_e64 v52, 0, 1, s[64:65]
	v_cmp_ne_u32_e64 s[90:91], 0, v52
	v_cndmask_b32_e64 v83, 0, 1, s[66:67]
	v_xor_b32_e32 v52, s91, v68
	v_xor_b32_e32 v53, s90, v67
	v_cmp_ne_u32_e64 s[90:91], 0, v83
	v_and_b32_e32 v52, exec_hi, v52
	v_xor_b32_e32 v83, s91, v39
	v_and_b32_e32 v52, v52, v83
	v_cndmask_b32_e64 v83, 0, 1, s[68:69]
	v_and_b32_e32 v53, exec_lo, v53
	v_xor_b32_e32 v84, s90, v40
	v_cmp_ne_u32_e64 s[90:91], 0, v83
	v_and_b32_e32 v53, v53, v84
	v_xor_b32_e32 v83, s91, v41
	v_xor_b32_e32 v84, s90, v42
	v_and_b32_e32 v52, v52, v83
	v_and_b32_e32 v83, v53, v84
	v_cndmask_b32_e64 v53, 0, 1, s[70:71]
	v_cmp_ne_u32_e64 s[90:91], 0, v53
	v_xor_b32_e32 v53, s91, v43
	v_xor_b32_e32 v84, s90, v44
	; wave barrier
	ds_read_b32 v82, v77 offset:32
	v_and_b32_e32 v53, v52, v53
	v_and_b32_e32 v52, v83, v84
	v_mbcnt_lo_u32_b32 v83, v52, 0
	v_mbcnt_hi_u32_b32 v83, v53, v83
	v_cmp_eq_u32_e64 s[90:91], 0, v83
	v_cmp_ne_u64_e64 s[92:93], 0, v[52:53]
	s_and_b64 s[92:93], s[92:93], s[90:91]
	; wave barrier
	s_and_saveexec_b64 s[90:91], s[92:93]
	s_cbranch_execz .LBB80_22
; %bb.21:                               ;   in Loop: Header=BB80_2 Depth=1
	v_bcnt_u32_b32 v52, v52, 0
	v_bcnt_u32_b32 v52, v53, v52
	s_waitcnt lgkmcnt(0)
	v_add_u32_e32 v52, v82, v52
	ds_write_b32 v77, v52 offset:32
.LBB80_22:                              ;   in Loop: Header=BB80_2 Depth=1
	;; [unrolled: 42-line block ×3, first 2 shown]
	s_or_b64 exec, exec, s[90:91]
	; wave barrier
	s_waitcnt lgkmcnt(0)
	s_barrier
	ds_read_b32 v52, v2 offset:32
	s_waitcnt lgkmcnt(0)
	s_nop 0
	v_mov_b32_dpp v53, v52 row_shr:1 row_mask:0xf bank_mask:0xf
	v_cndmask_b32_e64 v53, v53, 0, s[2:3]
	v_add_u32_e32 v52, v53, v52
	s_nop 1
	v_mov_b32_dpp v53, v52 row_shr:2 row_mask:0xf bank_mask:0xf
	v_cndmask_b32_e64 v53, 0, v53, s[4:5]
	v_add_u32_e32 v52, v52, v53
	;; [unrolled: 4-line block ×4, first 2 shown]
	s_nop 1
	v_mov_b32_dpp v53, v52 row_bcast:15 row_mask:0xf bank_mask:0xf
	v_cndmask_b32_e64 v53, v53, 0, s[10:11]
	v_add_u32_e32 v52, v52, v53
	s_nop 1
	v_mov_b32_dpp v53, v52 row_bcast:31 row_mask:0xf bank_mask:0xf
	v_cndmask_b32_e64 v53, 0, v53, s[78:79]
	v_add_u32_e32 v52, v52, v53
	s_and_saveexec_b64 s[90:91], s[12:13]
	s_cbranch_execz .LBB80_26
; %bb.25:                               ;   in Loop: Header=BB80_2 Depth=1
	ds_write_b32 v51, v52
.LBB80_26:                              ;   in Loop: Header=BB80_2 Depth=1
	s_or_b64 exec, exec, s[90:91]
	s_waitcnt lgkmcnt(0)
	s_barrier
	s_and_saveexec_b64 s[90:91], vcc
	s_cbranch_execz .LBB80_28
; %bb.27:                               ;   in Loop: Header=BB80_2 Depth=1
	ds_read_b32 v53, v2
	s_waitcnt lgkmcnt(0)
	s_nop 0
	v_mov_b32_dpp v86, v53 row_shr:1 row_mask:0xf bank_mask:0xf
	v_cndmask_b32_e64 v86, v86, 0, s[82:83]
	v_add_u32_e32 v53, v86, v53
	s_nop 1
	v_mov_b32_dpp v86, v53 row_shr:2 row_mask:0xf bank_mask:0xf
	v_cndmask_b32_e64 v86, 0, v86, s[84:85]
	v_add_u32_e32 v53, v53, v86
	;; [unrolled: 4-line block ×3, first 2 shown]
	ds_write_b32 v2, v53
.LBB80_28:                              ;   in Loop: Header=BB80_2 Depth=1
	s_or_b64 exec, exec, s[90:91]
	v_mov_b32_e32 v53, 0
	s_waitcnt lgkmcnt(0)
	s_barrier
	s_and_saveexec_b64 s[90:91], s[0:1]
	s_cbranch_execz .LBB80_1
; %bb.29:                               ;   in Loop: Header=BB80_2 Depth=1
	ds_read_b32 v53, v54
	s_branch .LBB80_1
.LBB80_30:
	ds_read_b32 v3, v78 offset:32
	ds_read_b32 v4, v77 offset:32
	;; [unrolled: 1-line block ×4, first 2 shown]
	v_readlane_b32 s4, v87, 0
	v_readlane_b32 s6, v87, 2
	;; [unrolled: 1-line block ×3, first 2 shown]
	s_lshl_b64 s[0:1], s[94:95], 2
	s_mov_b64 s[2:3], s[6:7]
	s_add_u32 s0, s2, s0
	s_addc_u32 s1, s3, s1
	v_lshlrev_b32_e32 v6, 2, v2
	s_waitcnt lgkmcnt(1)
	v_add3_u32 v1, v81, v80, v1
	s_waitcnt lgkmcnt(0)
	v_add_u32_e32 v0, v5, v0
	v_add3_u32 v3, v85, v84, v3
	v_add3_u32 v2, v83, v82, v4
	v_readlane_b32 s5, v87, 1
	global_store_dwordx4 v6, v[0:3], s[0:1]
	s_endpgm
	.section	.rodata,"a",@progbits
	.p2align	6, 0x0
	.amdhsa_kernel _Z11rank_kernelIhLj4ELb0EL18RadixRankAlgorithm2ELj512ELj4ELj10EEvPKT_Pi
		.amdhsa_group_segment_fixed_size 2080
		.amdhsa_private_segment_fixed_size 0
		.amdhsa_kernarg_size 272
		.amdhsa_user_sgpr_count 6
		.amdhsa_user_sgpr_private_segment_buffer 1
		.amdhsa_user_sgpr_dispatch_ptr 0
		.amdhsa_user_sgpr_queue_ptr 0
		.amdhsa_user_sgpr_kernarg_segment_ptr 1
		.amdhsa_user_sgpr_dispatch_id 0
		.amdhsa_user_sgpr_flat_scratch_init 0
		.amdhsa_user_sgpr_kernarg_preload_length 0
		.amdhsa_user_sgpr_kernarg_preload_offset 0
		.amdhsa_user_sgpr_private_segment_size 0
		.amdhsa_uses_dynamic_stack 0
		.amdhsa_system_sgpr_private_segment_wavefront_offset 0
		.amdhsa_system_sgpr_workgroup_id_x 1
		.amdhsa_system_sgpr_workgroup_id_y 0
		.amdhsa_system_sgpr_workgroup_id_z 0
		.amdhsa_system_sgpr_workgroup_info 0
		.amdhsa_system_vgpr_workitem_id 2
		.amdhsa_next_free_vgpr 88
		.amdhsa_next_free_sgpr 96
		.amdhsa_accum_offset 88
		.amdhsa_reserve_vcc 1
		.amdhsa_reserve_flat_scratch 0
		.amdhsa_float_round_mode_32 0
		.amdhsa_float_round_mode_16_64 0
		.amdhsa_float_denorm_mode_32 3
		.amdhsa_float_denorm_mode_16_64 3
		.amdhsa_dx10_clamp 1
		.amdhsa_ieee_mode 1
		.amdhsa_fp16_overflow 0
		.amdhsa_tg_split 0
		.amdhsa_exception_fp_ieee_invalid_op 0
		.amdhsa_exception_fp_denorm_src 0
		.amdhsa_exception_fp_ieee_div_zero 0
		.amdhsa_exception_fp_ieee_overflow 0
		.amdhsa_exception_fp_ieee_underflow 0
		.amdhsa_exception_fp_ieee_inexact 0
		.amdhsa_exception_int_div_zero 0
	.end_amdhsa_kernel
	.section	.text._Z11rank_kernelIhLj4ELb0EL18RadixRankAlgorithm2ELj512ELj4ELj10EEvPKT_Pi,"axG",@progbits,_Z11rank_kernelIhLj4ELb0EL18RadixRankAlgorithm2ELj512ELj4ELj10EEvPKT_Pi,comdat
.Lfunc_end80:
	.size	_Z11rank_kernelIhLj4ELb0EL18RadixRankAlgorithm2ELj512ELj4ELj10EEvPKT_Pi, .Lfunc_end80-_Z11rank_kernelIhLj4ELb0EL18RadixRankAlgorithm2ELj512ELj4ELj10EEvPKT_Pi
                                        ; -- End function
	.section	.AMDGPU.csdata,"",@progbits
; Kernel info:
; codeLenInByte = 4036
; NumSgprs: 100
; NumVgprs: 88
; NumAgprs: 0
; TotalNumVgprs: 88
; ScratchSize: 0
; MemoryBound: 0
; FloatMode: 240
; IeeeMode: 1
; LDSByteSize: 2080 bytes/workgroup (compile time only)
; SGPRBlocks: 12
; VGPRBlocks: 10
; NumSGPRsForWavesPerEU: 100
; NumVGPRsForWavesPerEU: 88
; AccumOffset: 88
; Occupancy: 5
; WaveLimiterHint : 0
; COMPUTE_PGM_RSRC2:SCRATCH_EN: 0
; COMPUTE_PGM_RSRC2:USER_SGPR: 6
; COMPUTE_PGM_RSRC2:TRAP_HANDLER: 0
; COMPUTE_PGM_RSRC2:TGID_X_EN: 1
; COMPUTE_PGM_RSRC2:TGID_Y_EN: 0
; COMPUTE_PGM_RSRC2:TGID_Z_EN: 0
; COMPUTE_PGM_RSRC2:TIDIG_COMP_CNT: 2
; COMPUTE_PGM_RSRC3_GFX90A:ACCUM_OFFSET: 21
; COMPUTE_PGM_RSRC3_GFX90A:TG_SPLIT: 0
	.section	.text._Z11rank_kernelIhLj4ELb0EL18RadixRankAlgorithm0ELj512ELj8ELj10EEvPKT_Pi,"axG",@progbits,_Z11rank_kernelIhLj4ELb0EL18RadixRankAlgorithm0ELj512ELj8ELj10EEvPKT_Pi,comdat
	.protected	_Z11rank_kernelIhLj4ELb0EL18RadixRankAlgorithm0ELj512ELj8ELj10EEvPKT_Pi ; -- Begin function _Z11rank_kernelIhLj4ELb0EL18RadixRankAlgorithm0ELj512ELj8ELj10EEvPKT_Pi
	.globl	_Z11rank_kernelIhLj4ELb0EL18RadixRankAlgorithm0ELj512ELj8ELj10EEvPKT_Pi
	.p2align	8
	.type	_Z11rank_kernelIhLj4ELb0EL18RadixRankAlgorithm0ELj512ELj8ELj10EEvPKT_Pi,@function
_Z11rank_kernelIhLj4ELb0EL18RadixRankAlgorithm0ELj512ELj8ELj10EEvPKT_Pi: ; @_Z11rank_kernelIhLj4ELb0EL18RadixRankAlgorithm0ELj512ELj8ELj10EEvPKT_Pi
; %bb.0:
	s_load_dwordx4 s[24:27], s[4:5], 0x0
	s_lshl_b32 s28, s6, 12
	v_lshlrev_b32_e32 v2, 3, v0
	v_mbcnt_lo_u32_b32 v4, -1, 0
	v_mbcnt_hi_u32_b32 v6, -1, v4
	s_waitcnt lgkmcnt(0)
	s_add_u32 s0, s24, s28
	s_addc_u32 s1, s25, 0
	global_load_dwordx2 v[22:23], v2, s[0:1]
	v_or_b32_e32 v5, 63, v0
	v_lshrrev_b32_e32 v7, 4, v0
	v_add_u32_e32 v10, -1, v6
	v_and_b32_e32 v11, 64, v6
	v_and_b32_e32 v8, 15, v6
	;; [unrolled: 1-line block ×3, first 2 shown]
	v_cmp_eq_u32_e64 s[4:5], v5, v0
	v_and_b32_e32 v5, 28, v7
	v_and_b32_e32 v7, 7, v6
	v_cmp_lt_i32_e64 s[18:19], v10, v11
	s_movk_i32 s24, 0xe00
	v_cmp_lt_u32_e64 s[2:3], 31, v6
	v_cmp_eq_u32_e64 s[6:7], 0, v6
	v_cmp_eq_u32_e64 s[8:9], 0, v8
	v_cmp_lt_u32_e64 s[10:11], 1, v8
	v_cmp_lt_u32_e64 s[12:13], 3, v8
	;; [unrolled: 1-line block ×3, first 2 shown]
	v_cmp_eq_u32_e64 s[16:17], 0, v9
	v_cndmask_b32_e64 v6, v10, v6, s[18:19]
	v_cmp_eq_u32_e64 s[18:19], 0, v7
	v_cmp_lt_u32_e64 s[20:21], 1, v7
	v_cmp_lt_u32_e64 s[22:23], 3, v7
	v_lshlrev_b32_e32 v3, 5, v0
	v_cmp_gt_u32_e32 vcc, 8, v0
	v_cmp_lt_u32_e64 s[0:1], 63, v0
	v_lshlrev_b32_e32 v4, 2, v0
	s_mov_b32 s29, 0
	v_mov_b32_e32 v1, 0
	s_mov_b32 s33, 10
	v_lshlrev_b32_e32 v6, 2, v6
	s_waitcnt vmcnt(0)
	v_lshlrev_b32_e32 v7, 5, v22
	v_lshrrev_b32_e32 v8, 6, v22
	v_lshlrev_b32_e32 v9, 9, v22
	v_lshrrev_b32_e32 v10, 2, v22
	;; [unrolled: 2-line block ×3, first 2 shown]
	v_lshrrev_b32_e32 v13, 7, v22
	v_lshrrev_b32_e32 v14, 18, v22
	;; [unrolled: 1-line block ×4, first 2 shown]
	v_lshlrev_b32_e32 v17, 9, v23
	v_lshrrev_b32_e32 v18, 2, v23
	v_and_or_b32 v7, v7, s24, v0
	v_and_b32_e32 v8, 2, v8
	v_and_or_b32 v9, v9, s24, v0
	v_and_b32_e32 v10, 2, v10
	;; [unrolled: 2-line block ×6, first 2 shown]
	v_lshl_or_b32 v7, v7, 2, v8
	v_lshl_or_b32 v8, v9, 2, v10
	;; [unrolled: 1-line block ×6, first 2 shown]
	v_lshrrev_b32_e32 v16, 11, v22
	v_lshrrev_b32_e32 v18, 22, v22
	v_and_or_b32 v16, v16, s24, v0
	v_and_b32_e32 v18, 2, v18
	v_lshl_or_b32 v16, v16, 2, v18
	v_lshrrev_b32_e32 v18, 19, v22
	v_lshlrev_b32_e32 v19, 1, v23
	v_lshrrev_b32_e32 v20, 10, v23
	v_and_or_b32 v18, v18, s24, v0
	v_and_or_b32 v19, v19, s24, v0
	v_and_b32_e32 v20, 2, v20
	v_alignbit_b32 v18, v18, v22, 30
	v_lshrrev_b32_e32 v21, 7, v23
	v_lshrrev_b32_e32 v24, 18, v23
	v_lshl_or_b32 v14, v19, 2, v20
	v_and_b32_e32 v19, 0x3ffe, v18
	v_lshlrev_b32_e32 v18, 5, v23
	v_lshrrev_b32_e32 v20, 6, v23
	v_and_or_b32 v21, v21, s24, v0
	v_and_b32_e32 v24, 2, v24
	v_and_or_b32 v18, v18, s24, v0
	v_and_b32_e32 v20, 2, v20
	v_lshl_or_b32 v15, v21, 2, v24
	v_lshl_or_b32 v18, v18, 2, v20
	v_lshrrev_b32_e32 v20, 3, v23
	v_lshrrev_b32_e32 v21, 14, v23
	v_and_or_b32 v20, v20, s24, v0
	v_and_b32_e32 v21, 2, v21
	v_lshrrev_b32_e32 v27, 3, v22
	v_lshrrev_b32_e32 v28, 14, v22
	v_lshl_or_b32 v20, v20, 2, v21
	v_lshrrev_b32_e32 v21, 11, v23
	v_lshrrev_b32_e32 v22, 22, v23
	v_and_or_b32 v21, v21, s24, v0
	v_and_b32_e32 v22, 2, v22
	v_lshrrev_b32_e32 v25, 15, v23
	v_lshl_or_b32 v21, v21, 2, v22
	v_lshrrev_b32_e32 v22, 19, v23
	v_lshrrev_b32_e32 v26, 26, v23
	v_and_or_b32 v25, v25, s24, v0
	v_and_or_b32 v27, v27, s24, v0
	;; [unrolled: 1-line block ×3, first 2 shown]
	v_and_b32_e32 v26, 2, v26
	v_and_b32_e32 v28, 2, v28
	v_alignbit_b32 v0, v0, v23, 30
	v_lshl_or_b32 v17, v25, 2, v26
	v_lshl_or_b32 v9, v27, 2, v28
	v_and_b32_e32 v0, 0x3ffe, v0
	v_or_b32_e32 v22, 0x800, v4
	v_or_b32_e32 v23, 0x1000, v4
	;; [unrolled: 1-line block ×7, first 2 shown]
	s_mov_b64 s[24:25], -1
	s_branch .LBB81_2
.LBB81_1:                               ;   in Loop: Header=BB81_2 Depth=1
	s_or_b64 exec, exec, s[30:31]
	s_waitcnt lgkmcnt(0)
	v_add_u32_e32 v37, v38, v37
	ds_bpermute_b32 v37, v6, v37
	ds_read_b32 v40, v1 offset:16412
	s_add_i32 s33, s33, -1
	s_cmp_eq_u32 s33, 0
	s_waitcnt lgkmcnt(1)
	v_cndmask_b32_e64 v37, v37, v38, s[6:7]
	ds_read2_b32 v[38:39], v3 offset1:1
	s_waitcnt lgkmcnt(1)
	v_lshl_add_u32 v37, v40, 16, v37
	ds_read2_b32 v[40:41], v3 offset0:2 offset1:3
	ds_read2_b32 v[42:43], v3 offset0:4 offset1:5
	ds_read_b32 v44, v3 offset:24
	s_waitcnt lgkmcnt(3)
	v_add_u32_e32 v38, v37, v38
	ds_write2_b32 v3, v37, v38 offset1:1
	v_add_u32_e32 v37, v39, v38
	s_waitcnt lgkmcnt(3)
	v_add_u32_e32 v38, v40, v37
	ds_write2_b32 v3, v37, v38 offset0:2 offset1:3
	v_add_u32_e32 v37, v41, v38
	s_waitcnt lgkmcnt(3)
	v_add_u32_e32 v38, v42, v37
	ds_write2_b32 v3, v37, v38 offset0:4 offset1:5
	v_add_u32_e32 v37, v43, v38
	s_waitcnt lgkmcnt(3)
	v_add_u32_e32 v38, v44, v37
	ds_write2_b32 v3, v37, v38 offset0:6 offset1:7
	s_waitcnt lgkmcnt(0)
	s_barrier
	s_cbranch_scc1 .LBB81_30
.LBB81_2:                               ; =>This Inner Loop Header: Depth=1
	ds_write_b32 v4, v1
	ds_write_b32 v22, v1
	;; [unrolled: 1-line block ×4, first 2 shown]
	s_and_saveexec_b64 s[30:31], s[24:25]
	s_cbranch_execnz .LBB81_24
; %bb.3:                                ;   in Loop: Header=BB81_2 Depth=1
	s_or_b64 exec, exec, s[30:31]
	s_and_saveexec_b64 s[30:31], s[24:25]
	s_cbranch_execnz .LBB81_25
.LBB81_4:                               ;   in Loop: Header=BB81_2 Depth=1
	s_or_b64 exec, exec, s[30:31]
	s_and_saveexec_b64 s[30:31], s[24:25]
	s_cbranch_execnz .LBB81_26
.LBB81_5:                               ;   in Loop: Header=BB81_2 Depth=1
	s_or_b64 exec, exec, s[30:31]
	s_and_saveexec_b64 s[30:31], s[24:25]
	s_cbranch_execz .LBB81_7
.LBB81_6:                               ;   in Loop: Header=BB81_2 Depth=1
	ds_write_b32 v28, v1
.LBB81_7:                               ;   in Loop: Header=BB81_2 Depth=1
	s_or_b64 exec, exec, s[30:31]
	ds_read_u16 v29, v8
	s_waitcnt lgkmcnt(0)
	v_add_u16_e32 v29, 1, v29
	ds_write_b16 v8, v29
	ds_read_u16 v29, v10
	s_waitcnt lgkmcnt(0)
	v_add_u16_e32 v29, 1, v29
	ds_write_b16 v10, v29
	;; [unrolled: 4-line block ×8, first 2 shown]
	s_waitcnt lgkmcnt(0)
	s_barrier
	ds_read2_b32 v[30:31], v3 offset1:1
	ds_read2_b32 v[32:33], v3 offset0:2 offset1:3
	ds_read2_b32 v[34:35], v3 offset0:4 offset1:5
	;; [unrolled: 1-line block ×3, first 2 shown]
	s_waitcnt lgkmcnt(3)
	v_add_u32_e32 v29, v31, v30
	s_waitcnt lgkmcnt(2)
	v_add3_u32 v29, v29, v32, v33
	s_waitcnt lgkmcnt(1)
	v_add3_u32 v29, v29, v34, v35
	;; [unrolled: 2-line block ×3, first 2 shown]
	s_nop 1
	v_mov_b32_dpp v30, v29 row_shr:1 row_mask:0xf bank_mask:0xf
	v_cndmask_b32_e64 v30, v30, 0, s[8:9]
	v_add_u32_e32 v29, v30, v29
	s_nop 1
	v_mov_b32_dpp v30, v29 row_shr:2 row_mask:0xf bank_mask:0xf
	v_cndmask_b32_e64 v30, 0, v30, s[10:11]
	v_add_u32_e32 v29, v29, v30
	;; [unrolled: 4-line block ×4, first 2 shown]
	s_nop 1
	v_mov_b32_dpp v30, v29 row_bcast:15 row_mask:0xf bank_mask:0xf
	v_cndmask_b32_e64 v30, v30, 0, s[16:17]
	v_add_u32_e32 v29, v29, v30
	s_nop 1
	v_mov_b32_dpp v30, v29 row_bcast:31 row_mask:0xf bank_mask:0xf
	v_cndmask_b32_e64 v30, 0, v30, s[2:3]
	v_add_u32_e32 v29, v29, v30
	s_and_saveexec_b64 s[30:31], s[4:5]
	s_cbranch_execz .LBB81_9
; %bb.8:                                ;   in Loop: Header=BB81_2 Depth=1
	ds_write_b32 v5, v29 offset:16384
.LBB81_9:                               ;   in Loop: Header=BB81_2 Depth=1
	s_or_b64 exec, exec, s[30:31]
	s_waitcnt lgkmcnt(0)
	s_barrier
	s_and_saveexec_b64 s[30:31], vcc
	s_cbranch_execz .LBB81_11
; %bb.10:                               ;   in Loop: Header=BB81_2 Depth=1
	ds_read_b32 v30, v4 offset:16384
	s_waitcnt lgkmcnt(0)
	s_nop 0
	v_mov_b32_dpp v31, v30 row_shr:1 row_mask:0xf bank_mask:0xf
	v_cndmask_b32_e64 v31, v31, 0, s[18:19]
	v_add_u32_e32 v30, v31, v30
	s_nop 1
	v_mov_b32_dpp v31, v30 row_shr:2 row_mask:0xf bank_mask:0xf
	v_cndmask_b32_e64 v31, 0, v31, s[20:21]
	v_add_u32_e32 v30, v30, v31
	;; [unrolled: 4-line block ×3, first 2 shown]
	ds_write_b32 v4, v30 offset:16384
.LBB81_11:                              ;   in Loop: Header=BB81_2 Depth=1
	s_or_b64 exec, exec, s[30:31]
	v_mov_b32_e32 v30, 0
	s_waitcnt lgkmcnt(0)
	s_barrier
	s_and_saveexec_b64 s[30:31], s[0:1]
	s_cbranch_execz .LBB81_13
; %bb.12:                               ;   in Loop: Header=BB81_2 Depth=1
	ds_read_b32 v30, v5 offset:16380
.LBB81_13:                              ;   in Loop: Header=BB81_2 Depth=1
	s_or_b64 exec, exec, s[30:31]
	s_waitcnt lgkmcnt(0)
	v_add_u32_e32 v29, v30, v29
	ds_bpermute_b32 v29, v6, v29
	ds_read_b32 v32, v1 offset:16412
	s_waitcnt lgkmcnt(1)
	v_cndmask_b32_e64 v29, v29, v30, s[6:7]
	ds_read2_b32 v[30:31], v3 offset1:1
	s_waitcnt lgkmcnt(1)
	v_lshl_add_u32 v29, v32, 16, v29
	ds_read2_b32 v[32:33], v3 offset0:2 offset1:3
	ds_read2_b32 v[34:35], v3 offset0:4 offset1:5
	ds_read_b32 v36, v3 offset:24
	s_waitcnt lgkmcnt(3)
	v_add_u32_e32 v30, v29, v30
	ds_write2_b32 v3, v29, v30 offset1:1
	v_add_u32_e32 v29, v31, v30
	s_waitcnt lgkmcnt(3)
	v_add_u32_e32 v30, v32, v29
	ds_write2_b32 v3, v29, v30 offset0:2 offset1:3
	v_add_u32_e32 v29, v33, v30
	s_waitcnt lgkmcnt(3)
	v_add_u32_e32 v30, v34, v29
	ds_write2_b32 v3, v29, v30 offset0:4 offset1:5
	;; [unrolled: 4-line block ×3, first 2 shown]
	s_waitcnt lgkmcnt(0)
	s_barrier
	ds_write_b32 v4, v1
	ds_write_b32 v22, v1
	;; [unrolled: 1-line block ×4, first 2 shown]
	s_and_saveexec_b64 s[30:31], s[24:25]
	s_cbranch_execnz .LBB81_27
; %bb.14:                               ;   in Loop: Header=BB81_2 Depth=1
	s_or_b64 exec, exec, s[30:31]
	s_and_saveexec_b64 s[30:31], s[24:25]
	s_cbranch_execnz .LBB81_28
.LBB81_15:                              ;   in Loop: Header=BB81_2 Depth=1
	s_or_b64 exec, exec, s[30:31]
	s_and_saveexec_b64 s[30:31], s[24:25]
	s_cbranch_execnz .LBB81_29
.LBB81_16:                              ;   in Loop: Header=BB81_2 Depth=1
	s_or_b64 exec, exec, s[30:31]
	s_and_saveexec_b64 s[30:31], s[24:25]
	s_cbranch_execz .LBB81_18
.LBB81_17:                              ;   in Loop: Header=BB81_2 Depth=1
	ds_write_b32 v28, v1
.LBB81_18:                              ;   in Loop: Header=BB81_2 Depth=1
	s_or_b64 exec, exec, s[30:31]
	ds_read_u16 v29, v7
	s_waitcnt lgkmcnt(0)
	v_add_u16_e32 v30, 1, v29
	ds_write_b16 v7, v30
	ds_read_u16 v30, v9
	s_waitcnt lgkmcnt(0)
	v_add_u16_e32 v31, 1, v30
	ds_write_b16 v9, v31
	;; [unrolled: 4-line block ×8, first 2 shown]
	s_waitcnt lgkmcnt(0)
	s_barrier
	ds_read2_b32 v[38:39], v3 offset1:1
	ds_read2_b32 v[40:41], v3 offset0:2 offset1:3
	ds_read2_b32 v[42:43], v3 offset0:4 offset1:5
	;; [unrolled: 1-line block ×3, first 2 shown]
	s_waitcnt lgkmcnt(3)
	v_add_u32_e32 v37, v39, v38
	s_waitcnt lgkmcnt(2)
	v_add3_u32 v37, v37, v40, v41
	s_waitcnt lgkmcnt(1)
	v_add3_u32 v37, v37, v42, v43
	s_waitcnt lgkmcnt(0)
	v_add3_u32 v37, v37, v44, v45
	s_nop 1
	v_mov_b32_dpp v38, v37 row_shr:1 row_mask:0xf bank_mask:0xf
	v_cndmask_b32_e64 v38, v38, 0, s[8:9]
	v_add_u32_e32 v37, v38, v37
	s_nop 1
	v_mov_b32_dpp v38, v37 row_shr:2 row_mask:0xf bank_mask:0xf
	v_cndmask_b32_e64 v38, 0, v38, s[10:11]
	v_add_u32_e32 v37, v37, v38
	;; [unrolled: 4-line block ×4, first 2 shown]
	s_nop 1
	v_mov_b32_dpp v38, v37 row_bcast:15 row_mask:0xf bank_mask:0xf
	v_cndmask_b32_e64 v38, v38, 0, s[16:17]
	v_add_u32_e32 v37, v37, v38
	s_nop 1
	v_mov_b32_dpp v38, v37 row_bcast:31 row_mask:0xf bank_mask:0xf
	v_cndmask_b32_e64 v38, 0, v38, s[2:3]
	v_add_u32_e32 v37, v37, v38
	s_and_saveexec_b64 s[30:31], s[4:5]
	s_cbranch_execz .LBB81_20
; %bb.19:                               ;   in Loop: Header=BB81_2 Depth=1
	ds_write_b32 v5, v37 offset:16384
.LBB81_20:                              ;   in Loop: Header=BB81_2 Depth=1
	s_or_b64 exec, exec, s[30:31]
	s_waitcnt lgkmcnt(0)
	s_barrier
	s_and_saveexec_b64 s[30:31], vcc
	s_cbranch_execz .LBB81_22
; %bb.21:                               ;   in Loop: Header=BB81_2 Depth=1
	ds_read_b32 v38, v4 offset:16384
	s_waitcnt lgkmcnt(0)
	s_nop 0
	v_mov_b32_dpp v39, v38 row_shr:1 row_mask:0xf bank_mask:0xf
	v_cndmask_b32_e64 v39, v39, 0, s[18:19]
	v_add_u32_e32 v38, v39, v38
	s_nop 1
	v_mov_b32_dpp v39, v38 row_shr:2 row_mask:0xf bank_mask:0xf
	v_cndmask_b32_e64 v39, 0, v39, s[20:21]
	v_add_u32_e32 v38, v38, v39
	;; [unrolled: 4-line block ×3, first 2 shown]
	ds_write_b32 v4, v38 offset:16384
.LBB81_22:                              ;   in Loop: Header=BB81_2 Depth=1
	s_or_b64 exec, exec, s[30:31]
	v_mov_b32_e32 v38, 0
	s_waitcnt lgkmcnt(0)
	s_barrier
	s_and_saveexec_b64 s[30:31], s[0:1]
	s_cbranch_execz .LBB81_1
; %bb.23:                               ;   in Loop: Header=BB81_2 Depth=1
	ds_read_b32 v38, v5 offset:16380
	s_branch .LBB81_1
.LBB81_24:                              ;   in Loop: Header=BB81_2 Depth=1
	ds_write_b32 v25, v1
	s_or_b64 exec, exec, s[30:31]
	s_and_saveexec_b64 s[30:31], s[24:25]
	s_cbranch_execz .LBB81_4
.LBB81_25:                              ;   in Loop: Header=BB81_2 Depth=1
	ds_write_b32 v26, v1
	s_or_b64 exec, exec, s[30:31]
	s_and_saveexec_b64 s[30:31], s[24:25]
	s_cbranch_execz .LBB81_5
.LBB81_26:                              ;   in Loop: Header=BB81_2 Depth=1
	ds_write_b32 v27, v1
	s_or_b64 exec, exec, s[30:31]
	s_and_saveexec_b64 s[30:31], s[24:25]
	s_cbranch_execnz .LBB81_6
	s_branch .LBB81_7
.LBB81_27:                              ;   in Loop: Header=BB81_2 Depth=1
	ds_write_b32 v25, v1
	s_or_b64 exec, exec, s[30:31]
	s_and_saveexec_b64 s[30:31], s[24:25]
	s_cbranch_execz .LBB81_15
.LBB81_28:                              ;   in Loop: Header=BB81_2 Depth=1
	ds_write_b32 v26, v1
	s_or_b64 exec, exec, s[30:31]
	s_and_saveexec_b64 s[30:31], s[24:25]
	s_cbranch_execz .LBB81_16
.LBB81_29:                              ;   in Loop: Header=BB81_2 Depth=1
	ds_write_b32 v27, v1
	s_or_b64 exec, exec, s[30:31]
	s_and_saveexec_b64 s[30:31], s[24:25]
	s_cbranch_execnz .LBB81_17
	s_branch .LBB81_18
.LBB81_30:
	ds_read_u16 v1, v19
	ds_read_u16 v3, v16
	;; [unrolled: 1-line block ×8, first 2 shown]
	s_lshl_b64 s[0:1], s[28:29], 2
	s_add_u32 s0, s26, s0
	s_waitcnt lgkmcnt(4)
	v_add_u32_sdwa v4, v4, v29 dst_sel:DWORD dst_unused:UNUSED_PAD src0_sel:DWORD src1_sel:WORD_0
	v_add_u32_sdwa v5, v5, v30 dst_sel:DWORD dst_unused:UNUSED_PAD src0_sel:DWORD src1_sel:WORD_0
	;; [unrolled: 1-line block ×4, first 2 shown]
	s_waitcnt lgkmcnt(3)
	v_add_u32_sdwa v11, v0, v36 dst_sel:DWORD dst_unused:UNUSED_PAD src0_sel:DWORD src1_sel:WORD_0
	s_addc_u32 s1, s27, s1
	v_lshlrev_b32_e32 v0, 2, v2
	s_waitcnt lgkmcnt(0)
	v_add_u32_sdwa v8, v8, v33 dst_sel:DWORD dst_unused:UNUSED_PAD src0_sel:DWORD src1_sel:WORD_0
	v_add_u32_sdwa v9, v9, v34 dst_sel:DWORD dst_unused:UNUSED_PAD src0_sel:DWORD src1_sel:WORD_0
	;; [unrolled: 1-line block ×3, first 2 shown]
	global_store_dwordx4 v0, v[4:7], s[0:1]
	global_store_dwordx4 v0, v[8:11], s[0:1] offset:16
	s_endpgm
	.section	.rodata,"a",@progbits
	.p2align	6, 0x0
	.amdhsa_kernel _Z11rank_kernelIhLj4ELb0EL18RadixRankAlgorithm0ELj512ELj8ELj10EEvPKT_Pi
		.amdhsa_group_segment_fixed_size 16416
		.amdhsa_private_segment_fixed_size 0
		.amdhsa_kernarg_size 16
		.amdhsa_user_sgpr_count 6
		.amdhsa_user_sgpr_private_segment_buffer 1
		.amdhsa_user_sgpr_dispatch_ptr 0
		.amdhsa_user_sgpr_queue_ptr 0
		.amdhsa_user_sgpr_kernarg_segment_ptr 1
		.amdhsa_user_sgpr_dispatch_id 0
		.amdhsa_user_sgpr_flat_scratch_init 0
		.amdhsa_user_sgpr_kernarg_preload_length 0
		.amdhsa_user_sgpr_kernarg_preload_offset 0
		.amdhsa_user_sgpr_private_segment_size 0
		.amdhsa_uses_dynamic_stack 0
		.amdhsa_system_sgpr_private_segment_wavefront_offset 0
		.amdhsa_system_sgpr_workgroup_id_x 1
		.amdhsa_system_sgpr_workgroup_id_y 0
		.amdhsa_system_sgpr_workgroup_id_z 0
		.amdhsa_system_sgpr_workgroup_info 0
		.amdhsa_system_vgpr_workitem_id 0
		.amdhsa_next_free_vgpr 46
		.amdhsa_next_free_sgpr 34
		.amdhsa_accum_offset 48
		.amdhsa_reserve_vcc 1
		.amdhsa_reserve_flat_scratch 0
		.amdhsa_float_round_mode_32 0
		.amdhsa_float_round_mode_16_64 0
		.amdhsa_float_denorm_mode_32 3
		.amdhsa_float_denorm_mode_16_64 3
		.amdhsa_dx10_clamp 1
		.amdhsa_ieee_mode 1
		.amdhsa_fp16_overflow 0
		.amdhsa_tg_split 0
		.amdhsa_exception_fp_ieee_invalid_op 0
		.amdhsa_exception_fp_denorm_src 0
		.amdhsa_exception_fp_ieee_div_zero 0
		.amdhsa_exception_fp_ieee_overflow 0
		.amdhsa_exception_fp_ieee_underflow 0
		.amdhsa_exception_fp_ieee_inexact 0
		.amdhsa_exception_int_div_zero 0
	.end_amdhsa_kernel
	.section	.text._Z11rank_kernelIhLj4ELb0EL18RadixRankAlgorithm0ELj512ELj8ELj10EEvPKT_Pi,"axG",@progbits,_Z11rank_kernelIhLj4ELb0EL18RadixRankAlgorithm0ELj512ELj8ELj10EEvPKT_Pi,comdat
.Lfunc_end81:
	.size	_Z11rank_kernelIhLj4ELb0EL18RadixRankAlgorithm0ELj512ELj8ELj10EEvPKT_Pi, .Lfunc_end81-_Z11rank_kernelIhLj4ELb0EL18RadixRankAlgorithm0ELj512ELj8ELj10EEvPKT_Pi
                                        ; -- End function
	.section	.AMDGPU.csdata,"",@progbits
; Kernel info:
; codeLenInByte = 2736
; NumSgprs: 38
; NumVgprs: 46
; NumAgprs: 0
; TotalNumVgprs: 46
; ScratchSize: 0
; MemoryBound: 0
; FloatMode: 240
; IeeeMode: 1
; LDSByteSize: 16416 bytes/workgroup (compile time only)
; SGPRBlocks: 4
; VGPRBlocks: 5
; NumSGPRsForWavesPerEU: 38
; NumVGPRsForWavesPerEU: 46
; AccumOffset: 48
; Occupancy: 6
; WaveLimiterHint : 0
; COMPUTE_PGM_RSRC2:SCRATCH_EN: 0
; COMPUTE_PGM_RSRC2:USER_SGPR: 6
; COMPUTE_PGM_RSRC2:TRAP_HANDLER: 0
; COMPUTE_PGM_RSRC2:TGID_X_EN: 1
; COMPUTE_PGM_RSRC2:TGID_Y_EN: 0
; COMPUTE_PGM_RSRC2:TGID_Z_EN: 0
; COMPUTE_PGM_RSRC2:TIDIG_COMP_CNT: 0
; COMPUTE_PGM_RSRC3_GFX90A:ACCUM_OFFSET: 11
; COMPUTE_PGM_RSRC3_GFX90A:TG_SPLIT: 0
	.section	.text._Z11rank_kernelIhLj4ELb0EL18RadixRankAlgorithm1ELj512ELj8ELj10EEvPKT_Pi,"axG",@progbits,_Z11rank_kernelIhLj4ELb0EL18RadixRankAlgorithm1ELj512ELj8ELj10EEvPKT_Pi,comdat
	.protected	_Z11rank_kernelIhLj4ELb0EL18RadixRankAlgorithm1ELj512ELj8ELj10EEvPKT_Pi ; -- Begin function _Z11rank_kernelIhLj4ELb0EL18RadixRankAlgorithm1ELj512ELj8ELj10EEvPKT_Pi
	.globl	_Z11rank_kernelIhLj4ELb0EL18RadixRankAlgorithm1ELj512ELj8ELj10EEvPKT_Pi
	.p2align	8
	.type	_Z11rank_kernelIhLj4ELb0EL18RadixRankAlgorithm1ELj512ELj8ELj10EEvPKT_Pi,@function
_Z11rank_kernelIhLj4ELb0EL18RadixRankAlgorithm1ELj512ELj8ELj10EEvPKT_Pi: ; @_Z11rank_kernelIhLj4ELb0EL18RadixRankAlgorithm1ELj512ELj8ELj10EEvPKT_Pi
; %bb.0:
	s_load_dwordx4 s[24:27], s[4:5], 0x0
	s_lshl_b32 s28, s6, 12
	v_lshlrev_b32_e32 v2, 3, v0
	v_mbcnt_lo_u32_b32 v1, -1, 0
	v_mbcnt_hi_u32_b32 v1, -1, v1
	s_waitcnt lgkmcnt(0)
	s_add_u32 s0, s24, s28
	s_addc_u32 s1, s25, 0
	global_load_dwordx2 v[4:5], v2, s[0:1]
	v_or_b32_e32 v6, 63, v0
	v_cmp_eq_u32_e64 s[4:5], v6, v0
	v_add_u32_e32 v6, -1, v1
	v_and_b32_e32 v13, 64, v1
	v_lshrrev_b32_e32 v7, 4, v0
	v_cmp_lt_i32_e64 s[18:19], v6, v13
	v_and_b32_e32 v8, 15, v1
	v_and_b32_e32 v9, 16, v1
	v_cmp_lt_u32_e64 s[2:3], 31, v1
	v_cmp_eq_u32_e64 s[6:7], 0, v1
	v_and_b32_e32 v12, 28, v7
	v_and_b32_e32 v7, 7, v1
	v_cndmask_b32_e64 v1, v6, v1, s[18:19]
	s_movk_i32 s24, 0xe00
	v_lshlrev_b32_e32 v13, 2, v1
	v_cmp_eq_u32_e64 s[8:9], 0, v8
	v_cmp_lt_u32_e64 s[10:11], 1, v8
	v_cmp_lt_u32_e64 s[12:13], 3, v8
	v_cmp_lt_u32_e64 s[14:15], 7, v8
	v_cmp_eq_u32_e64 s[16:17], 0, v9
	v_cmp_eq_u32_e64 s[18:19], 0, v7
	v_cmp_lt_u32_e64 s[20:21], 1, v7
	v_cmp_lt_u32_e64 s[22:23], 3, v7
	v_lshlrev_b32_e32 v10, 5, v0
	v_cmp_gt_u32_e32 vcc, 8, v0
	v_cmp_lt_u32_e64 s[0:1], 63, v0
	v_lshlrev_b32_e32 v11, 2, v0
	s_mov_b32 s29, 0
	v_mov_b32_e32 v3, 0
	s_mov_b32 s33, 10
	v_or_b32_e32 v34, 0x2800, v11
	v_or_b32_e32 v35, 0x3000, v11
	;; [unrolled: 1-line block ×3, first 2 shown]
	s_waitcnt vmcnt(0)
	v_lshlrev_b32_e32 v1, 5, v4
	v_lshrrev_b32_e32 v6, 6, v4
	v_lshrrev_b32_e32 v14, 10, v4
	v_and_or_b32 v1, v1, s24, v0
	v_and_b32_e32 v6, 2, v6
	v_lshlrev_b32_e32 v21, 1, v5
	v_lshrrev_b32_e32 v22, 10, v5
	v_lshrrev_b32_e32 v23, 7, v5
	;; [unrolled: 1-line block ×3, first 2 shown]
	v_and_b32_e32 v29, 2, v14
	v_lshl_or_b32 v14, v1, 2, v6
	v_lshrrev_b32_e32 v1, 11, v4
	v_lshrrev_b32_e32 v6, 22, v4
	v_and_or_b32 v21, v21, s24, v0
	v_and_b32_e32 v22, 2, v22
	v_and_or_b32 v23, v23, s24, v0
	v_and_b32_e32 v24, 2, v24
	;; [unrolled: 2-line block ×3, first 2 shown]
	v_lshl_or_b32 v21, v21, 2, v22
	v_lshl_or_b32 v22, v23, 2, v24
	;; [unrolled: 1-line block ×3, first 2 shown]
	v_lshrrev_b32_e32 v1, 19, v4
	v_lshrrev_b32_e32 v25, 15, v5
	v_lshrrev_b32_e32 v26, 26, v5
	v_and_or_b32 v1, v1, s24, v0
	v_and_or_b32 v25, v25, s24, v0
	v_and_b32_e32 v26, 2, v26
	v_alignbit_b32 v1, v1, v4, 30
	v_lshlrev_b32_e32 v7, 9, v4
	v_lshrrev_b32_e32 v8, 2, v4
	v_lshlrev_b32_e32 v9, 1, v4
	v_lshrrev_b32_e32 v15, 7, v4
	v_lshrrev_b32_e32 v16, 18, v4
	;; [unrolled: 1-line block ×6, first 2 shown]
	v_lshl_or_b32 v24, v25, 2, v26
	v_and_b32_e32 v26, 0x3ffe, v1
	v_lshlrev_b32_e32 v1, 5, v5
	v_lshrrev_b32_e32 v4, 6, v5
	v_and_or_b32 v1, v1, s24, v0
	v_and_b32_e32 v4, 2, v4
	v_lshl_or_b32 v25, v1, 2, v4
	v_lshrrev_b32_e32 v1, 3, v5
	v_lshrrev_b32_e32 v4, 14, v5
	v_and_or_b32 v30, v15, s24, v0
	v_and_b32_e32 v16, 2, v16
	v_and_or_b32 v27, v27, s24, v0
	v_and_b32_e32 v28, 2, v28
	;; [unrolled: 2-line block ×3, first 2 shown]
	v_and_b32_e32 v32, 2, v18
	v_lshl_or_b32 v18, v30, 2, v16
	v_lshl_or_b32 v16, v27, 2, v28
	;; [unrolled: 1-line block ×3, first 2 shown]
	v_lshrrev_b32_e32 v1, 11, v5
	v_lshrrev_b32_e32 v4, 22, v5
	v_and_or_b32 v1, v1, s24, v0
	v_and_b32_e32 v4, 2, v4
	v_lshlrev_b32_e32 v19, 9, v5
	v_lshl_or_b32 v28, v1, 2, v4
	v_lshrrev_b32_e32 v1, 19, v5
	v_lshrrev_b32_e32 v20, 2, v5
	v_and_or_b32 v7, v7, s24, v0
	v_and_or_b32 v9, v9, s24, v0
	;; [unrolled: 1-line block ×5, first 2 shown]
	v_and_b32_e32 v8, 2, v8
	v_and_b32_e32 v20, 2, v20
	v_alignbit_b32 v0, v0, v5, 30
	v_lshl_or_b32 v15, v7, 2, v8
	v_lshl_or_b32 v17, v9, 2, v29
	v_lshl_or_b32 v19, v31, 2, v32
	v_lshl_or_b32 v20, v33, 2, v20
	v_and_b32_e32 v29, 0x3ffe, v0
	v_or_b32_e32 v30, 0x800, v11
	v_or_b32_e32 v31, 0x1000, v11
	;; [unrolled: 1-line block ×4, first 2 shown]
	s_mov_b64 s[24:25], -1
	s_branch .LBB82_2
.LBB82_1:                               ;   in Loop: Header=BB82_2 Depth=1
	s_or_b64 exec, exec, s[30:31]
	s_waitcnt lgkmcnt(0)
	v_add_u32_e32 v1, v45, v1
	ds_bpermute_b32 v1, v13, v1
	ds_read_b32 v46, v3 offset:16412
	s_add_i32 s33, s33, -1
	s_cmp_eq_u32 s33, 0
	s_waitcnt lgkmcnt(1)
	v_cndmask_b32_e64 v1, v1, v45, s[6:7]
	s_waitcnt lgkmcnt(0)
	v_lshl_add_u32 v1, v46, 16, v1
	v_add_u32_e32 v8, v1, v8
	v_add_u32_e32 v9, v8, v9
	ds_write2_b32 v10, v1, v8 offset1:1
	v_add_u32_e32 v1, v9, v6
	v_add_u32_e32 v6, v1, v7
	ds_write2_b32 v10, v9, v1 offset0:2 offset1:3
	v_add_u32_e32 v1, v6, v4
	v_add_u32_e32 v4, v1, v5
	;; [unrolled: 1-line block ×3, first 2 shown]
	ds_write2_b32 v10, v6, v1 offset0:4 offset1:5
	ds_write2_b32 v10, v4, v0 offset0:6 offset1:7
	s_waitcnt lgkmcnt(0)
	s_barrier
	s_cbranch_scc1 .LBB82_30
.LBB82_2:                               ; =>This Inner Loop Header: Depth=1
	ds_write_b32 v11, v3
	ds_write_b32 v30, v3
	;; [unrolled: 1-line block ×4, first 2 shown]
	s_and_saveexec_b64 s[30:31], s[24:25]
	s_cbranch_execnz .LBB82_24
; %bb.3:                                ;   in Loop: Header=BB82_2 Depth=1
	s_or_b64 exec, exec, s[30:31]
	s_and_saveexec_b64 s[30:31], s[24:25]
	s_cbranch_execnz .LBB82_25
.LBB82_4:                               ;   in Loop: Header=BB82_2 Depth=1
	s_or_b64 exec, exec, s[30:31]
	s_and_saveexec_b64 s[30:31], s[24:25]
	s_cbranch_execnz .LBB82_26
.LBB82_5:                               ;   in Loop: Header=BB82_2 Depth=1
	s_or_b64 exec, exec, s[30:31]
	s_and_saveexec_b64 s[30:31], s[24:25]
	s_cbranch_execz .LBB82_7
.LBB82_6:                               ;   in Loop: Header=BB82_2 Depth=1
	ds_write_b32 v36, v3
.LBB82_7:                               ;   in Loop: Header=BB82_2 Depth=1
	s_or_b64 exec, exec, s[30:31]
	ds_read_u16 v0, v15
	s_waitcnt lgkmcnt(0)
	v_add_u16_e32 v0, 1, v0
	ds_write_b16 v15, v0
	ds_read_u16 v0, v17
	s_waitcnt lgkmcnt(0)
	v_add_u16_e32 v0, 1, v0
	ds_write_b16 v17, v0
	;; [unrolled: 4-line block ×8, first 2 shown]
	s_waitcnt lgkmcnt(0)
	s_barrier
	ds_read2_b32 v[8:9], v10 offset1:1
	ds_read2_b32 v[6:7], v10 offset0:2 offset1:3
	ds_read2_b32 v[4:5], v10 offset0:4 offset1:5
	;; [unrolled: 1-line block ×3, first 2 shown]
	s_waitcnt lgkmcnt(3)
	v_add_u32_e32 v37, v9, v8
	s_waitcnt lgkmcnt(2)
	v_add3_u32 v37, v37, v6, v7
	s_waitcnt lgkmcnt(1)
	v_add3_u32 v37, v37, v4, v5
	;; [unrolled: 2-line block ×3, first 2 shown]
	s_nop 1
	v_mov_b32_dpp v37, v1 row_shr:1 row_mask:0xf bank_mask:0xf
	v_cndmask_b32_e64 v37, v37, 0, s[8:9]
	v_add_u32_e32 v1, v37, v1
	s_nop 1
	v_mov_b32_dpp v37, v1 row_shr:2 row_mask:0xf bank_mask:0xf
	v_cndmask_b32_e64 v37, 0, v37, s[10:11]
	v_add_u32_e32 v1, v1, v37
	;; [unrolled: 4-line block ×4, first 2 shown]
	s_nop 1
	v_mov_b32_dpp v37, v1 row_bcast:15 row_mask:0xf bank_mask:0xf
	v_cndmask_b32_e64 v37, v37, 0, s[16:17]
	v_add_u32_e32 v1, v1, v37
	s_nop 1
	v_mov_b32_dpp v37, v1 row_bcast:31 row_mask:0xf bank_mask:0xf
	v_cndmask_b32_e64 v37, 0, v37, s[2:3]
	v_add_u32_e32 v1, v1, v37
	s_and_saveexec_b64 s[30:31], s[4:5]
	s_cbranch_execz .LBB82_9
; %bb.8:                                ;   in Loop: Header=BB82_2 Depth=1
	ds_write_b32 v12, v1 offset:16384
.LBB82_9:                               ;   in Loop: Header=BB82_2 Depth=1
	s_or_b64 exec, exec, s[30:31]
	s_waitcnt lgkmcnt(0)
	s_barrier
	s_and_saveexec_b64 s[30:31], vcc
	s_cbranch_execz .LBB82_11
; %bb.10:                               ;   in Loop: Header=BB82_2 Depth=1
	ds_read_b32 v37, v11 offset:16384
	s_waitcnt lgkmcnt(0)
	s_nop 0
	v_mov_b32_dpp v38, v37 row_shr:1 row_mask:0xf bank_mask:0xf
	v_cndmask_b32_e64 v38, v38, 0, s[18:19]
	v_add_u32_e32 v37, v38, v37
	s_nop 1
	v_mov_b32_dpp v38, v37 row_shr:2 row_mask:0xf bank_mask:0xf
	v_cndmask_b32_e64 v38, 0, v38, s[20:21]
	v_add_u32_e32 v37, v37, v38
	;; [unrolled: 4-line block ×3, first 2 shown]
	ds_write_b32 v11, v37 offset:16384
.LBB82_11:                              ;   in Loop: Header=BB82_2 Depth=1
	s_or_b64 exec, exec, s[30:31]
	v_mov_b32_e32 v37, 0
	s_waitcnt lgkmcnt(0)
	s_barrier
	s_and_saveexec_b64 s[30:31], s[0:1]
	s_cbranch_execz .LBB82_13
; %bb.12:                               ;   in Loop: Header=BB82_2 Depth=1
	ds_read_b32 v37, v12 offset:16380
.LBB82_13:                              ;   in Loop: Header=BB82_2 Depth=1
	s_or_b64 exec, exec, s[30:31]
	s_waitcnt lgkmcnt(0)
	v_add_u32_e32 v1, v37, v1
	ds_bpermute_b32 v1, v13, v1
	ds_read_b32 v38, v3 offset:16412
	s_waitcnt lgkmcnt(1)
	v_cndmask_b32_e64 v1, v1, v37, s[6:7]
	s_waitcnt lgkmcnt(0)
	v_lshl_add_u32 v1, v38, 16, v1
	v_add_u32_e32 v8, v1, v8
	v_add_u32_e32 v9, v8, v9
	ds_write2_b32 v10, v1, v8 offset1:1
	v_add_u32_e32 v1, v9, v6
	v_add_u32_e32 v6, v1, v7
	ds_write2_b32 v10, v9, v1 offset0:2 offset1:3
	v_add_u32_e32 v1, v6, v4
	v_add_u32_e32 v4, v1, v5
	;; [unrolled: 1-line block ×3, first 2 shown]
	ds_write2_b32 v10, v6, v1 offset0:4 offset1:5
	ds_write2_b32 v10, v4, v0 offset0:6 offset1:7
	s_waitcnt lgkmcnt(0)
	s_barrier
	ds_write_b32 v11, v3
	ds_write_b32 v30, v3
	;; [unrolled: 1-line block ×4, first 2 shown]
	s_and_saveexec_b64 s[30:31], s[24:25]
	s_cbranch_execnz .LBB82_27
; %bb.14:                               ;   in Loop: Header=BB82_2 Depth=1
	s_or_b64 exec, exec, s[30:31]
	s_and_saveexec_b64 s[30:31], s[24:25]
	s_cbranch_execnz .LBB82_28
.LBB82_15:                              ;   in Loop: Header=BB82_2 Depth=1
	s_or_b64 exec, exec, s[30:31]
	s_and_saveexec_b64 s[30:31], s[24:25]
	s_cbranch_execnz .LBB82_29
.LBB82_16:                              ;   in Loop: Header=BB82_2 Depth=1
	s_or_b64 exec, exec, s[30:31]
	s_and_saveexec_b64 s[30:31], s[24:25]
	s_cbranch_execz .LBB82_18
.LBB82_17:                              ;   in Loop: Header=BB82_2 Depth=1
	ds_write_b32 v36, v3
.LBB82_18:                              ;   in Loop: Header=BB82_2 Depth=1
	s_or_b64 exec, exec, s[30:31]
	ds_read_u16 v37, v14
	s_waitcnt lgkmcnt(0)
	v_add_u16_e32 v0, 1, v37
	ds_write_b16 v14, v0
	ds_read_u16 v38, v16
	s_waitcnt lgkmcnt(0)
	v_add_u16_e32 v0, 1, v38
	ds_write_b16 v16, v0
	;; [unrolled: 4-line block ×8, first 2 shown]
	s_waitcnt lgkmcnt(0)
	s_barrier
	ds_read2_b32 v[8:9], v10 offset1:1
	ds_read2_b32 v[6:7], v10 offset0:2 offset1:3
	ds_read2_b32 v[4:5], v10 offset0:4 offset1:5
	;; [unrolled: 1-line block ×3, first 2 shown]
	s_waitcnt lgkmcnt(3)
	v_add_u32_e32 v45, v9, v8
	s_waitcnt lgkmcnt(2)
	v_add3_u32 v45, v45, v6, v7
	s_waitcnt lgkmcnt(1)
	v_add3_u32 v45, v45, v4, v5
	;; [unrolled: 2-line block ×3, first 2 shown]
	s_nop 1
	v_mov_b32_dpp v45, v1 row_shr:1 row_mask:0xf bank_mask:0xf
	v_cndmask_b32_e64 v45, v45, 0, s[8:9]
	v_add_u32_e32 v1, v45, v1
	s_nop 1
	v_mov_b32_dpp v45, v1 row_shr:2 row_mask:0xf bank_mask:0xf
	v_cndmask_b32_e64 v45, 0, v45, s[10:11]
	v_add_u32_e32 v1, v1, v45
	;; [unrolled: 4-line block ×4, first 2 shown]
	s_nop 1
	v_mov_b32_dpp v45, v1 row_bcast:15 row_mask:0xf bank_mask:0xf
	v_cndmask_b32_e64 v45, v45, 0, s[16:17]
	v_add_u32_e32 v1, v1, v45
	s_nop 1
	v_mov_b32_dpp v45, v1 row_bcast:31 row_mask:0xf bank_mask:0xf
	v_cndmask_b32_e64 v45, 0, v45, s[2:3]
	v_add_u32_e32 v1, v1, v45
	s_and_saveexec_b64 s[30:31], s[4:5]
	s_cbranch_execz .LBB82_20
; %bb.19:                               ;   in Loop: Header=BB82_2 Depth=1
	ds_write_b32 v12, v1 offset:16384
.LBB82_20:                              ;   in Loop: Header=BB82_2 Depth=1
	s_or_b64 exec, exec, s[30:31]
	s_waitcnt lgkmcnt(0)
	s_barrier
	s_and_saveexec_b64 s[30:31], vcc
	s_cbranch_execz .LBB82_22
; %bb.21:                               ;   in Loop: Header=BB82_2 Depth=1
	ds_read_b32 v45, v11 offset:16384
	s_waitcnt lgkmcnt(0)
	s_nop 0
	v_mov_b32_dpp v46, v45 row_shr:1 row_mask:0xf bank_mask:0xf
	v_cndmask_b32_e64 v46, v46, 0, s[18:19]
	v_add_u32_e32 v45, v46, v45
	s_nop 1
	v_mov_b32_dpp v46, v45 row_shr:2 row_mask:0xf bank_mask:0xf
	v_cndmask_b32_e64 v46, 0, v46, s[20:21]
	v_add_u32_e32 v45, v45, v46
	s_nop 1
	v_mov_b32_dpp v46, v45 row_shr:4 row_mask:0xf bank_mask:0xf
	v_cndmask_b32_e64 v46, 0, v46, s[22:23]
	v_add_u32_e32 v45, v45, v46
	ds_write_b32 v11, v45 offset:16384
.LBB82_22:                              ;   in Loop: Header=BB82_2 Depth=1
	s_or_b64 exec, exec, s[30:31]
	v_mov_b32_e32 v45, 0
	s_waitcnt lgkmcnt(0)
	s_barrier
	s_and_saveexec_b64 s[30:31], s[0:1]
	s_cbranch_execz .LBB82_1
; %bb.23:                               ;   in Loop: Header=BB82_2 Depth=1
	ds_read_b32 v45, v12 offset:16380
	s_branch .LBB82_1
.LBB82_24:                              ;   in Loop: Header=BB82_2 Depth=1
	ds_write_b32 v33, v3
	s_or_b64 exec, exec, s[30:31]
	s_and_saveexec_b64 s[30:31], s[24:25]
	s_cbranch_execz .LBB82_4
.LBB82_25:                              ;   in Loop: Header=BB82_2 Depth=1
	ds_write_b32 v34, v3
	s_or_b64 exec, exec, s[30:31]
	s_and_saveexec_b64 s[30:31], s[24:25]
	s_cbranch_execz .LBB82_5
.LBB82_26:                              ;   in Loop: Header=BB82_2 Depth=1
	ds_write_b32 v35, v3
	s_or_b64 exec, exec, s[30:31]
	s_and_saveexec_b64 s[30:31], s[24:25]
	s_cbranch_execnz .LBB82_6
	s_branch .LBB82_7
.LBB82_27:                              ;   in Loop: Header=BB82_2 Depth=1
	ds_write_b32 v33, v3
	s_or_b64 exec, exec, s[30:31]
	s_and_saveexec_b64 s[30:31], s[24:25]
	s_cbranch_execz .LBB82_15
.LBB82_28:                              ;   in Loop: Header=BB82_2 Depth=1
	ds_write_b32 v34, v3
	s_or_b64 exec, exec, s[30:31]
	s_and_saveexec_b64 s[30:31], s[24:25]
	s_cbranch_execz .LBB82_16
.LBB82_29:                              ;   in Loop: Header=BB82_2 Depth=1
	ds_write_b32 v35, v3
	s_or_b64 exec, exec, s[30:31]
	s_and_saveexec_b64 s[30:31], s[24:25]
	s_cbranch_execnz .LBB82_17
	s_branch .LBB82_18
.LBB82_30:
	ds_read_u16 v0, v26
	ds_read_u16 v1, v23
	;; [unrolled: 1-line block ×8, first 2 shown]
	s_lshl_b64 s[0:1], s[28:29], 2
	s_add_u32 s0, s26, s0
	s_waitcnt lgkmcnt(4)
	v_add_u32_sdwa v4, v4, v37 dst_sel:DWORD dst_unused:UNUSED_PAD src0_sel:DWORD src1_sel:WORD_0
	v_add_u32_sdwa v5, v3, v38 dst_sel:DWORD dst_unused:UNUSED_PAD src0_sel:DWORD src1_sel:WORD_0
	;; [unrolled: 1-line block ×4, first 2 shown]
	s_addc_u32 s1, s27, s1
	v_lshlrev_b32_e32 v0, 2, v2
	s_waitcnt lgkmcnt(0)
	v_add_u32_sdwa v8, v8, v41 dst_sel:DWORD dst_unused:UNUSED_PAD src0_sel:DWORD src1_sel:WORD_0
	v_add_u32_sdwa v9, v9, v42 dst_sel:DWORD dst_unused:UNUSED_PAD src0_sel:DWORD src1_sel:WORD_0
	;; [unrolled: 1-line block ×4, first 2 shown]
	global_store_dwordx4 v0, v[4:7], s[0:1]
	global_store_dwordx4 v0, v[8:11], s[0:1] offset:16
	s_endpgm
	.section	.rodata,"a",@progbits
	.p2align	6, 0x0
	.amdhsa_kernel _Z11rank_kernelIhLj4ELb0EL18RadixRankAlgorithm1ELj512ELj8ELj10EEvPKT_Pi
		.amdhsa_group_segment_fixed_size 16416
		.amdhsa_private_segment_fixed_size 0
		.amdhsa_kernarg_size 16
		.amdhsa_user_sgpr_count 6
		.amdhsa_user_sgpr_private_segment_buffer 1
		.amdhsa_user_sgpr_dispatch_ptr 0
		.amdhsa_user_sgpr_queue_ptr 0
		.amdhsa_user_sgpr_kernarg_segment_ptr 1
		.amdhsa_user_sgpr_dispatch_id 0
		.amdhsa_user_sgpr_flat_scratch_init 0
		.amdhsa_user_sgpr_kernarg_preload_length 0
		.amdhsa_user_sgpr_kernarg_preload_offset 0
		.amdhsa_user_sgpr_private_segment_size 0
		.amdhsa_uses_dynamic_stack 0
		.amdhsa_system_sgpr_private_segment_wavefront_offset 0
		.amdhsa_system_sgpr_workgroup_id_x 1
		.amdhsa_system_sgpr_workgroup_id_y 0
		.amdhsa_system_sgpr_workgroup_id_z 0
		.amdhsa_system_sgpr_workgroup_info 0
		.amdhsa_system_vgpr_workitem_id 0
		.amdhsa_next_free_vgpr 47
		.amdhsa_next_free_sgpr 34
		.amdhsa_accum_offset 48
		.amdhsa_reserve_vcc 1
		.amdhsa_reserve_flat_scratch 0
		.amdhsa_float_round_mode_32 0
		.amdhsa_float_round_mode_16_64 0
		.amdhsa_float_denorm_mode_32 3
		.amdhsa_float_denorm_mode_16_64 3
		.amdhsa_dx10_clamp 1
		.amdhsa_ieee_mode 1
		.amdhsa_fp16_overflow 0
		.amdhsa_tg_split 0
		.amdhsa_exception_fp_ieee_invalid_op 0
		.amdhsa_exception_fp_denorm_src 0
		.amdhsa_exception_fp_ieee_div_zero 0
		.amdhsa_exception_fp_ieee_overflow 0
		.amdhsa_exception_fp_ieee_underflow 0
		.amdhsa_exception_fp_ieee_inexact 0
		.amdhsa_exception_int_div_zero 0
	.end_amdhsa_kernel
	.section	.text._Z11rank_kernelIhLj4ELb0EL18RadixRankAlgorithm1ELj512ELj8ELj10EEvPKT_Pi,"axG",@progbits,_Z11rank_kernelIhLj4ELb0EL18RadixRankAlgorithm1ELj512ELj8ELj10EEvPKT_Pi,comdat
.Lfunc_end82:
	.size	_Z11rank_kernelIhLj4ELb0EL18RadixRankAlgorithm1ELj512ELj8ELj10EEvPKT_Pi, .Lfunc_end82-_Z11rank_kernelIhLj4ELb0EL18RadixRankAlgorithm1ELj512ELj8ELj10EEvPKT_Pi
                                        ; -- End function
	.section	.AMDGPU.csdata,"",@progbits
; Kernel info:
; codeLenInByte = 2636
; NumSgprs: 38
; NumVgprs: 47
; NumAgprs: 0
; TotalNumVgprs: 47
; ScratchSize: 0
; MemoryBound: 0
; FloatMode: 240
; IeeeMode: 1
; LDSByteSize: 16416 bytes/workgroup (compile time only)
; SGPRBlocks: 4
; VGPRBlocks: 5
; NumSGPRsForWavesPerEU: 38
; NumVGPRsForWavesPerEU: 47
; AccumOffset: 48
; Occupancy: 6
; WaveLimiterHint : 0
; COMPUTE_PGM_RSRC2:SCRATCH_EN: 0
; COMPUTE_PGM_RSRC2:USER_SGPR: 6
; COMPUTE_PGM_RSRC2:TRAP_HANDLER: 0
; COMPUTE_PGM_RSRC2:TGID_X_EN: 1
; COMPUTE_PGM_RSRC2:TGID_Y_EN: 0
; COMPUTE_PGM_RSRC2:TGID_Z_EN: 0
; COMPUTE_PGM_RSRC2:TIDIG_COMP_CNT: 0
; COMPUTE_PGM_RSRC3_GFX90A:ACCUM_OFFSET: 11
; COMPUTE_PGM_RSRC3_GFX90A:TG_SPLIT: 0
	.section	.text._Z11rank_kernelIhLj4ELb0EL18RadixRankAlgorithm2ELj512ELj8ELj10EEvPKT_Pi,"axG",@progbits,_Z11rank_kernelIhLj4ELb0EL18RadixRankAlgorithm2ELj512ELj8ELj10EEvPKT_Pi,comdat
	.protected	_Z11rank_kernelIhLj4ELb0EL18RadixRankAlgorithm2ELj512ELj8ELj10EEvPKT_Pi ; -- Begin function _Z11rank_kernelIhLj4ELb0EL18RadixRankAlgorithm2ELj512ELj8ELj10EEvPKT_Pi
	.globl	_Z11rank_kernelIhLj4ELb0EL18RadixRankAlgorithm2ELj512ELj8ELj10EEvPKT_Pi
	.p2align	8
	.type	_Z11rank_kernelIhLj4ELb0EL18RadixRankAlgorithm2ELj512ELj8ELj10EEvPKT_Pi,@function
_Z11rank_kernelIhLj4ELb0EL18RadixRankAlgorithm2ELj512ELj8ELj10EEvPKT_Pi: ; @_Z11rank_kernelIhLj4ELb0EL18RadixRankAlgorithm2ELj512ELj8ELj10EEvPKT_Pi
; %bb.0:
	s_load_dwordx4 s[0:3], s[4:5], 0x0
	s_lshl_b32 s56, s6, 12
                                        ; implicit-def: $vgpr172 : SGPR spill to VGPR lane
	v_and_b32_e32 v98, 0x3ff, v0
	v_lshlrev_b32_e32 v2, 3, v98
	v_bfe_u32 v3, v0, 10, 10
	s_waitcnt lgkmcnt(0)
	s_add_u32 s0, s0, s56
	v_writelane_b32 v172, s0, 0
	v_writelane_b32 v172, s1, 1
	;; [unrolled: 1-line block ×4, first 2 shown]
	s_addc_u32 s1, s1, 0
	v_bfe_u32 v0, v0, 20, 10
	global_load_dwordx2 v[6:7], v2, s[0:1]
	s_load_dword s0, s[4:5], 0x1c
	v_mov_b32_e32 v4, 0
	v_mbcnt_lo_u32_b32 v1, -1, 0
	v_mbcnt_hi_u32_b32 v65, -1, v1
	v_mov_b32_e32 v8, 30
	s_waitcnt lgkmcnt(0)
	s_lshr_b32 s1, s0, 16
	s_and_b32 s0, s0, 0xffff
	v_mad_u32_u24 v0, v0, s1, v3
	v_mad_u64_u32 v[90:91], s[0:1], v0, s0, v[98:99]
	v_mov_b32_e32 v10, 29
	v_mov_b32_e32 v12, 28
                                        ; implicit-def: $vgpr171 : SGPR spill to VGPR lane
	v_or_b32_e32 v169, 63, v98
	s_mov_b32 s57, 0
	v_lshlrev_b32_e32 v133, 2, v98
	v_and_b32_e32 v167, 15, v65
	v_and_b32_e32 v168, 16, v65
	;; [unrolled: 1-line block ×3, first 2 shown]
	v_cmp_eq_u32_e64 s[94:95], v169, v98
	v_cmp_eq_u32_e64 s[12:13], 0, v168
	v_cmp_lt_u32_e64 s[14:15], 31, v65
	v_cmp_eq_u32_e64 s[58:59], 0, v65
	v_cmp_eq_u32_e64 s[16:17], 0, v170
	v_cmp_lt_u32_e64 s[18:19], 1, v170
	v_cmp_lt_u32_e64 s[20:21], 3, v170
	s_mov_b32 s33, 10
	s_waitcnt vmcnt(0)
	v_lshlrev_b32_e32 v5, 30, v6
	v_cmp_gt_i64_e64 s[0:1], 0, v[4:5]
	v_bfe_u32 v1, v6, 8, 1
	v_bfe_u32 v3, v6, 16, 1
	;; [unrolled: 1-line block ×3, first 2 shown]
	v_and_b32_e32 v71, 1, v7
	v_bfe_u32 v11, v7, 8, 1
	v_writelane_b32 v172, s0, 4
	v_writelane_b32 v172, s1, 5
	v_add_co_u32_e64 v99, s[0:1], -1, v1
	v_add_co_u32_e64 v102, s[2:3], -1, v3
	v_add_co_u32_e64 v103, s[4:5], -1, v9
	v_add_co_u32_e64 v104, s[6:7], -1, v71
	v_add_co_u32_e64 v105, s[8:9], -1, v11
	v_not_b32_e32 v0, v5
	v_lshlrev_b32_e32 v5, 29, v6
	v_addc_co_u32_e64 v107, s[0:1], 0, -1, s[0:1]
	v_addc_co_u32_e64 v108, s[0:1], 0, -1, s[2:3]
	;; [unrolled: 1-line block ×5, first 2 shown]
	v_cmp_gt_i64_e64 s[0:1], 0, v[4:5]
	v_writelane_b32 v172, s0, 6
	v_not_b32_e32 v1, v5
	v_lshlrev_b32_e32 v5, 28, v6
	v_lshrrev_b32_e32 v13, 8, v6
	v_writelane_b32 v172, s1, 7
	v_cmp_gt_i64_e64 s[0:1], 0, v[4:5]
	v_writelane_b32 v172, s0, 8
	v_not_b32_e32 v3, v5
	v_lshlrev_b32_e32 v5, 30, v13
	v_writelane_b32 v172, s1, 9
	v_cmp_gt_i64_e64 s[0:1], 0, v[4:5]
	v_writelane_b32 v172, s0, 10
	v_not_b32_e32 v9, v5
	v_lshlrev_b32_e32 v5, 29, v13
	;; [unrolled: 5-line block ×3, first 2 shown]
	v_writelane_b32 v172, s1, 13
	v_cmp_gt_i64_e64 s[0:1], 0, v[4:5]
	v_writelane_b32 v172, s0, 14
	v_not_b32_e32 v13, v5
	v_lshlrev_b32_sdwa v5, v8, v6 dst_sel:DWORD dst_unused:UNUSED_PAD src0_sel:DWORD src1_sel:WORD_1
	v_writelane_b32 v172, s1, 15
	v_cmp_gt_i64_e64 s[0:1], 0, v[4:5]
	v_writelane_b32 v172, s0, 16
	v_not_b32_e32 v15, v5
	v_lshlrev_b32_sdwa v5, v10, v6 dst_sel:DWORD dst_unused:UNUSED_PAD src0_sel:DWORD src1_sel:WORD_1
	;; [unrolled: 5-line block ×3, first 2 shown]
	v_writelane_b32 v172, s1, 19
	v_cmp_gt_i64_e64 s[0:1], 0, v[4:5]
	v_writelane_b32 v172, s0, 20
	v_not_b32_e32 v19, v5
	v_lshlrev_b32_sdwa v5, v8, v6 dst_sel:DWORD dst_unused:UNUSED_PAD src0_sel:DWORD src1_sel:BYTE_3
	v_writelane_b32 v172, s1, 21
	v_cmp_gt_i64_e64 s[0:1], 0, v[4:5]
	v_writelane_b32 v172, s0, 22
	v_not_b32_e32 v21, v5
	v_lshlrev_b32_sdwa v5, v10, v6 dst_sel:DWORD dst_unused:UNUSED_PAD src0_sel:DWORD src1_sel:BYTE_3
	;; [unrolled: 5-line block ×3, first 2 shown]
	v_writelane_b32 v172, s1, 25
	v_cmp_gt_i64_e64 s[0:1], 0, v[4:5]
	v_writelane_b32 v172, s0, 26
	v_not_b32_e32 v25, v5
	v_lshlrev_b32_e32 v5, 30, v7
	v_writelane_b32 v172, s1, 27
	v_cmp_gt_i64_e64 s[0:1], 0, v[4:5]
	v_writelane_b32 v172, s0, 28
	v_not_b32_e32 v27, v5
	v_lshlrev_b32_e32 v5, 29, v7
	v_writelane_b32 v172, s1, 29
	v_cmp_gt_i64_e64 s[0:1], 0, v[4:5]
	v_writelane_b32 v172, s0, 30
	v_not_b32_e32 v29, v5
	v_lshlrev_b32_e32 v5, 28, v7
	v_lshrrev_b32_e32 v14, 8, v7
	v_writelane_b32 v172, s1, 31
	v_cmp_gt_i64_e64 s[0:1], 0, v[4:5]
	v_writelane_b32 v172, s0, 32
	v_not_b32_e32 v31, v5
	v_lshlrev_b32_e32 v5, 30, v14
	v_writelane_b32 v172, s1, 33
	v_cmp_gt_i64_e64 s[0:1], 0, v[4:5]
	v_writelane_b32 v172, s0, 34
	v_not_b32_e32 v33, v5
	v_lshlrev_b32_e32 v5, 29, v14
	;; [unrolled: 5-line block ×3, first 2 shown]
	v_writelane_b32 v172, s1, 37
	v_cmp_gt_i64_e64 s[0:1], 0, v[4:5]
	v_writelane_b32 v172, s0, 38
	v_not_b32_e32 v37, v5
	v_lshlrev_b32_sdwa v5, v8, v7 dst_sel:DWORD dst_unused:UNUSED_PAD src0_sel:DWORD src1_sel:WORD_1
	v_writelane_b32 v172, s1, 39
	v_cmp_gt_i64_e64 s[0:1], 0, v[4:5]
	v_writelane_b32 v172, s0, 40
	v_not_b32_e32 v39, v5
	v_lshlrev_b32_sdwa v5, v10, v7 dst_sel:DWORD dst_unused:UNUSED_PAD src0_sel:DWORD src1_sel:WORD_1
	;; [unrolled: 5-line block ×3, first 2 shown]
	v_writelane_b32 v172, s1, 43
	v_cmp_gt_i64_e64 s[0:1], 0, v[4:5]
	v_writelane_b32 v172, s0, 44
	v_not_b32_e32 v43, v5
	v_lshlrev_b32_sdwa v5, v8, v7 dst_sel:DWORD dst_unused:UNUSED_PAD src0_sel:DWORD src1_sel:BYTE_3
	v_writelane_b32 v172, s1, 45
	v_cmp_gt_i64_e64 s[0:1], 0, v[4:5]
	v_writelane_b32 v172, s0, 46
	v_not_b32_e32 v45, v5
	v_lshlrev_b32_sdwa v5, v10, v7 dst_sel:DWORD dst_unused:UNUSED_PAD src0_sel:DWORD src1_sel:BYTE_3
	;; [unrolled: 5-line block ×3, first 2 shown]
	v_writelane_b32 v172, s1, 49
	v_cmp_gt_i64_e64 s[0:1], 0, v[4:5]
	v_lshrrev_b32_e32 v8, 4, v6
	v_writelane_b32 v172, s0, 50
	v_not_b32_e32 v49, v5
	v_lshlrev_b32_e32 v5, 30, v8
	v_writelane_b32 v172, s1, 51
	v_cmp_gt_i64_e64 s[0:1], 0, v[4:5]
	v_writelane_b32 v172, s0, 52
	v_not_b32_e32 v51, v5
	v_lshlrev_b32_e32 v5, 29, v8
	v_writelane_b32 v172, s1, 53
	v_cmp_gt_i64_e64 s[0:1], 0, v[4:5]
	v_writelane_b32 v172, s0, 54
	v_not_b32_e32 v53, v5
	v_lshlrev_b32_e32 v5, 28, v8
	v_writelane_b32 v172, s1, 55
	v_cmp_gt_i64_e64 s[0:1], 0, v[4:5]
	v_lshrrev_b32_e32 v8, 12, v6
	v_writelane_b32 v172, s0, 56
	v_not_b32_e32 v55, v5
	v_lshlrev_b32_e32 v5, 30, v8
	v_writelane_b32 v172, s1, 57
	v_cmp_gt_i64_e64 s[0:1], 0, v[4:5]
	v_writelane_b32 v172, s0, 58
	v_not_b32_e32 v57, v5
	v_lshlrev_b32_e32 v5, 29, v8
	v_writelane_b32 v172, s1, 59
	v_cmp_gt_i64_e64 s[0:1], 0, v[4:5]
	;; [unrolled: 5-line block ×3, first 2 shown]
	v_lshrrev_b32_e32 v8, 20, v6
	v_writelane_b32 v172, s0, 62
	v_not_b32_e32 v61, v5
	v_lshlrev_b32_e32 v5, 30, v8
	v_writelane_b32 v172, s1, 63
	v_cmp_gt_i64_e64 s[0:1], 0, v[4:5]
	v_not_b32_e32 v63, v5
	v_lshlrev_b32_e32 v5, 29, v8
	v_cmp_gt_i64_e64 s[62:63], 0, v[4:5]
	v_not_b32_e32 v66, v5
	v_lshlrev_b32_e32 v5, 28, v8
	v_lshrrev_b32_e32 v69, 28, v6
	v_cmp_gt_i64_e64 s[64:65], 0, v[4:5]
	v_not_b32_e32 v68, v5
	v_lshlrev_b32_e32 v5, 30, v69
	v_cmp_gt_i64_e64 s[66:67], 0, v[4:5]
	v_not_b32_e32 v70, v5
	v_lshlrev_b32_e32 v5, 29, v69
	v_and_b32_e32 v67, 1, v6
	v_cmp_gt_i64_e64 s[68:69], 0, v[4:5]
	v_not_b32_e32 v72, v5
	v_and_b32_e32 v5, 0xf0000000, v6
	v_lshrrev_b32_e32 v8, 4, v7
	v_add_co_u32_e32 v97, vcc, -1, v67
	v_bfe_u32 v14, v7, 16, 1
	v_cmp_gt_i64_e64 s[70:71], 0, v[4:5]
	v_not_b32_e32 v73, v5
	v_lshlrev_b32_e32 v5, 30, v8
	v_addc_co_u32_e64 v106, s[10:11], 0, -1, vcc
	v_writelane_b32 v171, s0, 0
	v_add_co_u32_e32 v112, vcc, -1, v14
	v_cmp_gt_i64_e64 s[72:73], 0, v[4:5]
	v_not_b32_e32 v75, v5
	v_lshlrev_b32_e32 v5, 29, v8
	v_bfe_u32 v12, v7, 24, 1
	v_writelane_b32 v171, s1, 1
	v_addc_co_u32_e64 v113, s[0:1], 0, -1, vcc
	v_add_u32_e32 v10, -1, v65
	v_cmp_gt_i64_e64 s[74:75], 0, v[4:5]
	v_not_b32_e32 v77, v5
	v_lshlrev_b32_e32 v5, 28, v8
	v_and_b32_e32 v8, 64, v65
	v_add_co_u32_e32 v114, vcc, -1, v12
	v_addc_co_u32_e64 v115, s[0:1], 0, -1, vcc
	v_cmp_lt_i32_e32 vcc, v10, v8
	v_bfe_u32 v8, v6, 4, 1
	v_cndmask_b32_e32 v83, v10, v65, vcc
	v_add_co_u32_e32 v116, vcc, -1, v8
	v_bfe_u32 v8, v6, 12, 1
	v_addc_co_u32_e64 v117, s[0:1], 0, -1, vcc
	v_add_co_u32_e32 v118, vcc, -1, v8
	v_bfe_u32 v8, v6, 20, 1
	v_addc_co_u32_e64 v119, s[0:1], 0, -1, vcc
	;; [unrolled: 3-line block ×7, first 2 shown]
	v_add_co_u32_e32 v130, vcc, -1, v8
	v_lshrrev_b32_e32 v8, 12, v7
	v_cmp_gt_i64_e64 s[76:77], 0, v[4:5]
	v_not_b32_e32 v79, v5
	v_lshlrev_b32_e32 v5, 30, v8
	v_not_b32_e32 v81, v5
	v_cmp_gt_i64_e64 s[78:79], 0, v[4:5]
	v_lshlrev_b32_e32 v5, 29, v8
	v_not_b32_e32 v84, v5
	v_cmp_gt_i64_e64 s[80:81], 0, v[4:5]
	v_lshlrev_b32_e32 v5, 28, v8
	v_lshrrev_b32_e32 v8, 20, v7
	v_not_b32_e32 v85, v5
	v_cmp_gt_i64_e64 s[82:83], 0, v[4:5]
	v_lshlrev_b32_e32 v5, 30, v8
	v_not_b32_e32 v87, v5
	v_cmp_gt_i64_e64 s[84:85], 0, v[4:5]
	v_lshlrev_b32_e32 v5, 29, v8
	v_and_b32_e32 v91, 15, v6
	v_bfe_u32 v92, v6, 8, 4
	v_bfe_u32 v93, v6, 16, 4
	;; [unrolled: 1-line block ×6, first 2 shown]
	v_and_b32_e32 v154, 0x100, v6
	v_and_b32_e32 v155, 0x10000, v6
	;; [unrolled: 1-line block ×7, first 2 shown]
	v_lshrrev_b32_e32 v6, 4, v98
	v_not_b32_e32 v89, v5
	v_cmp_gt_i64_e64 s[86:87], 0, v[4:5]
	v_lshlrev_b32_e32 v5, 28, v8
	v_and_b32_e32 v132, 28, v6
	v_ashrrev_i32_e32 v6, 31, v1
	v_ashrrev_i32_e32 v8, 31, v3
	v_lshrrev_b32_e32 v1, 6, v90
	v_mul_u32_u24_e32 v3, 9, v91
	v_add_lshl_u32 v135, v1, v3, 2
	v_mul_u32_u24_e32 v3, 9, v92
	v_add_lshl_u32 v136, v1, v3, 2
	v_mul_u32_u24_e32 v3, 9, v93
	v_and_b32_e32 v95, 15, v7
	v_add_lshl_u32 v137, v1, v3, 2
	v_mul_u32_u24_e32 v3, 9, v94
	v_bfe_u32 v96, v7, 8, 4
	v_add_lshl_u32 v138, v1, v3, 2
	v_mul_u32_u24_e32 v3, 9, v95
	v_bfe_u32 v100, v7, 16, 4
	;; [unrolled: 3-line block ×3, first 2 shown]
	v_add_lshl_u32 v141, v1, v3, 2
	v_mul_u32_u24_e32 v3, 9, v100
	v_add_lshl_u32 v143, v1, v3, 2
	v_mul_u32_u24_e32 v3, 9, v101
	;; [unrolled: 2-line block ×4, first 2 shown]
	v_lshrrev_b32_e32 v150, 28, v7
	v_add_lshl_u32 v142, v1, v3, 2
	v_mul_u32_u24_e32 v3, 9, v144
	v_bfe_u32 v147, v7, 4, 4
	v_not_b32_e32 v151, v5
	v_cmp_gt_i64_e64 s[88:89], 0, v[4:5]
	v_lshlrev_b32_e32 v5, 30, v150
	v_add_lshl_u32 v144, v1, v3, 2
	v_mul_u32_u24_e32 v3, 9, v69
	v_bfe_u32 v148, v7, 12, 4
	v_not_b32_e32 v152, v5
	v_cmp_gt_i64_e64 s[90:91], 0, v[4:5]
	v_lshlrev_b32_e32 v5, 29, v150
	v_add_lshl_u32 v146, v1, v3, 2
	v_mul_u32_u24_e32 v3, 9, v147
	v_bfe_u32 v149, v7, 20, 4
	v_not_b32_e32 v153, v5
	v_add_lshl_u32 v147, v1, v3, 2
	v_mul_u32_u24_e32 v3, 9, v148
	v_cmp_gt_i64_e64 s[92:93], 0, v[4:5]
	v_and_b32_e32 v5, 0xf0000000, v7
	v_addc_co_u32_e64 v131, s[0:1], 0, -1, vcc
	v_ashrrev_i32_e32 v88, 31, v87
	v_add_lshl_u32 v148, v1, v3, 2
	v_mul_u32_u24_e32 v3, 9, v149
	v_not_b32_e32 v87, v5
	v_and_b32_e32 v157, 0x100, v7
	v_and_b32_e32 v158, 0x10000, v7
	;; [unrolled: 1-line block ×6, first 2 shown]
	v_ashrrev_i32_e32 v0, 31, v0
	v_ashrrev_i32_e32 v10, 31, v9
	;; [unrolled: 1-line block ×40, first 2 shown]
	v_add_lshl_u32 v149, v1, v3, 2
	v_mul_u32_u24_e32 v3, 9, v150
	v_ashrrev_i32_e32 v90, 31, v89
	v_ashrrev_i32_e32 v92, 31, v151
	;; [unrolled: 1-line block ×4, first 2 shown]
	v_and_b32_e32 v85, 0x10000000, v7
	v_cmp_gt_u32_e64 s[0:1], 8, v98
	v_cmp_lt_u32_e64 s[2:3], 63, v98
	v_writelane_b32 v171, s56, 2
	v_ashrrev_i32_e32 v98, 31, v87
	v_add_u32_e32 v134, -4, v132
	v_add_lshl_u32 v150, v1, v3, 2
	v_mov_b32_e32 v1, v0
	v_mov_b32_e32 v3, v6
	;; [unrolled: 1-line block ×29, first 2 shown]
	v_cmp_eq_u32_e64 s[4:5], 0, v167
	v_cmp_lt_u32_e64 s[6:7], 1, v167
	v_cmp_lt_u32_e64 s[8:9], 3, v167
	v_mov_b32_e32 v61, v62
	v_cmp_lt_u32_e64 s[10:11], 7, v167
	v_mov_b32_e32 v63, v64
	v_mov_b32_e32 v65, v66
	v_cmp_eq_u32_e64 s[22:23], 1, v67
	v_cmp_ne_u32_e64 s[24:25], 0, v154
	v_mov_b32_e32 v67, v68
	v_cmp_ne_u32_e64 s[26:27], 0, v155
	v_cmp_ne_u32_e64 s[28:29], 0, v156
	v_mov_b32_e32 v69, v70
	v_cmp_eq_u32_e64 s[30:31], 1, v71
	v_cmp_ne_u32_e64 s[34:35], 0, v157
	v_mov_b32_e32 v71, v72
	v_cmp_ne_u32_e64 s[36:37], 0, v158
	v_cmp_ne_u32_e64 s[38:39], 0, v159
	v_mov_b32_e32 v73, v74
	v_cmp_ne_u32_e64 s[40:41], 0, v160
	;; [unrolled: 3-line block ×5, first 2 shown]
	v_mov_b32_e32 v81, v82
	v_cmp_ne_u32_e64 s[54:55], 0, v85
	v_writelane_b32 v171, s57, 3
	v_lshlrev_b32_e32 v151, 2, v83
	v_mov_b32_e32 v83, v84
	v_cmp_gt_i64_e64 s[56:57], 0, v[4:5]
	v_mov_b32_e32 v5, v86
	v_mov_b32_e32 v85, v88
	;; [unrolled: 1-line block ×7, first 2 shown]
	s_branch .LBB83_2
.LBB83_1:                               ;   in Loop: Header=BB83_2 Depth=1
	s_or_b64 exec, exec, s[60:61]
	s_waitcnt lgkmcnt(0)
	v_add_u32_e32 v100, v101, v100
	ds_bpermute_b32 v100, v151, v100
	s_add_i32 s33, s33, -1
	s_cmp_eq_u32 s33, 0
	s_waitcnt lgkmcnt(0)
	v_cndmask_b32_e64 v100, v100, v101, s[58:59]
	ds_write_b32 v133, v100 offset:32
	s_waitcnt lgkmcnt(0)
	s_barrier
	s_cbranch_scc1 .LBB83_46
.LBB83_2:                               ; =>This Inner Loop Header: Depth=1
	v_readlane_b32 s60, v172, 4
	v_cndmask_b32_e64 v100, 0, 1, s[22:23]
	v_readlane_b32 s61, v172, 5
	v_cmp_ne_u32_e32 vcc, 0, v100
	v_cndmask_b32_e64 v152, 0, 1, s[60:61]
	v_xor_b32_e32 v100, vcc_hi, v106
	v_xor_b32_e32 v101, vcc_lo, v97
	v_cmp_ne_u32_e32 vcc, 0, v152
	v_readlane_b32 s60, v172, 6
	v_and_b32_e32 v100, exec_hi, v100
	v_xor_b32_e32 v152, vcc_hi, v1
	v_readlane_b32 s61, v172, 7
	v_and_b32_e32 v100, v100, v152
	v_cndmask_b32_e64 v152, 0, 1, s[60:61]
	v_and_b32_e32 v101, exec_lo, v101
	v_xor_b32_e32 v153, vcc_lo, v0
	v_cmp_ne_u32_e32 vcc, 0, v152
	v_readlane_b32 s60, v172, 8
	v_and_b32_e32 v101, v101, v153
	v_xor_b32_e32 v152, vcc_hi, v3
	v_xor_b32_e32 v153, vcc_lo, v6
	v_readlane_b32 s61, v172, 9
	v_and_b32_e32 v100, v100, v152
	v_and_b32_e32 v152, v101, v153
	v_cndmask_b32_e64 v101, 0, 1, s[60:61]
	v_cmp_ne_u32_e32 vcc, 0, v101
	v_xor_b32_e32 v101, vcc_hi, v7
	v_xor_b32_e32 v153, vcc_lo, v8
	v_and_b32_e32 v101, v100, v101
	v_and_b32_e32 v100, v152, v153
	v_mbcnt_lo_u32_b32 v152, v100, 0
	v_mbcnt_hi_u32_b32 v152, v101, v152
	v_cmp_eq_u32_e64 s[60:61], 0, v152
	v_cmp_ne_u64_e32 vcc, 0, v[100:101]
	s_and_b64 vcc, vcc, s[60:61]
	ds_write_b32 v133, v4 offset:32
	s_waitcnt lgkmcnt(0)
	s_barrier
	s_waitcnt lgkmcnt(0)
	; wave barrier
	s_and_saveexec_b64 s[60:61], vcc
	s_cbranch_execz .LBB83_4
; %bb.3:                                ;   in Loop: Header=BB83_2 Depth=1
	v_bcnt_u32_b32 v100, v100, 0
	v_bcnt_u32_b32 v100, v101, v100
	ds_write_b32 v135, v100 offset:32
.LBB83_4:                               ;   in Loop: Header=BB83_2 Depth=1
	s_or_b64 exec, exec, s[60:61]
	v_readlane_b32 s60, v172, 10
	v_cndmask_b32_e64 v100, 0, 1, s[24:25]
	v_readlane_b32 s61, v172, 11
	v_cmp_ne_u32_e32 vcc, 0, v100
	v_cndmask_b32_e64 v153, 0, 1, s[60:61]
	v_xor_b32_e32 v100, vcc_hi, v107
	v_xor_b32_e32 v101, vcc_lo, v99
	v_cmp_ne_u32_e32 vcc, 0, v153
	v_readlane_b32 s60, v172, 12
	v_and_b32_e32 v100, exec_hi, v100
	v_xor_b32_e32 v153, vcc_hi, v9
	v_readlane_b32 s61, v172, 13
	v_and_b32_e32 v100, v100, v153
	v_cndmask_b32_e64 v153, 0, 1, s[60:61]
	v_and_b32_e32 v101, exec_lo, v101
	v_xor_b32_e32 v154, vcc_lo, v10
	v_cmp_ne_u32_e32 vcc, 0, v153
	v_readlane_b32 s60, v172, 14
	v_and_b32_e32 v101, v101, v154
	v_xor_b32_e32 v153, vcc_hi, v11
	v_xor_b32_e32 v154, vcc_lo, v12
	v_readlane_b32 s61, v172, 15
	v_and_b32_e32 v100, v100, v153
	v_and_b32_e32 v153, v101, v154
	v_cndmask_b32_e64 v101, 0, 1, s[60:61]
	v_cmp_ne_u32_e32 vcc, 0, v101
	v_xor_b32_e32 v101, vcc_hi, v13
	v_xor_b32_e32 v154, vcc_lo, v14
	; wave barrier
	ds_read_b32 v152, v136 offset:32
	v_and_b32_e32 v101, v100, v101
	v_and_b32_e32 v100, v153, v154
	v_mbcnt_lo_u32_b32 v153, v100, 0
	v_mbcnt_hi_u32_b32 v153, v101, v153
	v_cmp_eq_u32_e32 vcc, 0, v153
	v_cmp_ne_u64_e64 s[60:61], 0, v[100:101]
	s_and_b64 vcc, s[60:61], vcc
	; wave barrier
	s_and_saveexec_b64 s[60:61], vcc
	s_cbranch_execz .LBB83_6
; %bb.5:                                ;   in Loop: Header=BB83_2 Depth=1
	v_bcnt_u32_b32 v100, v100, 0
	v_bcnt_u32_b32 v100, v101, v100
	s_waitcnt lgkmcnt(0)
	v_add_u32_e32 v100, v152, v100
	ds_write_b32 v136, v100 offset:32
.LBB83_6:                               ;   in Loop: Header=BB83_2 Depth=1
	s_or_b64 exec, exec, s[60:61]
	v_readlane_b32 s60, v172, 16
	v_cndmask_b32_e64 v100, 0, 1, s[26:27]
	v_readlane_b32 s61, v172, 17
	v_cmp_ne_u32_e32 vcc, 0, v100
	v_cndmask_b32_e64 v153, 0, 1, s[60:61]
	v_xor_b32_e32 v100, vcc_hi, v108
	v_xor_b32_e32 v101, vcc_lo, v102
	v_cmp_ne_u32_e32 vcc, 0, v153
	v_readlane_b32 s60, v172, 18
	v_and_b32_e32 v100, exec_hi, v100
	v_xor_b32_e32 v153, vcc_hi, v15
	v_readlane_b32 s61, v172, 19
	v_and_b32_e32 v100, v100, v153
	v_cndmask_b32_e64 v153, 0, 1, s[60:61]
	v_and_b32_e32 v101, exec_lo, v101
	v_xor_b32_e32 v154, vcc_lo, v16
	v_cmp_ne_u32_e32 vcc, 0, v153
	v_readlane_b32 s60, v172, 20
	v_and_b32_e32 v101, v101, v154
	v_xor_b32_e32 v153, vcc_hi, v17
	v_xor_b32_e32 v154, vcc_lo, v18
	v_readlane_b32 s61, v172, 21
	v_and_b32_e32 v100, v100, v153
	v_and_b32_e32 v153, v101, v154
	v_cndmask_b32_e64 v101, 0, 1, s[60:61]
	v_cmp_ne_u32_e32 vcc, 0, v101
	v_xor_b32_e32 v101, vcc_hi, v19
	v_xor_b32_e32 v154, vcc_lo, v20
	; wave barrier
	s_waitcnt lgkmcnt(0)
	ds_read_b32 v152, v137 offset:32
	v_and_b32_e32 v101, v100, v101
	v_and_b32_e32 v100, v153, v154
	v_mbcnt_lo_u32_b32 v153, v100, 0
	v_mbcnt_hi_u32_b32 v153, v101, v153
	v_cmp_eq_u32_e32 vcc, 0, v153
	v_cmp_ne_u64_e64 s[60:61], 0, v[100:101]
	s_and_b64 vcc, s[60:61], vcc
	; wave barrier
	s_and_saveexec_b64 s[60:61], vcc
	s_cbranch_execz .LBB83_8
; %bb.7:                                ;   in Loop: Header=BB83_2 Depth=1
	v_bcnt_u32_b32 v100, v100, 0
	v_bcnt_u32_b32 v100, v101, v100
	s_waitcnt lgkmcnt(0)
	v_add_u32_e32 v100, v152, v100
	ds_write_b32 v137, v100 offset:32
.LBB83_8:                               ;   in Loop: Header=BB83_2 Depth=1
	s_or_b64 exec, exec, s[60:61]
	v_readlane_b32 s60, v172, 22
	v_cndmask_b32_e64 v100, 0, 1, s[28:29]
	v_readlane_b32 s61, v172, 23
	v_cmp_ne_u32_e32 vcc, 0, v100
	v_cndmask_b32_e64 v153, 0, 1, s[60:61]
	v_xor_b32_e32 v100, vcc_hi, v109
	v_xor_b32_e32 v101, vcc_lo, v103
	v_cmp_ne_u32_e32 vcc, 0, v153
	v_readlane_b32 s60, v172, 24
	v_and_b32_e32 v100, exec_hi, v100
	v_xor_b32_e32 v153, vcc_hi, v21
	v_readlane_b32 s61, v172, 25
	v_and_b32_e32 v100, v100, v153
	v_cndmask_b32_e64 v153, 0, 1, s[60:61]
	v_and_b32_e32 v101, exec_lo, v101
	v_xor_b32_e32 v154, vcc_lo, v22
	v_cmp_ne_u32_e32 vcc, 0, v153
	v_readlane_b32 s60, v172, 26
	v_and_b32_e32 v101, v101, v154
	v_xor_b32_e32 v153, vcc_hi, v23
	v_xor_b32_e32 v154, vcc_lo, v24
	v_readlane_b32 s61, v172, 27
	v_and_b32_e32 v100, v100, v153
	v_and_b32_e32 v153, v101, v154
	v_cndmask_b32_e64 v101, 0, 1, s[60:61]
	v_cmp_ne_u32_e32 vcc, 0, v101
	v_xor_b32_e32 v101, vcc_hi, v25
	v_xor_b32_e32 v154, vcc_lo, v26
	; wave barrier
	s_waitcnt lgkmcnt(0)
	ds_read_b32 v152, v138 offset:32
	v_and_b32_e32 v101, v100, v101
	v_and_b32_e32 v100, v153, v154
	v_mbcnt_lo_u32_b32 v153, v100, 0
	v_mbcnt_hi_u32_b32 v153, v101, v153
	v_cmp_eq_u32_e32 vcc, 0, v153
	v_cmp_ne_u64_e64 s[60:61], 0, v[100:101]
	s_and_b64 vcc, s[60:61], vcc
	; wave barrier
	s_and_saveexec_b64 s[60:61], vcc
	s_cbranch_execz .LBB83_10
; %bb.9:                                ;   in Loop: Header=BB83_2 Depth=1
	v_bcnt_u32_b32 v100, v100, 0
	v_bcnt_u32_b32 v100, v101, v100
	s_waitcnt lgkmcnt(0)
	v_add_u32_e32 v100, v152, v100
	ds_write_b32 v138, v100 offset:32
.LBB83_10:                              ;   in Loop: Header=BB83_2 Depth=1
	s_or_b64 exec, exec, s[60:61]
	v_readlane_b32 s60, v172, 28
	v_cndmask_b32_e64 v100, 0, 1, s[30:31]
	v_readlane_b32 s61, v172, 29
	v_cmp_ne_u32_e32 vcc, 0, v100
	v_cndmask_b32_e64 v153, 0, 1, s[60:61]
	v_xor_b32_e32 v100, vcc_hi, v110
	v_xor_b32_e32 v101, vcc_lo, v104
	v_cmp_ne_u32_e32 vcc, 0, v153
	v_readlane_b32 s60, v172, 30
	v_and_b32_e32 v100, exec_hi, v100
	v_xor_b32_e32 v153, vcc_hi, v27
	v_readlane_b32 s61, v172, 31
	v_and_b32_e32 v100, v100, v153
	v_cndmask_b32_e64 v153, 0, 1, s[60:61]
	v_and_b32_e32 v101, exec_lo, v101
	v_xor_b32_e32 v154, vcc_lo, v28
	v_cmp_ne_u32_e32 vcc, 0, v153
	v_readlane_b32 s60, v172, 32
	v_and_b32_e32 v101, v101, v154
	v_xor_b32_e32 v153, vcc_hi, v29
	v_xor_b32_e32 v154, vcc_lo, v30
	v_readlane_b32 s61, v172, 33
	v_and_b32_e32 v100, v100, v153
	v_and_b32_e32 v153, v101, v154
	v_cndmask_b32_e64 v101, 0, 1, s[60:61]
	v_cmp_ne_u32_e32 vcc, 0, v101
	v_xor_b32_e32 v101, vcc_hi, v31
	v_xor_b32_e32 v154, vcc_lo, v32
	; wave barrier
	s_waitcnt lgkmcnt(0)
	ds_read_b32 v152, v140 offset:32
	v_and_b32_e32 v101, v100, v101
	v_and_b32_e32 v100, v153, v154
	v_mbcnt_lo_u32_b32 v153, v100, 0
	v_mbcnt_hi_u32_b32 v153, v101, v153
	v_cmp_eq_u32_e32 vcc, 0, v153
	v_cmp_ne_u64_e64 s[60:61], 0, v[100:101]
	s_and_b64 vcc, s[60:61], vcc
	; wave barrier
	s_and_saveexec_b64 s[60:61], vcc
	s_cbranch_execz .LBB83_12
; %bb.11:                               ;   in Loop: Header=BB83_2 Depth=1
	v_bcnt_u32_b32 v100, v100, 0
	v_bcnt_u32_b32 v100, v101, v100
	s_waitcnt lgkmcnt(0)
	v_add_u32_e32 v100, v152, v100
	ds_write_b32 v140, v100 offset:32
.LBB83_12:                              ;   in Loop: Header=BB83_2 Depth=1
	s_or_b64 exec, exec, s[60:61]
	v_readlane_b32 s60, v172, 34
	v_cndmask_b32_e64 v100, 0, 1, s[34:35]
	v_readlane_b32 s61, v172, 35
	v_cmp_ne_u32_e32 vcc, 0, v100
	v_cndmask_b32_e64 v153, 0, 1, s[60:61]
	v_xor_b32_e32 v100, vcc_hi, v111
	v_xor_b32_e32 v101, vcc_lo, v105
	v_cmp_ne_u32_e32 vcc, 0, v153
	v_readlane_b32 s60, v172, 36
	v_and_b32_e32 v100, exec_hi, v100
	v_xor_b32_e32 v153, vcc_hi, v33
	v_readlane_b32 s61, v172, 37
	v_and_b32_e32 v100, v100, v153
	v_cndmask_b32_e64 v153, 0, 1, s[60:61]
	v_and_b32_e32 v101, exec_lo, v101
	v_xor_b32_e32 v154, vcc_lo, v34
	v_cmp_ne_u32_e32 vcc, 0, v153
	v_readlane_b32 s60, v172, 38
	v_and_b32_e32 v101, v101, v154
	v_xor_b32_e32 v153, vcc_hi, v35
	v_xor_b32_e32 v154, vcc_lo, v36
	v_readlane_b32 s61, v172, 39
	v_and_b32_e32 v100, v100, v153
	v_and_b32_e32 v153, v101, v154
	v_cndmask_b32_e64 v101, 0, 1, s[60:61]
	v_cmp_ne_u32_e32 vcc, 0, v101
	v_xor_b32_e32 v101, vcc_hi, v37
	v_xor_b32_e32 v154, vcc_lo, v38
	; wave barrier
	s_waitcnt lgkmcnt(0)
	ds_read_b32 v152, v141 offset:32
	v_and_b32_e32 v101, v100, v101
	v_and_b32_e32 v100, v153, v154
	v_mbcnt_lo_u32_b32 v153, v100, 0
	v_mbcnt_hi_u32_b32 v153, v101, v153
	v_cmp_eq_u32_e32 vcc, 0, v153
	v_cmp_ne_u64_e64 s[60:61], 0, v[100:101]
	s_and_b64 vcc, s[60:61], vcc
	; wave barrier
	s_and_saveexec_b64 s[60:61], vcc
	s_cbranch_execz .LBB83_14
; %bb.13:                               ;   in Loop: Header=BB83_2 Depth=1
	v_bcnt_u32_b32 v100, v100, 0
	v_bcnt_u32_b32 v100, v101, v100
	s_waitcnt lgkmcnt(0)
	v_add_u32_e32 v100, v152, v100
	ds_write_b32 v141, v100 offset:32
.LBB83_14:                              ;   in Loop: Header=BB83_2 Depth=1
	;; [unrolled: 49-line block ×4, first 2 shown]
	s_or_b64 exec, exec, s[60:61]
	; wave barrier
	s_waitcnt lgkmcnt(0)
	s_barrier
	ds_read_b32 v100, v133 offset:32
	s_waitcnt lgkmcnt(0)
	s_nop 0
	v_mov_b32_dpp v101, v100 row_shr:1 row_mask:0xf bank_mask:0xf
	v_cndmask_b32_e64 v101, v101, 0, s[4:5]
	v_add_u32_e32 v100, v101, v100
	s_nop 1
	v_mov_b32_dpp v101, v100 row_shr:2 row_mask:0xf bank_mask:0xf
	v_cndmask_b32_e64 v101, 0, v101, s[6:7]
	v_add_u32_e32 v100, v100, v101
	;; [unrolled: 4-line block ×4, first 2 shown]
	s_nop 1
	v_mov_b32_dpp v101, v100 row_bcast:15 row_mask:0xf bank_mask:0xf
	v_cndmask_b32_e64 v101, v101, 0, s[12:13]
	v_add_u32_e32 v100, v100, v101
	s_nop 1
	v_mov_b32_dpp v101, v100 row_bcast:31 row_mask:0xf bank_mask:0xf
	v_cndmask_b32_e64 v101, 0, v101, s[14:15]
	v_add_u32_e32 v100, v100, v101
	s_and_saveexec_b64 s[60:61], s[94:95]
	s_xor_b64 s[60:61], exec, s[60:61]
	s_cbranch_execz .LBB83_20
; %bb.19:                               ;   in Loop: Header=BB83_2 Depth=1
	ds_write_b32 v132, v100
.LBB83_20:                              ;   in Loop: Header=BB83_2 Depth=1
	s_or_b64 exec, exec, s[60:61]
	s_waitcnt lgkmcnt(0)
	s_barrier
	s_and_saveexec_b64 s[60:61], s[0:1]
	s_cbranch_execz .LBB83_22
; %bb.21:                               ;   in Loop: Header=BB83_2 Depth=1
	ds_read_b32 v101, v133
	s_waitcnt lgkmcnt(0)
	s_nop 0
	v_mov_b32_dpp v152, v101 row_shr:1 row_mask:0xf bank_mask:0xf
	v_cndmask_b32_e64 v152, v152, 0, s[16:17]
	v_add_u32_e32 v101, v152, v101
	s_nop 1
	v_mov_b32_dpp v152, v101 row_shr:2 row_mask:0xf bank_mask:0xf
	v_cndmask_b32_e64 v152, 0, v152, s[18:19]
	v_add_u32_e32 v101, v101, v152
	;; [unrolled: 4-line block ×3, first 2 shown]
	ds_write_b32 v133, v101
.LBB83_22:                              ;   in Loop: Header=BB83_2 Depth=1
	s_or_b64 exec, exec, s[60:61]
	v_mov_b32_e32 v101, 0
	s_waitcnt lgkmcnt(0)
	s_barrier
	s_and_saveexec_b64 s[60:61], s[2:3]
	s_cbranch_execz .LBB83_24
; %bb.23:                               ;   in Loop: Header=BB83_2 Depth=1
	ds_read_b32 v101, v134
.LBB83_24:                              ;   in Loop: Header=BB83_2 Depth=1
	s_or_b64 exec, exec, s[60:61]
	s_waitcnt lgkmcnt(0)
	v_add_u32_e32 v100, v101, v100
	ds_bpermute_b32 v100, v151, v100
	v_readlane_b32 s60, v172, 52
	v_readlane_b32 s61, v172, 53
	v_cndmask_b32_e64 v152, 0, 1, s[60:61]
	v_readlane_b32 s60, v172, 54
	s_waitcnt lgkmcnt(0)
	v_cndmask_b32_e64 v100, v100, v101, s[58:59]
	ds_write_b32 v133, v100 offset:32
	v_cndmask_b32_e64 v100, 0, 1, s[40:41]
	v_cmp_ne_u32_e32 vcc, 0, v100
	v_xor_b32_e32 v100, vcc_hi, v117
	v_xor_b32_e32 v101, vcc_lo, v116
	v_cmp_ne_u32_e32 vcc, 0, v152
	v_and_b32_e32 v100, exec_hi, v100
	v_xor_b32_e32 v152, vcc_hi, v51
	v_readlane_b32 s61, v172, 55
	v_and_b32_e32 v100, v100, v152
	v_cndmask_b32_e64 v152, 0, 1, s[60:61]
	v_and_b32_e32 v101, exec_lo, v101
	v_xor_b32_e32 v153, vcc_lo, v52
	v_cmp_ne_u32_e32 vcc, 0, v152
	v_readlane_b32 s60, v172, 56
	v_and_b32_e32 v101, v101, v153
	v_xor_b32_e32 v152, vcc_hi, v53
	v_xor_b32_e32 v153, vcc_lo, v54
	v_readlane_b32 s61, v172, 57
	v_and_b32_e32 v100, v100, v152
	v_and_b32_e32 v152, v101, v153
	v_cndmask_b32_e64 v101, 0, 1, s[60:61]
	v_cmp_ne_u32_e32 vcc, 0, v101
	v_xor_b32_e32 v101, vcc_hi, v55
	v_xor_b32_e32 v153, vcc_lo, v56
	v_and_b32_e32 v101, v100, v101
	v_and_b32_e32 v100, v152, v153
	v_mbcnt_lo_u32_b32 v152, v100, 0
	v_mbcnt_hi_u32_b32 v152, v101, v152
	v_cmp_eq_u32_e32 vcc, 0, v152
	v_cmp_ne_u64_e64 s[60:61], 0, v[100:101]
	s_and_b64 vcc, s[60:61], vcc
	s_waitcnt lgkmcnt(0)
	s_barrier
	ds_write_b32 v133, v4 offset:32
	s_waitcnt lgkmcnt(0)
	s_barrier
	s_waitcnt lgkmcnt(0)
	; wave barrier
	s_and_saveexec_b64 s[60:61], vcc
	s_cbranch_execz .LBB83_26
; %bb.25:                               ;   in Loop: Header=BB83_2 Depth=1
	v_bcnt_u32_b32 v100, v100, 0
	v_bcnt_u32_b32 v100, v101, v100
	ds_write_b32 v139, v100 offset:32
.LBB83_26:                              ;   in Loop: Header=BB83_2 Depth=1
	s_or_b64 exec, exec, s[60:61]
	v_readlane_b32 s60, v172, 58
	v_cndmask_b32_e64 v100, 0, 1, s[42:43]
	v_readlane_b32 s61, v172, 59
	v_cmp_ne_u32_e32 vcc, 0, v100
	v_cndmask_b32_e64 v154, 0, 1, s[60:61]
	v_xor_b32_e32 v100, vcc_hi, v119
	v_xor_b32_e32 v101, vcc_lo, v118
	v_cmp_ne_u32_e32 vcc, 0, v154
	v_readlane_b32 s60, v172, 60
	v_and_b32_e32 v100, exec_hi, v100
	v_xor_b32_e32 v154, vcc_hi, v57
	v_readlane_b32 s61, v172, 61
	v_and_b32_e32 v100, v100, v154
	v_cndmask_b32_e64 v154, 0, 1, s[60:61]
	v_and_b32_e32 v101, exec_lo, v101
	v_xor_b32_e32 v155, vcc_lo, v58
	v_cmp_ne_u32_e32 vcc, 0, v154
	v_readlane_b32 s60, v172, 62
	v_and_b32_e32 v101, v101, v155
	v_xor_b32_e32 v154, vcc_hi, v59
	v_xor_b32_e32 v155, vcc_lo, v60
	v_readlane_b32 s61, v172, 63
	v_and_b32_e32 v100, v100, v154
	v_and_b32_e32 v154, v101, v155
	v_cndmask_b32_e64 v101, 0, 1, s[60:61]
	v_cmp_ne_u32_e32 vcc, 0, v101
	v_xor_b32_e32 v101, vcc_hi, v61
	v_xor_b32_e32 v155, vcc_lo, v62
	; wave barrier
	ds_read_b32 v153, v142 offset:32
	v_and_b32_e32 v101, v100, v101
	v_and_b32_e32 v100, v154, v155
	v_mbcnt_lo_u32_b32 v154, v100, 0
	v_mbcnt_hi_u32_b32 v154, v101, v154
	v_cmp_eq_u32_e32 vcc, 0, v154
	v_cmp_ne_u64_e64 s[60:61], 0, v[100:101]
	s_and_b64 vcc, s[60:61], vcc
	; wave barrier
	s_and_saveexec_b64 s[60:61], vcc
	s_cbranch_execz .LBB83_28
; %bb.27:                               ;   in Loop: Header=BB83_2 Depth=1
	v_bcnt_u32_b32 v100, v100, 0
	v_bcnt_u32_b32 v100, v101, v100
	s_waitcnt lgkmcnt(0)
	v_add_u32_e32 v100, v153, v100
	ds_write_b32 v142, v100 offset:32
.LBB83_28:                              ;   in Loop: Header=BB83_2 Depth=1
	s_or_b64 exec, exec, s[60:61]
	v_readlane_b32 s60, v171, 0
	v_cndmask_b32_e64 v100, 0, 1, s[44:45]
	v_readlane_b32 s61, v171, 1
	v_cmp_ne_u32_e32 vcc, 0, v100
	v_cndmask_b32_e64 v156, 0, 1, s[60:61]
	v_xor_b32_e32 v100, vcc_hi, v121
	v_xor_b32_e32 v101, vcc_lo, v120
	v_cmp_ne_u32_e32 vcc, 0, v156
	v_and_b32_e32 v100, exec_hi, v100
	v_xor_b32_e32 v156, vcc_hi, v63
	v_and_b32_e32 v100, v100, v156
	v_cndmask_b32_e64 v156, 0, 1, s[62:63]
	v_and_b32_e32 v101, exec_lo, v101
	v_xor_b32_e32 v157, vcc_lo, v64
	v_cmp_ne_u32_e32 vcc, 0, v156
	v_and_b32_e32 v101, v101, v157
	v_xor_b32_e32 v156, vcc_hi, v65
	v_xor_b32_e32 v157, vcc_lo, v66
	v_and_b32_e32 v100, v100, v156
	v_and_b32_e32 v156, v101, v157
	v_cndmask_b32_e64 v101, 0, 1, s[64:65]
	v_cmp_ne_u32_e32 vcc, 0, v101
	v_xor_b32_e32 v101, vcc_hi, v67
	v_xor_b32_e32 v157, vcc_lo, v68
	; wave barrier
	ds_read_b32 v155, v144 offset:32
	v_and_b32_e32 v101, v100, v101
	v_and_b32_e32 v100, v156, v157
	v_mbcnt_lo_u32_b32 v156, v100, 0
	v_mbcnt_hi_u32_b32 v156, v101, v156
	v_cmp_eq_u32_e32 vcc, 0, v156
	v_cmp_ne_u64_e64 s[60:61], 0, v[100:101]
	s_and_b64 vcc, s[60:61], vcc
	; wave barrier
	s_and_saveexec_b64 s[60:61], vcc
	s_cbranch_execz .LBB83_30
; %bb.29:                               ;   in Loop: Header=BB83_2 Depth=1
	v_bcnt_u32_b32 v100, v100, 0
	v_bcnt_u32_b32 v100, v101, v100
	s_waitcnt lgkmcnt(0)
	v_add_u32_e32 v100, v155, v100
	ds_write_b32 v144, v100 offset:32
.LBB83_30:                              ;   in Loop: Header=BB83_2 Depth=1
	s_or_b64 exec, exec, s[60:61]
	v_cndmask_b32_e64 v100, 0, 1, s[46:47]
	v_cmp_ne_u32_e32 vcc, 0, v100
	v_cndmask_b32_e64 v158, 0, 1, s[66:67]
	v_xor_b32_e32 v100, vcc_hi, v123
	v_xor_b32_e32 v101, vcc_lo, v122
	v_cmp_ne_u32_e32 vcc, 0, v158
	v_and_b32_e32 v100, exec_hi, v100
	v_xor_b32_e32 v158, vcc_hi, v69
	v_and_b32_e32 v100, v100, v158
	v_cndmask_b32_e64 v158, 0, 1, s[68:69]
	v_and_b32_e32 v101, exec_lo, v101
	v_xor_b32_e32 v159, vcc_lo, v70
	v_cmp_ne_u32_e32 vcc, 0, v158
	v_and_b32_e32 v101, v101, v159
	v_xor_b32_e32 v158, vcc_hi, v71
	v_xor_b32_e32 v159, vcc_lo, v72
	v_and_b32_e32 v100, v100, v158
	v_and_b32_e32 v158, v101, v159
	v_cndmask_b32_e64 v101, 0, 1, s[70:71]
	v_cmp_ne_u32_e32 vcc, 0, v101
	v_xor_b32_e32 v101, vcc_hi, v73
	v_xor_b32_e32 v159, vcc_lo, v74
	; wave barrier
	ds_read_b32 v157, v146 offset:32
	v_and_b32_e32 v101, v100, v101
	v_and_b32_e32 v100, v158, v159
	v_mbcnt_lo_u32_b32 v158, v100, 0
	v_mbcnt_hi_u32_b32 v158, v101, v158
	v_cmp_eq_u32_e32 vcc, 0, v158
	v_cmp_ne_u64_e64 s[60:61], 0, v[100:101]
	s_and_b64 vcc, s[60:61], vcc
	; wave barrier
	s_and_saveexec_b64 s[60:61], vcc
	s_cbranch_execz .LBB83_32
; %bb.31:                               ;   in Loop: Header=BB83_2 Depth=1
	v_bcnt_u32_b32 v100, v100, 0
	v_bcnt_u32_b32 v100, v101, v100
	s_waitcnt lgkmcnt(0)
	v_add_u32_e32 v100, v157, v100
	ds_write_b32 v146, v100 offset:32
.LBB83_32:                              ;   in Loop: Header=BB83_2 Depth=1
	s_or_b64 exec, exec, s[60:61]
	v_cndmask_b32_e64 v100, 0, 1, s[48:49]
	;; [unrolled: 42-line block ×5, first 2 shown]
	v_cmp_ne_u32_e32 vcc, 0, v100
	v_cndmask_b32_e64 v166, 0, 1, s[90:91]
	v_xor_b32_e32 v100, vcc_hi, v131
	v_xor_b32_e32 v101, vcc_lo, v130
	v_cmp_ne_u32_e32 vcc, 0, v166
	v_and_b32_e32 v100, exec_hi, v100
	v_xor_b32_e32 v166, vcc_hi, v91
	v_and_b32_e32 v100, v100, v166
	v_cndmask_b32_e64 v166, 0, 1, s[92:93]
	v_and_b32_e32 v101, exec_lo, v101
	v_xor_b32_e32 v167, vcc_lo, v94
	v_cmp_ne_u32_e32 vcc, 0, v166
	v_and_b32_e32 v101, v101, v167
	v_xor_b32_e32 v166, vcc_hi, v93
	v_xor_b32_e32 v167, vcc_lo, v96
	v_and_b32_e32 v100, v100, v166
	v_and_b32_e32 v166, v101, v167
	v_cndmask_b32_e64 v101, 0, 1, s[56:57]
	v_cmp_ne_u32_e32 vcc, 0, v101
	v_xor_b32_e32 v101, vcc_hi, v95
	v_xor_b32_e32 v167, vcc_lo, v98
	; wave barrier
	ds_read_b32 v165, v150 offset:32
	v_and_b32_e32 v101, v100, v101
	v_and_b32_e32 v100, v166, v167
	v_mbcnt_lo_u32_b32 v166, v100, 0
	v_mbcnt_hi_u32_b32 v166, v101, v166
	v_cmp_eq_u32_e32 vcc, 0, v166
	v_cmp_ne_u64_e64 s[60:61], 0, v[100:101]
	s_and_b64 vcc, s[60:61], vcc
	; wave barrier
	s_and_saveexec_b64 s[60:61], vcc
	s_cbranch_execz .LBB83_40
; %bb.39:                               ;   in Loop: Header=BB83_2 Depth=1
	v_bcnt_u32_b32 v100, v100, 0
	v_bcnt_u32_b32 v100, v101, v100
	s_waitcnt lgkmcnt(0)
	v_add_u32_e32 v100, v165, v100
	ds_write_b32 v150, v100 offset:32
.LBB83_40:                              ;   in Loop: Header=BB83_2 Depth=1
	s_or_b64 exec, exec, s[60:61]
	; wave barrier
	s_waitcnt lgkmcnt(0)
	s_barrier
	ds_read_b32 v100, v133 offset:32
	s_waitcnt lgkmcnt(0)
	s_nop 0
	v_mov_b32_dpp v101, v100 row_shr:1 row_mask:0xf bank_mask:0xf
	v_cndmask_b32_e64 v101, v101, 0, s[4:5]
	v_add_u32_e32 v100, v101, v100
	s_nop 1
	v_mov_b32_dpp v101, v100 row_shr:2 row_mask:0xf bank_mask:0xf
	v_cndmask_b32_e64 v101, 0, v101, s[6:7]
	v_add_u32_e32 v100, v100, v101
	;; [unrolled: 4-line block ×4, first 2 shown]
	s_nop 1
	v_mov_b32_dpp v101, v100 row_bcast:15 row_mask:0xf bank_mask:0xf
	v_cndmask_b32_e64 v101, v101, 0, s[12:13]
	v_add_u32_e32 v100, v100, v101
	s_nop 1
	v_mov_b32_dpp v101, v100 row_bcast:31 row_mask:0xf bank_mask:0xf
	v_cndmask_b32_e64 v101, 0, v101, s[14:15]
	v_add_u32_e32 v100, v100, v101
	s_and_saveexec_b64 s[60:61], s[94:95]
	s_cbranch_execz .LBB83_42
; %bb.41:                               ;   in Loop: Header=BB83_2 Depth=1
	ds_write_b32 v132, v100
.LBB83_42:                              ;   in Loop: Header=BB83_2 Depth=1
	s_or_b64 exec, exec, s[60:61]
	s_waitcnt lgkmcnt(0)
	s_barrier
	s_and_saveexec_b64 s[60:61], s[0:1]
	s_cbranch_execz .LBB83_44
; %bb.43:                               ;   in Loop: Header=BB83_2 Depth=1
	ds_read_b32 v101, v133
	s_waitcnt lgkmcnt(0)
	s_nop 0
	v_mov_b32_dpp v167, v101 row_shr:1 row_mask:0xf bank_mask:0xf
	v_cndmask_b32_e64 v167, v167, 0, s[16:17]
	v_add_u32_e32 v101, v167, v101
	s_nop 1
	v_mov_b32_dpp v167, v101 row_shr:2 row_mask:0xf bank_mask:0xf
	v_cndmask_b32_e64 v167, 0, v167, s[18:19]
	v_add_u32_e32 v101, v101, v167
	;; [unrolled: 4-line block ×3, first 2 shown]
	ds_write_b32 v133, v101
.LBB83_44:                              ;   in Loop: Header=BB83_2 Depth=1
	s_or_b64 exec, exec, s[60:61]
	v_mov_b32_e32 v101, 0
	s_waitcnt lgkmcnt(0)
	s_barrier
	s_and_saveexec_b64 s[60:61], s[2:3]
	s_cbranch_execz .LBB83_1
; %bb.45:                               ;   in Loop: Header=BB83_2 Depth=1
	ds_read_b32 v101, v134
	s_branch .LBB83_1
.LBB83_46:
	ds_read_b32 v4, v150 offset:32
	ds_read_b32 v5, v149 offset:32
	;; [unrolled: 1-line block ×8, first 2 shown]
	v_readlane_b32 s0, v171, 2
	v_readlane_b32 s4, v172, 0
	v_readlane_b32 s1, v171, 3
	v_readlane_b32 s6, v172, 2
	v_readlane_b32 s7, v172, 3
	s_lshl_b64 s[0:1], s[0:1], 2
	s_mov_b64 s[2:3], s[6:7]
	s_add_u32 s0, s2, s0
	s_addc_u32 s1, s3, s1
	v_lshlrev_b32_e32 v10, 2, v2
	s_waitcnt lgkmcnt(1)
	v_add3_u32 v1, v154, v153, v0
	s_waitcnt lgkmcnt(0)
	v_add_u32_e32 v0, v9, v152
	v_add3_u32 v3, v158, v157, v3
	v_add3_u32 v2, v156, v155, v8
	global_store_dwordx4 v10, v[0:3], s[0:1]
	v_readlane_b32 s5, v172, 1
	v_add3_u32 v1, v162, v161, v6
	v_add3_u32 v0, v160, v159, v7
	;; [unrolled: 1-line block ×4, first 2 shown]
	global_store_dwordx4 v10, v[0:3], s[0:1] offset:16
	s_endpgm
	.section	.rodata,"a",@progbits
	.p2align	6, 0x0
	.amdhsa_kernel _Z11rank_kernelIhLj4ELb0EL18RadixRankAlgorithm2ELj512ELj8ELj10EEvPKT_Pi
		.amdhsa_group_segment_fixed_size 2080
		.amdhsa_private_segment_fixed_size 0
		.amdhsa_kernarg_size 272
		.amdhsa_user_sgpr_count 6
		.amdhsa_user_sgpr_private_segment_buffer 1
		.amdhsa_user_sgpr_dispatch_ptr 0
		.amdhsa_user_sgpr_queue_ptr 0
		.amdhsa_user_sgpr_kernarg_segment_ptr 1
		.amdhsa_user_sgpr_dispatch_id 0
		.amdhsa_user_sgpr_flat_scratch_init 0
		.amdhsa_user_sgpr_kernarg_preload_length 0
		.amdhsa_user_sgpr_kernarg_preload_offset 0
		.amdhsa_user_sgpr_private_segment_size 0
		.amdhsa_uses_dynamic_stack 0
		.amdhsa_system_sgpr_private_segment_wavefront_offset 0
		.amdhsa_system_sgpr_workgroup_id_x 1
		.amdhsa_system_sgpr_workgroup_id_y 0
		.amdhsa_system_sgpr_workgroup_id_z 0
		.amdhsa_system_sgpr_workgroup_info 0
		.amdhsa_system_vgpr_workitem_id 2
		.amdhsa_next_free_vgpr 173
		.amdhsa_next_free_sgpr 96
		.amdhsa_accum_offset 176
		.amdhsa_reserve_vcc 1
		.amdhsa_reserve_flat_scratch 0
		.amdhsa_float_round_mode_32 0
		.amdhsa_float_round_mode_16_64 0
		.amdhsa_float_denorm_mode_32 3
		.amdhsa_float_denorm_mode_16_64 3
		.amdhsa_dx10_clamp 1
		.amdhsa_ieee_mode 1
		.amdhsa_fp16_overflow 0
		.amdhsa_tg_split 0
		.amdhsa_exception_fp_ieee_invalid_op 0
		.amdhsa_exception_fp_denorm_src 0
		.amdhsa_exception_fp_ieee_div_zero 0
		.amdhsa_exception_fp_ieee_overflow 0
		.amdhsa_exception_fp_ieee_underflow 0
		.amdhsa_exception_fp_ieee_inexact 0
		.amdhsa_exception_int_div_zero 0
	.end_amdhsa_kernel
	.section	.text._Z11rank_kernelIhLj4ELb0EL18RadixRankAlgorithm2ELj512ELj8ELj10EEvPKT_Pi,"axG",@progbits,_Z11rank_kernelIhLj4ELb0EL18RadixRankAlgorithm2ELj512ELj8ELj10EEvPKT_Pi,comdat
.Lfunc_end83:
	.size	_Z11rank_kernelIhLj4ELb0EL18RadixRankAlgorithm2ELj512ELj8ELj10EEvPKT_Pi, .Lfunc_end83-_Z11rank_kernelIhLj4ELb0EL18RadixRankAlgorithm2ELj512ELj8ELj10EEvPKT_Pi
                                        ; -- End function
	.section	.AMDGPU.csdata,"",@progbits
; Kernel info:
; codeLenInByte = 7608
; NumSgprs: 100
; NumVgprs: 173
; NumAgprs: 0
; TotalNumVgprs: 173
; ScratchSize: 0
; MemoryBound: 0
; FloatMode: 240
; IeeeMode: 1
; LDSByteSize: 2080 bytes/workgroup (compile time only)
; SGPRBlocks: 12
; VGPRBlocks: 21
; NumSGPRsForWavesPerEU: 100
; NumVGPRsForWavesPerEU: 173
; AccumOffset: 176
; Occupancy: 2
; WaveLimiterHint : 0
; COMPUTE_PGM_RSRC2:SCRATCH_EN: 0
; COMPUTE_PGM_RSRC2:USER_SGPR: 6
; COMPUTE_PGM_RSRC2:TRAP_HANDLER: 0
; COMPUTE_PGM_RSRC2:TGID_X_EN: 1
; COMPUTE_PGM_RSRC2:TGID_Y_EN: 0
; COMPUTE_PGM_RSRC2:TGID_Z_EN: 0
; COMPUTE_PGM_RSRC2:TIDIG_COMP_CNT: 2
; COMPUTE_PGM_RSRC3_GFX90A:ACCUM_OFFSET: 43
; COMPUTE_PGM_RSRC3_GFX90A:TG_SPLIT: 0
	.section	.text._Z11rank_kernelIhLj4ELb0EL18RadixRankAlgorithm0ELj512ELj16ELj10EEvPKT_Pi,"axG",@progbits,_Z11rank_kernelIhLj4ELb0EL18RadixRankAlgorithm0ELj512ELj16ELj10EEvPKT_Pi,comdat
	.protected	_Z11rank_kernelIhLj4ELb0EL18RadixRankAlgorithm0ELj512ELj16ELj10EEvPKT_Pi ; -- Begin function _Z11rank_kernelIhLj4ELb0EL18RadixRankAlgorithm0ELj512ELj16ELj10EEvPKT_Pi
	.globl	_Z11rank_kernelIhLj4ELb0EL18RadixRankAlgorithm0ELj512ELj16ELj10EEvPKT_Pi
	.p2align	8
	.type	_Z11rank_kernelIhLj4ELb0EL18RadixRankAlgorithm0ELj512ELj16ELj10EEvPKT_Pi,@function
_Z11rank_kernelIhLj4ELb0EL18RadixRankAlgorithm0ELj512ELj16ELj10EEvPKT_Pi: ; @_Z11rank_kernelIhLj4ELb0EL18RadixRankAlgorithm0ELj512ELj16ELj10EEvPKT_Pi
; %bb.0:
	s_load_dwordx4 s[24:27], s[4:5], 0x0
	s_lshl_b32 s28, s6, 13
	v_lshlrev_b32_e32 v6, 4, v0
	v_mbcnt_lo_u32_b32 v8, -1, 0
	v_mbcnt_hi_u32_b32 v11, -1, v8
	s_waitcnt lgkmcnt(0)
	s_add_u32 s0, s24, s28
	s_addc_u32 s1, s25, 0
	global_load_dwordx4 v[2:5], v6, s[0:1]
	v_and_b32_e32 v8, 15, v11
	v_cmp_eq_u32_e64 s[0:1], 0, v8
	v_cmp_lt_u32_e64 s[2:3], 1, v8
	v_cmp_lt_u32_e64 s[4:5], 3, v8
	;; [unrolled: 1-line block ×3, first 2 shown]
	v_and_b32_e32 v8, 16, v11
	v_cmp_eq_u32_e64 s[8:9], 0, v8
	v_or_b32_e32 v8, 63, v0
	v_cmp_eq_u32_e64 s[12:13], v8, v0
	v_add_u32_e32 v8, -1, v11
	v_and_b32_e32 v9, 64, v11
	v_cmp_lt_i32_e32 vcc, v8, v9
	s_mov_b32 s29, 0
	v_cmp_lt_u32_e64 s[10:11], 31, v11
	v_cndmask_b32_e32 v8, v8, v11, vcc
	v_cmp_eq_u32_e64 s[18:19], 0, v11
	v_lshrrev_b32_e32 v9, 4, v0
	v_lshlrev_b32_e32 v10, 2, v0
	v_and_b32_e32 v11, 7, v11
	v_mov_b32_e32 v1, 0
	v_lshlrev_b32_e32 v7, 5, v0
	v_cmp_gt_u32_e64 s[14:15], 8, v0
	v_cmp_lt_u32_e64 s[16:17], 63, v0
	v_lshlrev_b32_e32 v8, 2, v8
	v_and_b32_e32 v9, 28, v9
	v_cmp_eq_u32_e64 s[20:21], 0, v11
	v_cmp_lt_u32_e64 s[22:23], 1, v11
	v_cmp_lt_u32_e64 s[24:25], 3, v11
	v_or_b32_e32 v11, 0x800, v10
	v_or_b32_e32 v12, 0x1000, v10
	;; [unrolled: 1-line block ×7, first 2 shown]
	s_mov_b64 s[30:31], -1
	s_movk_i32 s33, 0xe00
	s_mov_b32 s38, s29
	s_branch .LBB84_2
.LBB84_1:                               ;   in Loop: Header=BB84_2 Depth=1
	s_add_i32 s38, s38, 1
	s_cmp_eq_u32 s38, 10
	s_cbranch_scc1 .LBB84_18
.LBB84_2:                               ; =>This Loop Header: Depth=1
                                        ;     Child Loop BB84_4 Depth 2
	s_mov_b64 s[34:35], -1
	s_mov_b32 s39, 28
	s_branch .LBB84_4
.LBB84_3:                               ;   in Loop: Header=BB84_4 Depth=2
	s_or_b64 exec, exec, s[36:37]
	s_waitcnt lgkmcnt(0)
	v_add_u32_e32 v50, v51, v50
	ds_bpermute_b32 v50, v8, v50
	ds_read_b32 v52, v1 offset:16412
	s_xor_b64 s[34:35], s[34:35], -1
	s_mov_b32 s39, 24
	s_andn2_b64 vcc, exec, s[34:35]
	s_waitcnt lgkmcnt(1)
	v_cndmask_b32_e64 v53, v50, v51, s[18:19]
	ds_read2_b32 v[50:51], v7 offset1:1
	s_waitcnt lgkmcnt(1)
	v_lshl_add_u32 v56, v52, 16, v53
	ds_read2_b32 v[52:53], v7 offset0:2 offset1:3
	ds_read2_b32 v[54:55], v7 offset0:4 offset1:5
	ds_read_b32 v57, v7 offset:24
	s_mov_b64 s[34:35], 0
	s_waitcnt lgkmcnt(3)
	v_add_u32_e32 v50, v56, v50
	ds_write2_b32 v7, v56, v50 offset1:1
	v_add_u32_e32 v50, v51, v50
	s_waitcnt lgkmcnt(3)
	v_add_u32_e32 v51, v52, v50
	ds_write2_b32 v7, v50, v51 offset0:2 offset1:3
	v_add_u32_e32 v50, v53, v51
	s_waitcnt lgkmcnt(3)
	v_add_u32_e32 v51, v54, v50
	ds_write2_b32 v7, v50, v51 offset0:4 offset1:5
	;; [unrolled: 4-line block ×3, first 2 shown]
	s_waitcnt lgkmcnt(0)
	s_barrier
	s_cbranch_vccz .LBB84_1
.LBB84_4:                               ;   Parent Loop BB84_2 Depth=1
                                        ; =>  This Inner Loop Header: Depth=2
	ds_write_b32 v10, v1
	ds_write_b32 v11, v1
	;; [unrolled: 1-line block ×4, first 2 shown]
	s_and_saveexec_b64 s[36:37], s[30:31]
	s_cbranch_execnz .LBB84_15
; %bb.5:                                ;   in Loop: Header=BB84_4 Depth=2
	s_or_b64 exec, exec, s[36:37]
	s_and_saveexec_b64 s[36:37], s[30:31]
	s_cbranch_execnz .LBB84_16
.LBB84_6:                               ;   in Loop: Header=BB84_4 Depth=2
	s_or_b64 exec, exec, s[36:37]
	s_and_saveexec_b64 s[36:37], s[30:31]
	s_cbranch_execnz .LBB84_17
.LBB84_7:                               ;   in Loop: Header=BB84_4 Depth=2
	s_or_b64 exec, exec, s[36:37]
	s_and_saveexec_b64 s[36:37], s[30:31]
	s_cbranch_execz .LBB84_9
.LBB84_8:                               ;   in Loop: Header=BB84_4 Depth=2
	ds_write_b32 v17, v1
.LBB84_9:                               ;   in Loop: Header=BB84_4 Depth=2
	s_or_b64 exec, exec, s[36:37]
	s_waitcnt vmcnt(0)
	v_lshlrev_b32_sdwa v18, s39, v2 dst_sel:DWORD dst_unused:UNUSED_PAD src0_sel:DWORD src1_sel:BYTE_0
	v_lshrrev_b32_e32 v19, 19, v18
	v_and_or_b32 v19, v19, s33, v0
	v_alignbit_b32 v18, v19, v18, 31
	v_lshlrev_b32_e32 v20, 1, v18
	ds_read_u16 v18, v20
	v_lshlrev_b32_sdwa v19, s39, v2 dst_sel:DWORD dst_unused:UNUSED_PAD src0_sel:DWORD src1_sel:BYTE_1
	v_lshrrev_b32_e32 v21, 19, v19
	v_and_or_b32 v21, v21, s33, v0
	v_alignbit_b32 v19, v21, v19, 31
	s_waitcnt lgkmcnt(0)
	v_add_u16_e32 v21, 1, v18
	ds_write_b16 v20, v21
	v_lshlrev_b32_e32 v22, 1, v19
	ds_read_u16 v19, v22
	v_lshlrev_b32_sdwa v21, s39, v2 dst_sel:DWORD dst_unused:UNUSED_PAD src0_sel:DWORD src1_sel:BYTE_2
	v_lshrrev_b32_e32 v23, 19, v21
	v_and_or_b32 v23, v23, s33, v0
	v_alignbit_b32 v21, v23, v21, 31
	s_waitcnt lgkmcnt(0)
	v_add_u16_e32 v24, 1, v19
	ds_write_b16 v22, v24
	v_lshlrev_b32_e32 v24, 1, v21
	ds_read_u16 v21, v24
	v_lshlrev_b32_sdwa v23, s39, v2 dst_sel:DWORD dst_unused:UNUSED_PAD src0_sel:DWORD src1_sel:BYTE_3
	v_lshrrev_b32_e32 v25, 19, v23
	v_and_or_b32 v25, v25, s33, v0
	v_alignbit_b32 v23, v25, v23, 31
	s_waitcnt lgkmcnt(0)
	v_add_u16_e32 v26, 1, v21
	ds_write_b16 v24, v26
	v_lshlrev_b32_e32 v26, 1, v23
	ds_read_u16 v23, v26
	v_lshlrev_b32_sdwa v25, s39, v3 dst_sel:DWORD dst_unused:UNUSED_PAD src0_sel:DWORD src1_sel:BYTE_0
	s_waitcnt lgkmcnt(0)
	v_add_u16_e32 v27, 1, v23
	ds_write_b16 v26, v27
	v_lshrrev_b32_e32 v27, 19, v25
	v_and_or_b32 v27, v27, s33, v0
	v_alignbit_b32 v25, v27, v25, 31
	v_lshlrev_b32_e32 v28, 1, v25
	ds_read_u16 v25, v28
	s_waitcnt lgkmcnt(0)
	v_add_u16_e32 v27, 1, v25
	ds_write_b16 v28, v27
	v_lshlrev_b32_sdwa v27, s39, v3 dst_sel:DWORD dst_unused:UNUSED_PAD src0_sel:DWORD src1_sel:BYTE_1
	v_lshrrev_b32_e32 v29, 19, v27
	v_and_or_b32 v29, v29, s33, v0
	v_alignbit_b32 v27, v29, v27, 31
	v_lshlrev_b32_e32 v30, 1, v27
	ds_read_u16 v27, v30
	s_waitcnt lgkmcnt(0)
	v_add_u16_e32 v29, 1, v27
	ds_write_b16 v30, v29
	v_lshlrev_b32_sdwa v29, s39, v3 dst_sel:DWORD dst_unused:UNUSED_PAD src0_sel:DWORD src1_sel:BYTE_2
	v_lshrrev_b32_e32 v31, 19, v29
	v_and_or_b32 v31, v31, s33, v0
	v_alignbit_b32 v29, v31, v29, 31
	v_lshlrev_b32_e32 v32, 1, v29
	ds_read_u16 v29, v32
	s_waitcnt lgkmcnt(0)
	v_add_u16_e32 v31, 1, v29
	ds_write_b16 v32, v31
	v_lshlrev_b32_sdwa v31, s39, v3 dst_sel:DWORD dst_unused:UNUSED_PAD src0_sel:DWORD src1_sel:BYTE_3
	v_lshrrev_b32_e32 v33, 19, v31
	v_and_or_b32 v33, v33, s33, v0
	v_alignbit_b32 v31, v33, v31, 31
	v_lshlrev_b32_e32 v34, 1, v31
	ds_read_u16 v31, v34
	s_waitcnt lgkmcnt(0)
	v_add_u16_e32 v33, 1, v31
	ds_write_b16 v34, v33
	v_lshlrev_b32_sdwa v33, s39, v4 dst_sel:DWORD dst_unused:UNUSED_PAD src0_sel:DWORD src1_sel:BYTE_0
	v_lshrrev_b32_e32 v35, 19, v33
	v_and_or_b32 v35, v35, s33, v0
	v_alignbit_b32 v33, v35, v33, 31
	v_lshlrev_b32_e32 v36, 1, v33
	ds_read_u16 v33, v36
	s_waitcnt lgkmcnt(0)
	v_add_u16_e32 v35, 1, v33
	ds_write_b16 v36, v35
	v_lshlrev_b32_sdwa v35, s39, v4 dst_sel:DWORD dst_unused:UNUSED_PAD src0_sel:DWORD src1_sel:BYTE_1
	v_lshrrev_b32_e32 v37, 19, v35
	v_and_or_b32 v37, v37, s33, v0
	v_alignbit_b32 v35, v37, v35, 31
	v_lshlrev_b32_e32 v38, 1, v35
	ds_read_u16 v35, v38
	s_waitcnt lgkmcnt(0)
	v_add_u16_e32 v37, 1, v35
	ds_write_b16 v38, v37
	v_lshlrev_b32_sdwa v37, s39, v4 dst_sel:DWORD dst_unused:UNUSED_PAD src0_sel:DWORD src1_sel:BYTE_2
	v_lshrrev_b32_e32 v39, 19, v37
	v_and_or_b32 v39, v39, s33, v0
	v_alignbit_b32 v37, v39, v37, 31
	v_lshlrev_b32_e32 v40, 1, v37
	ds_read_u16 v37, v40
	s_waitcnt lgkmcnt(0)
	v_add_u16_e32 v39, 1, v37
	ds_write_b16 v40, v39
	v_lshlrev_b32_sdwa v39, s39, v4 dst_sel:DWORD dst_unused:UNUSED_PAD src0_sel:DWORD src1_sel:BYTE_3
	v_lshrrev_b32_e32 v41, 19, v39
	v_and_or_b32 v41, v41, s33, v0
	v_alignbit_b32 v39, v41, v39, 31
	v_lshlrev_b32_e32 v42, 1, v39
	ds_read_u16 v39, v42
	s_waitcnt lgkmcnt(0)
	v_add_u16_e32 v41, 1, v39
	ds_write_b16 v42, v41
	v_lshlrev_b32_sdwa v41, s39, v5 dst_sel:DWORD dst_unused:UNUSED_PAD src0_sel:DWORD src1_sel:BYTE_0
	v_lshrrev_b32_e32 v43, 19, v41
	v_and_or_b32 v43, v43, s33, v0
	v_alignbit_b32 v41, v43, v41, 31
	v_lshlrev_b32_e32 v44, 1, v41
	ds_read_u16 v41, v44
	s_waitcnt lgkmcnt(0)
	v_add_u16_e32 v43, 1, v41
	ds_write_b16 v44, v43
	v_lshlrev_b32_sdwa v43, s39, v5 dst_sel:DWORD dst_unused:UNUSED_PAD src0_sel:DWORD src1_sel:BYTE_1
	v_lshrrev_b32_e32 v45, 19, v43
	v_and_or_b32 v45, v45, s33, v0
	v_alignbit_b32 v43, v45, v43, 31
	v_lshlrev_b32_e32 v46, 1, v43
	ds_read_u16 v43, v46
	s_waitcnt lgkmcnt(0)
	v_add_u16_e32 v45, 1, v43
	ds_write_b16 v46, v45
	v_lshlrev_b32_sdwa v45, s39, v5 dst_sel:DWORD dst_unused:UNUSED_PAD src0_sel:DWORD src1_sel:BYTE_2
	v_lshrrev_b32_e32 v47, 19, v45
	v_and_or_b32 v47, v47, s33, v0
	v_alignbit_b32 v45, v47, v45, 31
	v_lshlrev_b32_e32 v48, 1, v45
	ds_read_u16 v45, v48
	s_waitcnt lgkmcnt(0)
	v_add_u16_e32 v47, 1, v45
	ds_write_b16 v48, v47
	v_lshlrev_b32_sdwa v47, s39, v5 dst_sel:DWORD dst_unused:UNUSED_PAD src0_sel:DWORD src1_sel:BYTE_3
	v_lshrrev_b32_e32 v49, 19, v47
	v_and_or_b32 v49, v49, s33, v0
	v_alignbit_b32 v47, v49, v47, 31
	v_lshlrev_b32_e32 v49, 1, v47
	ds_read_u16 v47, v49
	s_waitcnt lgkmcnt(0)
	v_add_u16_e32 v50, 1, v47
	ds_write_b16 v49, v50
	s_waitcnt lgkmcnt(0)
	s_barrier
	ds_read2_b32 v[50:51], v7 offset1:1
	ds_read2_b32 v[52:53], v7 offset0:2 offset1:3
	ds_read2_b32 v[54:55], v7 offset0:4 offset1:5
	;; [unrolled: 1-line block ×3, first 2 shown]
	s_waitcnt lgkmcnt(3)
	v_add_u32_e32 v50, v51, v50
	s_waitcnt lgkmcnt(2)
	v_add3_u32 v50, v50, v52, v53
	s_waitcnt lgkmcnt(1)
	v_add3_u32 v50, v50, v54, v55
	;; [unrolled: 2-line block ×3, first 2 shown]
	s_nop 1
	v_mov_b32_dpp v51, v50 row_shr:1 row_mask:0xf bank_mask:0xf
	v_cndmask_b32_e64 v51, v51, 0, s[0:1]
	v_add_u32_e32 v50, v51, v50
	s_nop 1
	v_mov_b32_dpp v51, v50 row_shr:2 row_mask:0xf bank_mask:0xf
	v_cndmask_b32_e64 v51, 0, v51, s[2:3]
	v_add_u32_e32 v50, v50, v51
	;; [unrolled: 4-line block ×4, first 2 shown]
	s_nop 1
	v_mov_b32_dpp v51, v50 row_bcast:15 row_mask:0xf bank_mask:0xf
	v_cndmask_b32_e64 v51, v51, 0, s[8:9]
	v_add_u32_e32 v50, v50, v51
	s_nop 1
	v_mov_b32_dpp v51, v50 row_bcast:31 row_mask:0xf bank_mask:0xf
	v_cndmask_b32_e64 v51, 0, v51, s[10:11]
	v_add_u32_e32 v50, v50, v51
	s_and_saveexec_b64 s[36:37], s[12:13]
	s_cbranch_execz .LBB84_11
; %bb.10:                               ;   in Loop: Header=BB84_4 Depth=2
	ds_write_b32 v9, v50 offset:16384
.LBB84_11:                              ;   in Loop: Header=BB84_4 Depth=2
	s_or_b64 exec, exec, s[36:37]
	s_waitcnt lgkmcnt(0)
	s_barrier
	s_and_saveexec_b64 s[36:37], s[14:15]
	s_cbranch_execz .LBB84_13
; %bb.12:                               ;   in Loop: Header=BB84_4 Depth=2
	ds_read_b32 v51, v10 offset:16384
	s_waitcnt lgkmcnt(0)
	s_nop 0
	v_mov_b32_dpp v52, v51 row_shr:1 row_mask:0xf bank_mask:0xf
	v_cndmask_b32_e64 v52, v52, 0, s[20:21]
	v_add_u32_e32 v51, v52, v51
	s_nop 1
	v_mov_b32_dpp v52, v51 row_shr:2 row_mask:0xf bank_mask:0xf
	v_cndmask_b32_e64 v52, 0, v52, s[22:23]
	v_add_u32_e32 v51, v51, v52
	;; [unrolled: 4-line block ×3, first 2 shown]
	ds_write_b32 v10, v51 offset:16384
.LBB84_13:                              ;   in Loop: Header=BB84_4 Depth=2
	s_or_b64 exec, exec, s[36:37]
	v_mov_b32_e32 v51, 0
	s_waitcnt lgkmcnt(0)
	s_barrier
	s_and_saveexec_b64 s[36:37], s[16:17]
	s_cbranch_execz .LBB84_3
; %bb.14:                               ;   in Loop: Header=BB84_4 Depth=2
	ds_read_b32 v51, v9 offset:16380
	s_branch .LBB84_3
.LBB84_15:                              ;   in Loop: Header=BB84_4 Depth=2
	ds_write_b32 v14, v1
	s_or_b64 exec, exec, s[36:37]
	s_and_saveexec_b64 s[36:37], s[30:31]
	s_cbranch_execz .LBB84_6
.LBB84_16:                              ;   in Loop: Header=BB84_4 Depth=2
	ds_write_b32 v15, v1
	s_or_b64 exec, exec, s[36:37]
	s_and_saveexec_b64 s[36:37], s[30:31]
	s_cbranch_execz .LBB84_7
.LBB84_17:                              ;   in Loop: Header=BB84_4 Depth=2
	ds_write_b32 v16, v1
	s_or_b64 exec, exec, s[36:37]
	s_and_saveexec_b64 s[36:37], s[30:31]
	s_cbranch_execnz .LBB84_8
	s_branch .LBB84_9
.LBB84_18:
	ds_read_u16 v0, v49
	ds_read_u16 v1, v48
	;; [unrolled: 1-line block ×16, first 2 shown]
	s_lshl_b64 s[0:1], s[28:29], 2
	s_add_u32 s0, s26, s0
	s_waitcnt lgkmcnt(14)
	v_add_u32_sdwa v2, v1, v45 dst_sel:DWORD dst_unused:UNUSED_PAD src0_sel:DWORD src1_sel:WORD_0
	s_waitcnt lgkmcnt(13)
	v_add_u32_sdwa v1, v4, v43 dst_sel:DWORD dst_unused:UNUSED_PAD src0_sel:DWORD src1_sel:WORD_0
	;; [unrolled: 2-line block ×6, first 2 shown]
	s_addc_u32 s1, s27, s1
	v_lshlrev_b32_e32 v4, 2, v6
	v_add_u32_sdwa v3, v0, v47 dst_sel:DWORD dst_unused:UNUSED_PAD src0_sel:DWORD src1_sel:WORD_0
	v_add_u32_sdwa v0, v5, v41 dst_sel:DWORD dst_unused:UNUSED_PAD src0_sel:DWORD src1_sel:WORD_0
	;; [unrolled: 1-line block ×10, first 2 shown]
	global_store_dwordx4 v4, v[20:23], s[0:1]
	global_store_dwordx4 v4, v[12:15], s[0:1] offset:16
	global_store_dwordx4 v4, v[8:11], s[0:1] offset:32
	;; [unrolled: 1-line block ×3, first 2 shown]
	s_endpgm
	.section	.rodata,"a",@progbits
	.p2align	6, 0x0
	.amdhsa_kernel _Z11rank_kernelIhLj4ELb0EL18RadixRankAlgorithm0ELj512ELj16ELj10EEvPKT_Pi
		.amdhsa_group_segment_fixed_size 16416
		.amdhsa_private_segment_fixed_size 0
		.amdhsa_kernarg_size 16
		.amdhsa_user_sgpr_count 6
		.amdhsa_user_sgpr_private_segment_buffer 1
		.amdhsa_user_sgpr_dispatch_ptr 0
		.amdhsa_user_sgpr_queue_ptr 0
		.amdhsa_user_sgpr_kernarg_segment_ptr 1
		.amdhsa_user_sgpr_dispatch_id 0
		.amdhsa_user_sgpr_flat_scratch_init 0
		.amdhsa_user_sgpr_kernarg_preload_length 0
		.amdhsa_user_sgpr_kernarg_preload_offset 0
		.amdhsa_user_sgpr_private_segment_size 0
		.amdhsa_uses_dynamic_stack 0
		.amdhsa_system_sgpr_private_segment_wavefront_offset 0
		.amdhsa_system_sgpr_workgroup_id_x 1
		.amdhsa_system_sgpr_workgroup_id_y 0
		.amdhsa_system_sgpr_workgroup_id_z 0
		.amdhsa_system_sgpr_workgroup_info 0
		.amdhsa_system_vgpr_workitem_id 0
		.amdhsa_next_free_vgpr 58
		.amdhsa_next_free_sgpr 40
		.amdhsa_accum_offset 60
		.amdhsa_reserve_vcc 1
		.amdhsa_reserve_flat_scratch 0
		.amdhsa_float_round_mode_32 0
		.amdhsa_float_round_mode_16_64 0
		.amdhsa_float_denorm_mode_32 3
		.amdhsa_float_denorm_mode_16_64 3
		.amdhsa_dx10_clamp 1
		.amdhsa_ieee_mode 1
		.amdhsa_fp16_overflow 0
		.amdhsa_tg_split 0
		.amdhsa_exception_fp_ieee_invalid_op 0
		.amdhsa_exception_fp_denorm_src 0
		.amdhsa_exception_fp_ieee_div_zero 0
		.amdhsa_exception_fp_ieee_overflow 0
		.amdhsa_exception_fp_ieee_underflow 0
		.amdhsa_exception_fp_ieee_inexact 0
		.amdhsa_exception_int_div_zero 0
	.end_amdhsa_kernel
	.section	.text._Z11rank_kernelIhLj4ELb0EL18RadixRankAlgorithm0ELj512ELj16ELj10EEvPKT_Pi,"axG",@progbits,_Z11rank_kernelIhLj4ELb0EL18RadixRankAlgorithm0ELj512ELj16ELj10EEvPKT_Pi,comdat
.Lfunc_end84:
	.size	_Z11rank_kernelIhLj4ELb0EL18RadixRankAlgorithm0ELj512ELj16ELj10EEvPKT_Pi, .Lfunc_end84-_Z11rank_kernelIhLj4ELb0EL18RadixRankAlgorithm0ELj512ELj16ELj10EEvPKT_Pi
                                        ; -- End function
	.section	.AMDGPU.csdata,"",@progbits
; Kernel info:
; codeLenInByte = 2276
; NumSgprs: 44
; NumVgprs: 58
; NumAgprs: 0
; TotalNumVgprs: 58
; ScratchSize: 0
; MemoryBound: 0
; FloatMode: 240
; IeeeMode: 1
; LDSByteSize: 16416 bytes/workgroup (compile time only)
; SGPRBlocks: 5
; VGPRBlocks: 7
; NumSGPRsForWavesPerEU: 44
; NumVGPRsForWavesPerEU: 58
; AccumOffset: 60
; Occupancy: 6
; WaveLimiterHint : 0
; COMPUTE_PGM_RSRC2:SCRATCH_EN: 0
; COMPUTE_PGM_RSRC2:USER_SGPR: 6
; COMPUTE_PGM_RSRC2:TRAP_HANDLER: 0
; COMPUTE_PGM_RSRC2:TGID_X_EN: 1
; COMPUTE_PGM_RSRC2:TGID_Y_EN: 0
; COMPUTE_PGM_RSRC2:TGID_Z_EN: 0
; COMPUTE_PGM_RSRC2:TIDIG_COMP_CNT: 0
; COMPUTE_PGM_RSRC3_GFX90A:ACCUM_OFFSET: 14
; COMPUTE_PGM_RSRC3_GFX90A:TG_SPLIT: 0
	.section	.text._Z11rank_kernelIhLj4ELb0EL18RadixRankAlgorithm1ELj512ELj16ELj10EEvPKT_Pi,"axG",@progbits,_Z11rank_kernelIhLj4ELb0EL18RadixRankAlgorithm1ELj512ELj16ELj10EEvPKT_Pi,comdat
	.protected	_Z11rank_kernelIhLj4ELb0EL18RadixRankAlgorithm1ELj512ELj16ELj10EEvPKT_Pi ; -- Begin function _Z11rank_kernelIhLj4ELb0EL18RadixRankAlgorithm1ELj512ELj16ELj10EEvPKT_Pi
	.globl	_Z11rank_kernelIhLj4ELb0EL18RadixRankAlgorithm1ELj512ELj16ELj10EEvPKT_Pi
	.p2align	8
	.type	_Z11rank_kernelIhLj4ELb0EL18RadixRankAlgorithm1ELj512ELj16ELj10EEvPKT_Pi,@function
_Z11rank_kernelIhLj4ELb0EL18RadixRankAlgorithm1ELj512ELj16ELj10EEvPKT_Pi: ; @_Z11rank_kernelIhLj4ELb0EL18RadixRankAlgorithm1ELj512ELj16ELj10EEvPKT_Pi
; %bb.0:
	s_load_dwordx4 s[24:27], s[4:5], 0x0
	s_lshl_b32 s28, s6, 13
	v_lshlrev_b32_e32 v6, 4, v0
	v_mbcnt_lo_u32_b32 v8, -1, 0
	v_mbcnt_hi_u32_b32 v8, -1, v8
	s_waitcnt lgkmcnt(0)
	s_add_u32 s0, s24, s28
	s_addc_u32 s1, s25, 0
	global_load_dwordx4 v[2:5], v6, s[0:1]
	v_and_b32_e32 v9, 15, v8
	v_cmp_eq_u32_e64 s[0:1], 0, v9
	v_cmp_lt_u32_e64 s[2:3], 1, v9
	v_cmp_lt_u32_e64 s[4:5], 3, v9
	;; [unrolled: 1-line block ×3, first 2 shown]
	v_and_b32_e32 v9, 16, v8
	v_cmp_eq_u32_e64 s[8:9], 0, v9
	v_or_b32_e32 v9, 63, v0
	v_cmp_eq_u32_e64 s[12:13], v9, v0
	v_add_u32_e32 v9, -1, v8
	v_and_b32_e32 v10, 64, v8
	v_cmp_lt_i32_e32 vcc, v9, v10
	v_cndmask_b32_e32 v9, v9, v8, vcc
	s_mov_b32 s29, 0
	v_cmp_lt_u32_e64 s[10:11], 31, v8
	v_lshlrev_b32_e32 v16, 2, v9
	v_cmp_eq_u32_e64 s[18:19], 0, v8
	v_lshrrev_b32_e32 v9, 4, v0
	v_lshlrev_b32_e32 v18, 2, v0
	v_and_b32_e32 v8, 7, v8
	v_mov_b32_e32 v1, 0
	v_lshlrev_b32_e32 v7, 5, v0
	v_cmp_gt_u32_e64 s[14:15], 8, v0
	v_cmp_lt_u32_e64 s[16:17], 63, v0
	v_and_b32_e32 v17, 28, v9
	v_cmp_eq_u32_e64 s[20:21], 0, v8
	v_cmp_lt_u32_e64 s[22:23], 1, v8
	v_cmp_lt_u32_e64 s[24:25], 3, v8
	v_or_b32_e32 v19, 0x800, v18
	v_or_b32_e32 v20, 0x1000, v18
	;; [unrolled: 1-line block ×7, first 2 shown]
	s_mov_b64 s[30:31], -1
	s_movk_i32 s33, 0xe00
	s_mov_b32 s38, s29
	s_branch .LBB85_2
.LBB85_1:                               ;   in Loop: Header=BB85_2 Depth=1
	s_add_i32 s38, s38, 1
	s_cmp_eq_u32 s38, 10
	s_cbranch_scc1 .LBB85_18
.LBB85_2:                               ; =>This Loop Header: Depth=1
                                        ;     Child Loop BB85_4 Depth 2
	s_mov_b64 s[34:35], -1
	s_mov_b32 s39, 28
	s_branch .LBB85_4
.LBB85_3:                               ;   in Loop: Header=BB85_4 Depth=2
	s_or_b64 exec, exec, s[36:37]
	s_waitcnt lgkmcnt(0)
	v_add_u32_e32 v9, v58, v9
	ds_bpermute_b32 v9, v16, v9
	ds_read_b32 v59, v1 offset:16412
	s_xor_b64 s[34:35], s[34:35], -1
	s_mov_b32 s39, 24
	s_andn2_b64 vcc, exec, s[34:35]
	s_waitcnt lgkmcnt(1)
	v_cndmask_b32_e64 v9, v9, v58, s[18:19]
	s_waitcnt lgkmcnt(0)
	v_lshl_add_u32 v9, v59, 16, v9
	v_add_u32_e32 v14, v9, v14
	v_add_u32_e32 v15, v14, v15
	ds_write2_b32 v7, v9, v14 offset1:1
	v_add_u32_e32 v9, v15, v12
	v_add_u32_e32 v12, v9, v13
	ds_write2_b32 v7, v15, v9 offset0:2 offset1:3
	v_add_u32_e32 v9, v12, v10
	v_add_u32_e32 v10, v9, v11
	;; [unrolled: 1-line block ×3, first 2 shown]
	s_mov_b64 s[34:35], 0
	ds_write2_b32 v7, v12, v9 offset0:4 offset1:5
	ds_write2_b32 v7, v10, v8 offset0:6 offset1:7
	s_waitcnt lgkmcnt(0)
	s_barrier
	s_cbranch_vccz .LBB85_1
.LBB85_4:                               ;   Parent Loop BB85_2 Depth=1
                                        ; =>  This Inner Loop Header: Depth=2
	ds_write_b32 v18, v1
	ds_write_b32 v19, v1
	;; [unrolled: 1-line block ×4, first 2 shown]
	s_and_saveexec_b64 s[36:37], s[30:31]
	s_cbranch_execnz .LBB85_15
; %bb.5:                                ;   in Loop: Header=BB85_4 Depth=2
	s_or_b64 exec, exec, s[36:37]
	s_and_saveexec_b64 s[36:37], s[30:31]
	s_cbranch_execnz .LBB85_16
.LBB85_6:                               ;   in Loop: Header=BB85_4 Depth=2
	s_or_b64 exec, exec, s[36:37]
	s_and_saveexec_b64 s[36:37], s[30:31]
	s_cbranch_execnz .LBB85_17
.LBB85_7:                               ;   in Loop: Header=BB85_4 Depth=2
	s_or_b64 exec, exec, s[36:37]
	s_and_saveexec_b64 s[36:37], s[30:31]
	s_cbranch_execz .LBB85_9
.LBB85_8:                               ;   in Loop: Header=BB85_4 Depth=2
	ds_write_b32 v25, v1
.LBB85_9:                               ;   in Loop: Header=BB85_4 Depth=2
	s_or_b64 exec, exec, s[36:37]
	s_waitcnt vmcnt(0)
	v_lshlrev_b32_sdwa v8, s39, v2 dst_sel:DWORD dst_unused:UNUSED_PAD src0_sel:DWORD src1_sel:BYTE_0
	v_lshrrev_b32_e32 v9, 19, v8
	v_and_or_b32 v9, v9, s33, v0
	v_alignbit_b32 v8, v9, v8, 31
	v_lshlrev_b32_e32 v28, 1, v8
	ds_read_u16 v26, v28
	v_lshlrev_b32_sdwa v8, s39, v2 dst_sel:DWORD dst_unused:UNUSED_PAD src0_sel:DWORD src1_sel:BYTE_1
	v_lshrrev_b32_e32 v9, 19, v8
	v_and_or_b32 v9, v9, s33, v0
	v_alignbit_b32 v8, v9, v8, 31
	s_waitcnt lgkmcnt(0)
	v_add_u16_e32 v9, 1, v26
	ds_write_b16 v28, v9
	v_lshlrev_b32_e32 v30, 1, v8
	ds_read_u16 v27, v30
	v_lshlrev_b32_sdwa v8, s39, v2 dst_sel:DWORD dst_unused:UNUSED_PAD src0_sel:DWORD src1_sel:BYTE_2
	v_lshrrev_b32_e32 v9, 19, v8
	v_and_or_b32 v9, v9, s33, v0
	v_alignbit_b32 v8, v9, v8, 31
	s_waitcnt lgkmcnt(0)
	v_add_u16_e32 v10, 1, v27
	ds_write_b16 v30, v10
	v_lshlrev_b32_e32 v32, 1, v8
	ds_read_u16 v29, v32
	v_lshlrev_b32_sdwa v8, s39, v2 dst_sel:DWORD dst_unused:UNUSED_PAD src0_sel:DWORD src1_sel:BYTE_3
	v_lshrrev_b32_e32 v9, 19, v8
	v_and_or_b32 v9, v9, s33, v0
	v_alignbit_b32 v8, v9, v8, 31
	s_waitcnt lgkmcnt(0)
	v_add_u16_e32 v10, 1, v29
	ds_write_b16 v32, v10
	v_lshlrev_b32_e32 v34, 1, v8
	ds_read_u16 v31, v34
	v_lshlrev_b32_sdwa v8, s39, v3 dst_sel:DWORD dst_unused:UNUSED_PAD src0_sel:DWORD src1_sel:BYTE_0
	s_waitcnt lgkmcnt(0)
	v_add_u16_e32 v9, 1, v31
	ds_write_b16 v34, v9
	v_lshrrev_b32_e32 v9, 19, v8
	v_and_or_b32 v9, v9, s33, v0
	v_alignbit_b32 v8, v9, v8, 31
	v_lshlrev_b32_e32 v36, 1, v8
	ds_read_u16 v33, v36
	s_waitcnt lgkmcnt(0)
	v_add_u16_e32 v8, 1, v33
	ds_write_b16 v36, v8
	v_lshlrev_b32_sdwa v8, s39, v3 dst_sel:DWORD dst_unused:UNUSED_PAD src0_sel:DWORD src1_sel:BYTE_1
	v_lshrrev_b32_e32 v9, 19, v8
	v_and_or_b32 v9, v9, s33, v0
	v_alignbit_b32 v8, v9, v8, 31
	v_lshlrev_b32_e32 v38, 1, v8
	ds_read_u16 v35, v38
	s_waitcnt lgkmcnt(0)
	v_add_u16_e32 v8, 1, v35
	ds_write_b16 v38, v8
	v_lshlrev_b32_sdwa v8, s39, v3 dst_sel:DWORD dst_unused:UNUSED_PAD src0_sel:DWORD src1_sel:BYTE_2
	v_lshrrev_b32_e32 v9, 19, v8
	v_and_or_b32 v9, v9, s33, v0
	v_alignbit_b32 v8, v9, v8, 31
	v_lshlrev_b32_e32 v40, 1, v8
	ds_read_u16 v37, v40
	s_waitcnt lgkmcnt(0)
	v_add_u16_e32 v8, 1, v37
	ds_write_b16 v40, v8
	v_lshlrev_b32_sdwa v8, s39, v3 dst_sel:DWORD dst_unused:UNUSED_PAD src0_sel:DWORD src1_sel:BYTE_3
	v_lshrrev_b32_e32 v9, 19, v8
	v_and_or_b32 v9, v9, s33, v0
	v_alignbit_b32 v8, v9, v8, 31
	v_lshlrev_b32_e32 v42, 1, v8
	ds_read_u16 v39, v42
	s_waitcnt lgkmcnt(0)
	v_add_u16_e32 v8, 1, v39
	ds_write_b16 v42, v8
	v_lshlrev_b32_sdwa v8, s39, v4 dst_sel:DWORD dst_unused:UNUSED_PAD src0_sel:DWORD src1_sel:BYTE_0
	v_lshrrev_b32_e32 v9, 19, v8
	v_and_or_b32 v9, v9, s33, v0
	v_alignbit_b32 v8, v9, v8, 31
	v_lshlrev_b32_e32 v44, 1, v8
	ds_read_u16 v41, v44
	s_waitcnt lgkmcnt(0)
	v_add_u16_e32 v8, 1, v41
	ds_write_b16 v44, v8
	v_lshlrev_b32_sdwa v8, s39, v4 dst_sel:DWORD dst_unused:UNUSED_PAD src0_sel:DWORD src1_sel:BYTE_1
	v_lshrrev_b32_e32 v9, 19, v8
	v_and_or_b32 v9, v9, s33, v0
	v_alignbit_b32 v8, v9, v8, 31
	v_lshlrev_b32_e32 v46, 1, v8
	ds_read_u16 v43, v46
	s_waitcnt lgkmcnt(0)
	v_add_u16_e32 v8, 1, v43
	ds_write_b16 v46, v8
	v_lshlrev_b32_sdwa v8, s39, v4 dst_sel:DWORD dst_unused:UNUSED_PAD src0_sel:DWORD src1_sel:BYTE_2
	v_lshrrev_b32_e32 v9, 19, v8
	v_and_or_b32 v9, v9, s33, v0
	v_alignbit_b32 v8, v9, v8, 31
	v_lshlrev_b32_e32 v48, 1, v8
	ds_read_u16 v45, v48
	s_waitcnt lgkmcnt(0)
	v_add_u16_e32 v8, 1, v45
	ds_write_b16 v48, v8
	v_lshlrev_b32_sdwa v8, s39, v4 dst_sel:DWORD dst_unused:UNUSED_PAD src0_sel:DWORD src1_sel:BYTE_3
	v_lshrrev_b32_e32 v9, 19, v8
	v_and_or_b32 v9, v9, s33, v0
	v_alignbit_b32 v8, v9, v8, 31
	v_lshlrev_b32_e32 v50, 1, v8
	ds_read_u16 v47, v50
	s_waitcnt lgkmcnt(0)
	v_add_u16_e32 v8, 1, v47
	ds_write_b16 v50, v8
	v_lshlrev_b32_sdwa v8, s39, v5 dst_sel:DWORD dst_unused:UNUSED_PAD src0_sel:DWORD src1_sel:BYTE_0
	v_lshrrev_b32_e32 v9, 19, v8
	v_and_or_b32 v9, v9, s33, v0
	v_alignbit_b32 v8, v9, v8, 31
	v_lshlrev_b32_e32 v52, 1, v8
	ds_read_u16 v49, v52
	s_waitcnt lgkmcnt(0)
	v_add_u16_e32 v8, 1, v49
	ds_write_b16 v52, v8
	v_lshlrev_b32_sdwa v8, s39, v5 dst_sel:DWORD dst_unused:UNUSED_PAD src0_sel:DWORD src1_sel:BYTE_1
	v_lshrrev_b32_e32 v9, 19, v8
	v_and_or_b32 v9, v9, s33, v0
	v_alignbit_b32 v8, v9, v8, 31
	v_lshlrev_b32_e32 v54, 1, v8
	ds_read_u16 v51, v54
	s_waitcnt lgkmcnt(0)
	v_add_u16_e32 v8, 1, v51
	ds_write_b16 v54, v8
	v_lshlrev_b32_sdwa v8, s39, v5 dst_sel:DWORD dst_unused:UNUSED_PAD src0_sel:DWORD src1_sel:BYTE_2
	v_lshrrev_b32_e32 v9, 19, v8
	v_and_or_b32 v9, v9, s33, v0
	v_alignbit_b32 v8, v9, v8, 31
	v_lshlrev_b32_e32 v56, 1, v8
	ds_read_u16 v53, v56
	s_waitcnt lgkmcnt(0)
	v_add_u16_e32 v8, 1, v53
	ds_write_b16 v56, v8
	v_lshlrev_b32_sdwa v8, s39, v5 dst_sel:DWORD dst_unused:UNUSED_PAD src0_sel:DWORD src1_sel:BYTE_3
	v_lshrrev_b32_e32 v9, 19, v8
	v_and_or_b32 v9, v9, s33, v0
	v_alignbit_b32 v8, v9, v8, 31
	v_lshlrev_b32_e32 v57, 1, v8
	ds_read_u16 v55, v57
	s_waitcnt lgkmcnt(0)
	v_add_u16_e32 v8, 1, v55
	ds_write_b16 v57, v8
	s_waitcnt lgkmcnt(0)
	s_barrier
	ds_read2_b32 v[14:15], v7 offset1:1
	ds_read2_b32 v[12:13], v7 offset0:2 offset1:3
	ds_read2_b32 v[10:11], v7 offset0:4 offset1:5
	;; [unrolled: 1-line block ×3, first 2 shown]
	s_waitcnt lgkmcnt(3)
	v_add_u32_e32 v58, v15, v14
	s_waitcnt lgkmcnt(2)
	v_add3_u32 v58, v58, v12, v13
	s_waitcnt lgkmcnt(1)
	v_add3_u32 v58, v58, v10, v11
	;; [unrolled: 2-line block ×3, first 2 shown]
	s_nop 1
	v_mov_b32_dpp v58, v9 row_shr:1 row_mask:0xf bank_mask:0xf
	v_cndmask_b32_e64 v58, v58, 0, s[0:1]
	v_add_u32_e32 v9, v58, v9
	s_nop 1
	v_mov_b32_dpp v58, v9 row_shr:2 row_mask:0xf bank_mask:0xf
	v_cndmask_b32_e64 v58, 0, v58, s[2:3]
	v_add_u32_e32 v9, v9, v58
	;; [unrolled: 4-line block ×4, first 2 shown]
	s_nop 1
	v_mov_b32_dpp v58, v9 row_bcast:15 row_mask:0xf bank_mask:0xf
	v_cndmask_b32_e64 v58, v58, 0, s[8:9]
	v_add_u32_e32 v9, v9, v58
	s_nop 1
	v_mov_b32_dpp v58, v9 row_bcast:31 row_mask:0xf bank_mask:0xf
	v_cndmask_b32_e64 v58, 0, v58, s[10:11]
	v_add_u32_e32 v9, v9, v58
	s_and_saveexec_b64 s[36:37], s[12:13]
	s_cbranch_execz .LBB85_11
; %bb.10:                               ;   in Loop: Header=BB85_4 Depth=2
	ds_write_b32 v17, v9 offset:16384
.LBB85_11:                              ;   in Loop: Header=BB85_4 Depth=2
	s_or_b64 exec, exec, s[36:37]
	s_waitcnt lgkmcnt(0)
	s_barrier
	s_and_saveexec_b64 s[36:37], s[14:15]
	s_cbranch_execz .LBB85_13
; %bb.12:                               ;   in Loop: Header=BB85_4 Depth=2
	ds_read_b32 v58, v18 offset:16384
	s_waitcnt lgkmcnt(0)
	s_nop 0
	v_mov_b32_dpp v59, v58 row_shr:1 row_mask:0xf bank_mask:0xf
	v_cndmask_b32_e64 v59, v59, 0, s[20:21]
	v_add_u32_e32 v58, v59, v58
	s_nop 1
	v_mov_b32_dpp v59, v58 row_shr:2 row_mask:0xf bank_mask:0xf
	v_cndmask_b32_e64 v59, 0, v59, s[22:23]
	v_add_u32_e32 v58, v58, v59
	;; [unrolled: 4-line block ×3, first 2 shown]
	ds_write_b32 v18, v58 offset:16384
.LBB85_13:                              ;   in Loop: Header=BB85_4 Depth=2
	s_or_b64 exec, exec, s[36:37]
	v_mov_b32_e32 v58, 0
	s_waitcnt lgkmcnt(0)
	s_barrier
	s_and_saveexec_b64 s[36:37], s[16:17]
	s_cbranch_execz .LBB85_3
; %bb.14:                               ;   in Loop: Header=BB85_4 Depth=2
	ds_read_b32 v58, v17 offset:16380
	s_branch .LBB85_3
.LBB85_15:                              ;   in Loop: Header=BB85_4 Depth=2
	ds_write_b32 v22, v1
	s_or_b64 exec, exec, s[36:37]
	s_and_saveexec_b64 s[36:37], s[30:31]
	s_cbranch_execz .LBB85_6
.LBB85_16:                              ;   in Loop: Header=BB85_4 Depth=2
	ds_write_b32 v23, v1
	s_or_b64 exec, exec, s[36:37]
	s_and_saveexec_b64 s[36:37], s[30:31]
	s_cbranch_execz .LBB85_7
.LBB85_17:                              ;   in Loop: Header=BB85_4 Depth=2
	ds_write_b32 v24, v1
	s_or_b64 exec, exec, s[36:37]
	s_and_saveexec_b64 s[36:37], s[30:31]
	s_cbranch_execnz .LBB85_8
	s_branch .LBB85_9
.LBB85_18:
	ds_read_u16 v0, v57
	ds_read_u16 v1, v56
	;; [unrolled: 1-line block ×16, first 2 shown]
	s_lshl_b64 s[0:1], s[28:29], 2
	s_add_u32 s0, s26, s0
	s_waitcnt lgkmcnt(14)
	v_add_u32_sdwa v2, v1, v53 dst_sel:DWORD dst_unused:UNUSED_PAD src0_sel:DWORD src1_sel:WORD_0
	s_waitcnt lgkmcnt(13)
	v_add_u32_sdwa v1, v4, v51 dst_sel:DWORD dst_unused:UNUSED_PAD src0_sel:DWORD src1_sel:WORD_0
	;; [unrolled: 2-line block ×11, first 2 shown]
	s_addc_u32 s1, s27, s1
	v_lshlrev_b32_e32 v4, 2, v6
	v_add_u32_sdwa v3, v0, v55 dst_sel:DWORD dst_unused:UNUSED_PAD src0_sel:DWORD src1_sel:WORD_0
	v_add_u32_sdwa v0, v5, v49 dst_sel:DWORD dst_unused:UNUSED_PAD src0_sel:DWORD src1_sel:WORD_0
	;; [unrolled: 1-line block ×5, first 2 shown]
	global_store_dwordx4 v4, v[16:19], s[0:1]
	global_store_dwordx4 v4, v[12:15], s[0:1] offset:16
	global_store_dwordx4 v4, v[8:11], s[0:1] offset:32
	;; [unrolled: 1-line block ×3, first 2 shown]
	s_endpgm
	.section	.rodata,"a",@progbits
	.p2align	6, 0x0
	.amdhsa_kernel _Z11rank_kernelIhLj4ELb0EL18RadixRankAlgorithm1ELj512ELj16ELj10EEvPKT_Pi
		.amdhsa_group_segment_fixed_size 16416
		.amdhsa_private_segment_fixed_size 0
		.amdhsa_kernarg_size 16
		.amdhsa_user_sgpr_count 6
		.amdhsa_user_sgpr_private_segment_buffer 1
		.amdhsa_user_sgpr_dispatch_ptr 0
		.amdhsa_user_sgpr_queue_ptr 0
		.amdhsa_user_sgpr_kernarg_segment_ptr 1
		.amdhsa_user_sgpr_dispatch_id 0
		.amdhsa_user_sgpr_flat_scratch_init 0
		.amdhsa_user_sgpr_kernarg_preload_length 0
		.amdhsa_user_sgpr_kernarg_preload_offset 0
		.amdhsa_user_sgpr_private_segment_size 0
		.amdhsa_uses_dynamic_stack 0
		.amdhsa_system_sgpr_private_segment_wavefront_offset 0
		.amdhsa_system_sgpr_workgroup_id_x 1
		.amdhsa_system_sgpr_workgroup_id_y 0
		.amdhsa_system_sgpr_workgroup_id_z 0
		.amdhsa_system_sgpr_workgroup_info 0
		.amdhsa_system_vgpr_workitem_id 0
		.amdhsa_next_free_vgpr 60
		.amdhsa_next_free_sgpr 40
		.amdhsa_accum_offset 60
		.amdhsa_reserve_vcc 1
		.amdhsa_reserve_flat_scratch 0
		.amdhsa_float_round_mode_32 0
		.amdhsa_float_round_mode_16_64 0
		.amdhsa_float_denorm_mode_32 3
		.amdhsa_float_denorm_mode_16_64 3
		.amdhsa_dx10_clamp 1
		.amdhsa_ieee_mode 1
		.amdhsa_fp16_overflow 0
		.amdhsa_tg_split 0
		.amdhsa_exception_fp_ieee_invalid_op 0
		.amdhsa_exception_fp_denorm_src 0
		.amdhsa_exception_fp_ieee_div_zero 0
		.amdhsa_exception_fp_ieee_overflow 0
		.amdhsa_exception_fp_ieee_underflow 0
		.amdhsa_exception_fp_ieee_inexact 0
		.amdhsa_exception_int_div_zero 0
	.end_amdhsa_kernel
	.section	.text._Z11rank_kernelIhLj4ELb0EL18RadixRankAlgorithm1ELj512ELj16ELj10EEvPKT_Pi,"axG",@progbits,_Z11rank_kernelIhLj4ELb0EL18RadixRankAlgorithm1ELj512ELj16ELj10EEvPKT_Pi,comdat
.Lfunc_end85:
	.size	_Z11rank_kernelIhLj4ELb0EL18RadixRankAlgorithm1ELj512ELj16ELj10EEvPKT_Pi, .Lfunc_end85-_Z11rank_kernelIhLj4ELb0EL18RadixRankAlgorithm1ELj512ELj16ELj10EEvPKT_Pi
                                        ; -- End function
	.section	.AMDGPU.csdata,"",@progbits
; Kernel info:
; codeLenInByte = 2248
; NumSgprs: 44
; NumVgprs: 60
; NumAgprs: 0
; TotalNumVgprs: 60
; ScratchSize: 0
; MemoryBound: 0
; FloatMode: 240
; IeeeMode: 1
; LDSByteSize: 16416 bytes/workgroup (compile time only)
; SGPRBlocks: 5
; VGPRBlocks: 7
; NumSGPRsForWavesPerEU: 44
; NumVGPRsForWavesPerEU: 60
; AccumOffset: 60
; Occupancy: 6
; WaveLimiterHint : 0
; COMPUTE_PGM_RSRC2:SCRATCH_EN: 0
; COMPUTE_PGM_RSRC2:USER_SGPR: 6
; COMPUTE_PGM_RSRC2:TRAP_HANDLER: 0
; COMPUTE_PGM_RSRC2:TGID_X_EN: 1
; COMPUTE_PGM_RSRC2:TGID_Y_EN: 0
; COMPUTE_PGM_RSRC2:TGID_Z_EN: 0
; COMPUTE_PGM_RSRC2:TIDIG_COMP_CNT: 0
; COMPUTE_PGM_RSRC3_GFX90A:ACCUM_OFFSET: 14
; COMPUTE_PGM_RSRC3_GFX90A:TG_SPLIT: 0
	.section	.text._Z11rank_kernelIhLj4ELb0EL18RadixRankAlgorithm2ELj512ELj16ELj10EEvPKT_Pi,"axG",@progbits,_Z11rank_kernelIhLj4ELb0EL18RadixRankAlgorithm2ELj512ELj16ELj10EEvPKT_Pi,comdat
	.protected	_Z11rank_kernelIhLj4ELb0EL18RadixRankAlgorithm2ELj512ELj16ELj10EEvPKT_Pi ; -- Begin function _Z11rank_kernelIhLj4ELb0EL18RadixRankAlgorithm2ELj512ELj16ELj10EEvPKT_Pi
	.globl	_Z11rank_kernelIhLj4ELb0EL18RadixRankAlgorithm2ELj512ELj16ELj10EEvPKT_Pi
	.p2align	8
	.type	_Z11rank_kernelIhLj4ELb0EL18RadixRankAlgorithm2ELj512ELj16ELj10EEvPKT_Pi,@function
_Z11rank_kernelIhLj4ELb0EL18RadixRankAlgorithm2ELj512ELj16ELj10EEvPKT_Pi: ; @_Z11rank_kernelIhLj4ELb0EL18RadixRankAlgorithm2ELj512ELj16ELj10EEvPKT_Pi
; %bb.0:
	s_mov_b64 s[98:99], s[2:3]
	s_mov_b64 s[96:97], s[0:1]
	s_load_dwordx4 s[8:11], s[4:5], 0x0
	s_load_dword s0, s[4:5], 0x1c
	s_add_u32 s96, s96, s7
	v_and_b32_e32 v28, 0x3ff, v0
	s_addc_u32 s97, s97, 0
	s_lshl_b32 s4, s6, 13
	v_lshlrev_b32_e32 v4, 4, v28
	s_waitcnt lgkmcnt(0)
	s_add_u32 s2, s8, s4
	v_mov_b32_e32 v2, v4
	s_addc_u32 s3, s9, 0
	buffer_store_dword v2, off, s[96:99], 0 offset:416 ; 4-byte Folded Spill
	s_nop 0
	buffer_store_dword v3, off, s[96:99], 0 offset:420 ; 4-byte Folded Spill
	global_load_dwordx4 v[2:5], v4, s[2:3]
	v_mbcnt_lo_u32_b32 v1, -1, 0
	v_mbcnt_hi_u32_b32 v1, -1, v1
	s_mov_b64 s[6:7], s[10:11]
                                        ; implicit-def: $vgpr252 : SGPR spill to VGPR lane
	v_bfe_u32 v6, v0, 10, 10
	v_bfe_u32 v0, v0, 20, 10
	v_add_u32_e32 v9, -1, v1
	v_and_b32_e32 v10, 64, v1
	s_lshr_b32 s1, s0, 16
	v_writelane_b32 v252, s4, 0
	v_cmp_lt_i32_e32 vcc, v9, v10
	s_and_b32 s0, s0, 0xffff
	v_mad_u32_u24 v0, v0, s1, v6
	v_writelane_b32 v252, s5, 1
	v_lshrrev_b32_e32 v12, 4, v28
	v_cndmask_b32_e32 v9, v9, v1, vcc
	v_mad_u64_u32 v[14:15], s[0:1], v0, s0, v[28:29]
	v_writelane_b32 v252, s6, 2
	v_and_b32_e32 v10, 28, v12
	v_lshlrev_b32_e32 v9, 2, v9
	v_writelane_b32 v252, s7, 3
	s_mov_b32 s5, 0
	buffer_store_dword v9, off, s[96:99], 0 ; 4-byte Folded Spill
	buffer_store_dword v10, off, s[96:99], 0 offset:16 ; 4-byte Folded Spill
	v_add_u32_e32 v9, -4, v10
	v_writelane_b32 v252, s4, 4
	v_mov_b32_e32 v8, 0
	buffer_store_dword v9, off, s[96:99], 0 offset:20 ; 4-byte Folded Spill
	v_writelane_b32 v252, s5, 5
	v_lshrrev_b32_e32 v21, 6, v14
	v_mov_b32_e32 v46, 30
	v_mov_b32_e32 v48, 29
	v_mov_b32_e32 v54, 28
                                        ; implicit-def: $vgpr253 : SGPR spill to VGPR lane
                                        ; implicit-def: $vgpr254 : SGPR spill to VGPR lane
                                        ; implicit-def: $vgpr255 : SGPR spill to VGPR lane
	v_or_b32_e32 v23, 63, v28
	v_and_b32_e32 v13, 15, v1
	v_and_b32_e32 v11, 16, v1
	;; [unrolled: 1-line block ×3, first 2 shown]
	v_cmp_lt_u32_e64 s[16:17], 31, v1
	v_cmp_eq_u32_e64 s[92:93], 0, v1
	v_lshlrev_b32_e32 v193, 2, v28
	v_cmp_gt_u32_e64 s[2:3], 8, v28
	v_cmp_lt_u32_e64 s[4:5], 63, v28
	v_cmp_eq_u32_e64 s[6:7], 0, v13
	v_cmp_lt_u32_e64 s[8:9], 1, v13
	v_cmp_lt_u32_e64 s[10:11], 3, v13
	;; [unrolled: 1-line block ×3, first 2 shown]
	v_cmp_eq_u32_e64 s[14:15], 0, v11
	v_cmp_eq_u32_e64 s[18:19], 0, v7
	v_cmp_lt_u32_e64 s[20:21], 1, v7
	v_cmp_lt_u32_e64 s[22:23], 3, v7
	s_mov_b32 s33, 10
	s_waitcnt vmcnt(3)
	v_and_b32_e32 v15, 1, v2
	v_add_co_u32_e32 v24, vcc, -1, v15
	v_lshlrev_b32_e32 v9, 30, v2
	buffer_store_dword v24, off, s[96:99], 0 offset:24 ; 4-byte Folded Spill
	v_addc_co_u32_e64 v24, s[0:1], 0, -1, vcc
	v_bfe_u32 v18, v2, 8, 1
	v_cmp_gt_i64_e64 s[0:1], 0, v[8:9]
	v_writelane_b32 v252, s0, 6
	v_add_co_u32_e32 v18, vcc, -1, v18
	v_bfe_u32 v20, v2, 16, 4
	v_bfe_u32 v22, v2, 16, 1
	v_writelane_b32 v252, s1, 7
	buffer_store_dword v18, off, s[96:99], 0 offset:32 ; 4-byte Folded Spill
	v_addc_co_u32_e64 v18, s[0:1], 0, -1, vcc
	v_and_b32_e32 v14, 15, v2
	buffer_store_dword v18, off, s[96:99], 0 offset:36 ; 4-byte Folded Spill
	v_mul_u32_u24_e32 v18, 9, v20
	v_add_co_u32_e32 v20, vcc, -1, v22
	v_bfe_u32 v16, v2, 8, 4
	buffer_store_dword v24, off, s[96:99], 0 offset:28 ; 4-byte Folded Spill
	v_not_b32_e32 v24, v9
	v_lshlrev_b32_e32 v9, 29, v2
	v_mul_u32_u24_e32 v14, 9, v14
	buffer_store_dword v20, off, s[96:99], 0 offset:40 ; 4-byte Folded Spill
	v_addc_co_u32_e64 v20, s[0:1], 0, -1, vcc
	v_mul_u32_u24_e32 v16, 9, v16
	v_cmp_gt_i64_e64 s[0:1], 0, v[8:9]
	v_add_lshl_u32 v14, v21, v14, 2
	buffer_store_dword v20, off, s[96:99], 0 offset:44 ; 4-byte Folded Spill
	v_writelane_b32 v252, s0, 8
	v_not_b32_e32 v20, v9
	v_lshlrev_b32_e32 v9, 28, v2
	buffer_store_dword v14, off, s[96:99], 0 offset:412 ; 4-byte Folded Spill
	v_add_lshl_u32 v14, v21, v16, 2
	v_lshrrev_b32_e32 v10, 8, v2
	v_writelane_b32 v252, s1, 9
	buffer_store_dword v14, off, s[96:99], 0 offset:4 ; 4-byte Folded Spill
	v_add_lshl_u32 v14, v21, v18, 2
	v_cmp_gt_i64_e64 s[0:1], 0, v[8:9]
	buffer_store_dword v14, off, s[96:99], 0 offset:8 ; 4-byte Folded Spill
	v_writelane_b32 v252, s0, 10
	v_not_b32_e32 v14, v9
	v_lshlrev_b32_e32 v9, 30, v10
	v_writelane_b32 v252, s1, 11
	v_cmp_gt_i64_e64 s[0:1], 0, v[8:9]
	v_ashrrev_i32_e32 v224, 31, v14
	v_writelane_b32 v252, s0, 12
	v_not_b32_e32 v14, v9
	v_lshlrev_b32_e32 v9, 29, v10
	v_writelane_b32 v252, s1, 13
	v_cmp_gt_i64_e64 s[0:1], 0, v[8:9]
	v_ashrrev_i32_e32 v226, 31, v14
	v_writelane_b32 v252, s0, 14
	v_not_b32_e32 v14, v9
	v_lshlrev_b32_e32 v9, 28, v10
	v_writelane_b32 v252, s1, 15
	v_cmp_gt_i64_e64 s[0:1], 0, v[8:9]
	v_writelane_b32 v252, s0, 16
	v_not_b32_e32 v10, v9
	v_lshlrev_b32_sdwa v9, v46, v2 dst_sel:DWORD dst_unused:UNUSED_PAD src0_sel:DWORD src1_sel:WORD_1
	v_writelane_b32 v252, s1, 17
	v_cmp_gt_i64_e64 s[0:1], 0, v[8:9]
	v_ashrrev_i32_e32 v230, 31, v10
	v_writelane_b32 v252, s0, 18
	v_not_b32_e32 v10, v9
	v_lshlrev_b32_sdwa v9, v48, v2 dst_sel:DWORD dst_unused:UNUSED_PAD src0_sel:DWORD src1_sel:WORD_1
	v_writelane_b32 v252, s1, 19
	v_cmp_gt_i64_e64 s[0:1], 0, v[8:9]
	v_not_b32_e32 v9, v9
	v_writelane_b32 v252, s0, 20
	v_ashrrev_i32_e32 v194, 31, v9
	v_lshlrev_b32_sdwa v9, v54, v2 dst_sel:DWORD dst_unused:UNUSED_PAD src0_sel:DWORD src1_sel:WORD_1
	v_writelane_b32 v252, s1, 21
	v_cmp_gt_i64_e64 s[0:1], 0, v[8:9]
	v_not_b32_e32 v9, v9
	v_ashrrev_i32_e32 v218, 31, v9
	v_bfe_u32 v9, v2, 24, 4
	v_mul_u32_u24_e32 v9, 9, v9
	v_add_lshl_u32 v9, v21, v9, 2
	buffer_store_dword v9, off, s[96:99], 0 offset:12 ; 4-byte Folded Spill
	v_bfe_u32 v9, v2, 24, 1
	v_writelane_b32 v252, s0, 22
	v_add_co_u32_e32 v9, vcc, -1, v9
	v_writelane_b32 v252, s1, 23
	buffer_store_dword v9, off, s[96:99], 0 offset:48 ; 4-byte Folded Spill
	v_addc_co_u32_e64 v9, s[0:1], 0, -1, vcc
	buffer_store_dword v9, off, s[96:99], 0 offset:52 ; 4-byte Folded Spill
	v_lshlrev_b32_sdwa v9, v46, v2 dst_sel:DWORD dst_unused:UNUSED_PAD src0_sel:DWORD src1_sel:BYTE_3
	v_cmp_gt_i64_e64 s[0:1], 0, v[8:9]
	v_not_b32_e32 v9, v9
	v_writelane_b32 v252, s0, 24
	v_ashrrev_i32_e32 v200, 31, v9
	v_lshlrev_b32_sdwa v9, v48, v2 dst_sel:DWORD dst_unused:UNUSED_PAD src0_sel:DWORD src1_sel:BYTE_3
	v_writelane_b32 v252, s1, 25
	v_cmp_gt_i64_e64 s[0:1], 0, v[8:9]
	v_writelane_b32 v252, s0, 26
	v_not_b32_e32 v29, v9
	v_lshlrev_b32_sdwa v9, v54, v2 dst_sel:DWORD dst_unused:UNUSED_PAD src0_sel:DWORD src1_sel:BYTE_3
	v_writelane_b32 v252, s1, 27
	v_cmp_gt_i64_e64 s[0:1], 0, v[8:9]
	v_and_b32_e32 v27, 1, v3
	v_writelane_b32 v252, s0, 28
	v_not_b32_e32 v30, v9
	v_add_co_u32_e32 v9, vcc, -1, v27
	v_writelane_b32 v252, s1, 29
	buffer_store_dword v9, off, s[96:99], 0 offset:56 ; 4-byte Folded Spill
	v_addc_co_u32_e64 v9, s[0:1], 0, -1, vcc
	buffer_store_dword v9, off, s[96:99], 0 offset:60 ; 4-byte Folded Spill
	v_lshlrev_b32_e32 v9, 30, v3
	v_cmp_gt_i64_e64 s[0:1], 0, v[8:9]
	v_writelane_b32 v252, s0, 30
	v_not_b32_e32 v32, v9
	v_lshlrev_b32_e32 v9, 29, v3
	v_writelane_b32 v252, s1, 31
	v_cmp_gt_i64_e64 s[0:1], 0, v[8:9]
	v_writelane_b32 v252, s0, 32
	v_not_b32_e32 v34, v9
	v_lshlrev_b32_e32 v9, 28, v3
	v_writelane_b32 v252, s1, 33
	v_cmp_gt_i64_e64 s[0:1], 0, v[8:9]
	v_not_b32_e32 v36, v9
	v_bfe_u32 v9, v3, 8, 1
	v_writelane_b32 v252, s0, 34
	v_add_co_u32_e32 v9, vcc, -1, v9
	v_lshrrev_b32_e32 v12, 8, v3
	v_writelane_b32 v252, s1, 35
	buffer_store_dword v9, off, s[96:99], 0 offset:64 ; 4-byte Folded Spill
	v_addc_co_u32_e64 v9, s[0:1], 0, -1, vcc
	buffer_store_dword v9, off, s[96:99], 0 offset:68 ; 4-byte Folded Spill
	v_lshlrev_b32_e32 v9, 30, v12
	v_cmp_gt_i64_e64 s[0:1], 0, v[8:9]
	v_writelane_b32 v252, s0, 36
	v_not_b32_e32 v40, v9
	v_lshlrev_b32_e32 v9, 29, v12
	v_writelane_b32 v252, s1, 37
	v_cmp_gt_i64_e64 s[0:1], 0, v[8:9]
	v_writelane_b32 v252, s0, 38
	v_not_b32_e32 v35, v9
	v_lshlrev_b32_e32 v9, 28, v12
	v_writelane_b32 v252, s1, 39
	v_cmp_gt_i64_e64 s[0:1], 0, v[8:9]
	v_not_b32_e32 v39, v9
	v_bfe_u32 v9, v3, 16, 1
	v_writelane_b32 v252, s0, 40
	v_add_co_u32_e32 v9, vcc, -1, v9
	v_writelane_b32 v252, s1, 41
	buffer_store_dword v9, off, s[96:99], 0 offset:72 ; 4-byte Folded Spill
	v_addc_co_u32_e64 v9, s[0:1], 0, -1, vcc
	buffer_store_dword v9, off, s[96:99], 0 offset:76 ; 4-byte Folded Spill
	v_lshlrev_b32_sdwa v9, v46, v3 dst_sel:DWORD dst_unused:UNUSED_PAD src0_sel:DWORD src1_sel:WORD_1
	v_cmp_gt_i64_e64 s[0:1], 0, v[8:9]
	v_writelane_b32 v252, s0, 42
	v_not_b32_e32 v41, v9
	v_lshlrev_b32_sdwa v9, v48, v3 dst_sel:DWORD dst_unused:UNUSED_PAD src0_sel:DWORD src1_sel:WORD_1
	v_writelane_b32 v252, s1, 43
	v_cmp_gt_i64_e64 s[0:1], 0, v[8:9]
	v_writelane_b32 v252, s0, 44
	v_not_b32_e32 v43, v9
	v_lshlrev_b32_sdwa v9, v54, v3 dst_sel:DWORD dst_unused:UNUSED_PAD src0_sel:DWORD src1_sel:WORD_1
	v_writelane_b32 v252, s1, 45
	v_cmp_gt_i64_e64 s[0:1], 0, v[8:9]
	v_not_b32_e32 v47, v9
	v_bfe_u32 v9, v3, 24, 1
	v_writelane_b32 v252, s0, 46
	v_add_co_u32_e32 v9, vcc, -1, v9
	v_writelane_b32 v252, s1, 47
	buffer_store_dword v9, off, s[96:99], 0 offset:80 ; 4-byte Folded Spill
	v_addc_co_u32_e64 v9, s[0:1], 0, -1, vcc
	buffer_store_dword v9, off, s[96:99], 0 offset:84 ; 4-byte Folded Spill
	v_lshlrev_b32_sdwa v9, v46, v3 dst_sel:DWORD dst_unused:UNUSED_PAD src0_sel:DWORD src1_sel:BYTE_3
	v_cmp_gt_i64_e64 s[0:1], 0, v[8:9]
	v_writelane_b32 v252, s0, 48
	v_not_b32_e32 v49, v9
	v_lshlrev_b32_sdwa v9, v48, v3 dst_sel:DWORD dst_unused:UNUSED_PAD src0_sel:DWORD src1_sel:BYTE_3
	v_writelane_b32 v252, s1, 49
	v_cmp_gt_i64_e64 s[0:1], 0, v[8:9]
	v_writelane_b32 v252, s0, 50
	v_not_b32_e32 v51, v9
	v_lshlrev_b32_sdwa v9, v54, v3 dst_sel:DWORD dst_unused:UNUSED_PAD src0_sel:DWORD src1_sel:BYTE_3
	v_writelane_b32 v252, s1, 51
	v_cmp_gt_i64_e64 s[0:1], 0, v[8:9]
	v_and_b32_e32 v53, 1, v4
	v_writelane_b32 v252, s0, 52
	v_not_b32_e32 v55, v9
	v_add_co_u32_e32 v9, vcc, -1, v53
	v_writelane_b32 v252, s1, 53
	buffer_store_dword v9, off, s[96:99], 0 offset:88 ; 4-byte Folded Spill
	v_addc_co_u32_e64 v9, s[0:1], 0, -1, vcc
	buffer_store_dword v9, off, s[96:99], 0 offset:92 ; 4-byte Folded Spill
	v_lshlrev_b32_e32 v9, 30, v4
	v_cmp_gt_i64_e64 s[0:1], 0, v[8:9]
	v_writelane_b32 v252, s0, 54
	v_not_b32_e32 v57, v9
	v_lshlrev_b32_e32 v9, 29, v4
	v_writelane_b32 v252, s1, 55
	v_cmp_gt_i64_e64 s[0:1], 0, v[8:9]
	v_writelane_b32 v252, s0, 56
	v_not_b32_e32 v59, v9
	v_lshlrev_b32_e32 v9, 28, v4
	v_writelane_b32 v252, s1, 57
	v_cmp_gt_i64_e64 s[0:1], 0, v[8:9]
	v_not_b32_e32 v61, v9
	v_bfe_u32 v9, v4, 8, 1
	v_writelane_b32 v252, s0, 58
	v_add_co_u32_e32 v9, vcc, -1, v9
	v_lshrrev_b32_e32 v6, 8, v4
	v_writelane_b32 v252, s1, 59
	buffer_store_dword v9, off, s[96:99], 0 offset:96 ; 4-byte Folded Spill
	v_addc_co_u32_e64 v9, s[0:1], 0, -1, vcc
	buffer_store_dword v9, off, s[96:99], 0 offset:100 ; 4-byte Folded Spill
	v_lshlrev_b32_e32 v9, 30, v6
	v_cmp_gt_i64_e64 s[0:1], 0, v[8:9]
	v_writelane_b32 v252, s0, 60
	v_not_b32_e32 v104, v9
	v_lshlrev_b32_e32 v9, 29, v6
	v_writelane_b32 v252, s1, 61
	v_cmp_gt_i64_e64 s[0:1], 0, v[8:9]
	v_writelane_b32 v252, s0, 62
	v_not_b32_e32 v65, v9
	v_lshlrev_b32_e32 v9, 28, v6
	v_writelane_b32 v252, s1, 63
	v_cmp_gt_i64_e64 s[0:1], 0, v[8:9]
	v_bfe_u32 v6, v4, 16, 1
	v_writelane_b32 v253, s0, 0
	v_add_co_u32_e32 v6, vcc, -1, v6
	v_writelane_b32 v253, s1, 1
	v_not_b32_e32 v98, v9
	buffer_store_dword v6, off, s[96:99], 0 offset:104 ; 4-byte Folded Spill
	v_addc_co_u32_e64 v6, s[0:1], 0, -1, vcc
	v_lshlrev_b32_sdwa v9, v46, v4 dst_sel:DWORD dst_unused:UNUSED_PAD src0_sel:DWORD src1_sel:WORD_1
	v_cmp_gt_i64_e64 s[0:1], 0, v[8:9]
	v_writelane_b32 v253, s0, 2
	v_not_b32_e32 v106, v9
	v_lshlrev_b32_sdwa v9, v48, v4 dst_sel:DWORD dst_unused:UNUSED_PAD src0_sel:DWORD src1_sel:WORD_1
	v_writelane_b32 v253, s1, 3
	v_cmp_gt_i64_e64 s[0:1], 0, v[8:9]
	v_writelane_b32 v253, s0, 4
	v_not_b32_e32 v69, v9
	v_lshlrev_b32_sdwa v9, v54, v4 dst_sel:DWORD dst_unused:UNUSED_PAD src0_sel:DWORD src1_sel:WORD_1
	buffer_store_dword v6, off, s[96:99], 0 offset:108 ; 4-byte Folded Spill
	v_writelane_b32 v253, s1, 5
	v_cmp_gt_i64_e64 s[0:1], 0, v[8:9]
	v_bfe_u32 v6, v4, 24, 1
	v_writelane_b32 v253, s0, 6
	v_add_co_u32_e32 v6, vcc, -1, v6
	v_writelane_b32 v253, s1, 7
	v_not_b32_e32 v100, v9
	buffer_store_dword v6, off, s[96:99], 0 offset:112 ; 4-byte Folded Spill
	v_addc_co_u32_e64 v6, s[0:1], 0, -1, vcc
	v_lshlrev_b32_sdwa v9, v46, v4 dst_sel:DWORD dst_unused:UNUSED_PAD src0_sel:DWORD src1_sel:BYTE_3
	v_cmp_gt_i64_e64 s[0:1], 0, v[8:9]
	v_writelane_b32 v253, s0, 8
	v_not_b32_e32 v108, v9
	v_lshlrev_b32_sdwa v9, v48, v4 dst_sel:DWORD dst_unused:UNUSED_PAD src0_sel:DWORD src1_sel:BYTE_3
	v_writelane_b32 v253, s1, 9
	v_cmp_gt_i64_e64 s[0:1], 0, v[8:9]
	v_writelane_b32 v253, s0, 10
	v_not_b32_e32 v73, v9
	v_lshlrev_b32_sdwa v9, v54, v4 dst_sel:DWORD dst_unused:UNUSED_PAD src0_sel:DWORD src1_sel:BYTE_3
	v_writelane_b32 v253, s1, 11
	v_cmp_gt_i64_e64 s[0:1], 0, v[8:9]
	v_and_b32_e32 v75, 1, v5
	buffer_store_dword v6, off, s[96:99], 0 offset:116 ; 4-byte Folded Spill
	v_writelane_b32 v253, s0, 12
	v_add_co_u32_e32 v6, vcc, -1, v75
	v_writelane_b32 v253, s1, 13
	v_not_b32_e32 v140, v9
	buffer_store_dword v6, off, s[96:99], 0 offset:120 ; 4-byte Folded Spill
	v_addc_co_u32_e64 v6, s[0:1], 0, -1, vcc
	v_lshlrev_b32_e32 v9, 30, v5
	v_cmp_gt_i64_e64 s[0:1], 0, v[8:9]
	v_writelane_b32 v253, s0, 14
	v_not_b32_e32 v142, v9
	v_lshlrev_b32_e32 v9, 29, v5
	v_writelane_b32 v253, s1, 15
	v_cmp_gt_i64_e64 s[0:1], 0, v[8:9]
	v_writelane_b32 v253, s0, 16
	v_not_b32_e32 v77, v9
	v_lshlrev_b32_e32 v9, 28, v5
	buffer_store_dword v6, off, s[96:99], 0 offset:124 ; 4-byte Folded Spill
	v_writelane_b32 v253, s1, 17
	v_cmp_gt_i64_e64 s[0:1], 0, v[8:9]
	v_bfe_u32 v6, v5, 8, 1
	v_lshrrev_b32_e32 v0, 8, v5
	v_writelane_b32 v253, s0, 18
	v_add_co_u32_e32 v6, vcc, -1, v6
	v_writelane_b32 v253, s1, 19
	v_not_b32_e32 v79, v9
	buffer_store_dword v6, off, s[96:99], 0 offset:128 ; 4-byte Folded Spill
	v_addc_co_u32_e64 v6, s[0:1], 0, -1, vcc
	v_lshlrev_b32_e32 v9, 30, v0
	v_cmp_gt_i64_e64 s[0:1], 0, v[8:9]
	v_writelane_b32 v253, s0, 20
	v_not_b32_e32 v81, v9
	v_lshlrev_b32_e32 v9, 29, v0
	v_writelane_b32 v253, s1, 21
	v_cmp_gt_i64_e64 s[0:1], 0, v[8:9]
	v_not_b32_e32 v83, v9
	v_lshlrev_b32_e32 v9, 28, v0
	v_bfe_u32 v0, v5, 16, 1
	v_writelane_b32 v253, s0, 22
	v_add_co_u32_e32 v0, vcc, -1, v0
	v_writelane_b32 v253, s1, 23
	buffer_store_dword v0, off, s[96:99], 0 offset:136 ; 4-byte Folded Spill
	v_addc_co_u32_e64 v0, s[0:1], 0, -1, vcc
	buffer_store_dword v0, off, s[96:99], 0 offset:140 ; 4-byte Folded Spill
	v_bfe_u32 v0, v5, 24, 1
	v_add_co_u32_e32 v0, vcc, -1, v0
	buffer_store_dword v0, off, s[96:99], 0 offset:144 ; 4-byte Folded Spill
	v_addc_co_u32_e64 v0, s[0:1], 0, -1, vcc
	buffer_store_dword v0, off, s[96:99], 0 offset:148 ; 4-byte Folded Spill
	v_bfe_u32 v0, v2, 4, 1
	v_add_co_u32_e32 v0, vcc, -1, v0
	;; [unrolled: 5-line block ×3, first 2 shown]
	v_bfe_u32 v0, v2, 20, 1
	v_addc_co_u32_e64 v211, s[0:1], 0, -1, vcc
	v_add_co_u32_e32 v0, vcc, -1, v0
	buffer_store_dword v0, off, s[96:99], 0 offset:200 ; 4-byte Folded Spill
	v_addc_co_u32_e64 v0, s[0:1], 0, -1, vcc
	buffer_store_dword v0, off, s[96:99], 0 offset:212 ; 4-byte Folded Spill
	v_bfe_u32 v0, v2, 28, 1
	v_add_co_u32_e32 v213, vcc, -1, v0
	v_bfe_u32 v0, v3, 4, 1
	v_addc_co_u32_e64 v215, s[0:1], 0, -1, vcc
	v_add_co_u32_e32 v0, vcc, -1, v0
	buffer_store_dword v0, off, s[96:99], 0 offset:216 ; 4-byte Folded Spill
	v_addc_co_u32_e64 v0, s[0:1], 0, -1, vcc
	buffer_store_dword v0, off, s[96:99], 0 offset:228 ; 4-byte Folded Spill
	v_bfe_u32 v0, v3, 12, 1
	v_add_co_u32_e32 v217, vcc, -1, v0
	;; [unrolled: 8-line block ×3, first 2 shown]
	v_bfe_u32 v0, v4, 4, 1
	v_addc_co_u32_e64 v171, s[0:1], 0, -1, vcc
	v_add_co_u32_e32 v173, vcc, -1, v0
	v_bfe_u32 v0, v4, 12, 1
	v_addc_co_u32_e64 v177, s[0:1], 0, -1, vcc
	v_add_co_u32_e32 v199, vcc, -1, v0
	;; [unrolled: 3-line block ×4, first 2 shown]
	v_bfe_u32 v16, v5, 4, 1
	v_ashrrev_i32_e32 v222, 31, v20
	v_addc_co_u32_e64 v132, s[0:1], 0, -1, vcc
	v_add_co_u32_e32 v134, vcc, -1, v16
	v_bfe_u32 v20, v5, 12, 1
	v_ashrrev_i32_e32 v220, 31, v24
	v_addc_co_u32_e64 v136, s[0:1], 0, -1, vcc
	v_add_co_u32_e32 v138, vcc, -1, v20
	v_bfe_u32 v24, v5, 20, 1
	v_addc_co_u32_e64 v237, s[0:1], 0, -1, vcc
	v_add_co_u32_e32 v223, vcc, -1, v24
	v_bfe_u32 v80, v5, 28, 1
	v_addc_co_u32_e64 v144, s[0:1], 0, -1, vcc
	v_add_co_u32_e32 v116, vcc, -1, v80
	v_addc_co_u32_e64 v209, s[0:1], 0, -1, vcc
	v_cmp_gt_i64_e64 s[0:1], 0, v[8:9]
	v_writelane_b32 v253, s0, 24
	v_not_b32_e32 v0, v9
	v_lshlrev_b32_sdwa v9, v46, v5 dst_sel:DWORD dst_unused:UNUSED_PAD src0_sel:DWORD src1_sel:WORD_1
	v_writelane_b32 v253, s1, 25
	v_cmp_gt_i64_e64 s[0:1], 0, v[8:9]
	v_not_b32_e32 v179, v9
	v_writelane_b32 v253, s0, 26
	v_lshlrev_b32_sdwa v9, v48, v5 dst_sel:DWORD dst_unused:UNUSED_PAD src0_sel:DWORD src1_sel:WORD_1
	v_writelane_b32 v253, s1, 27
	v_cmp_gt_i64_e64 s[0:1], 0, v[8:9]
	v_not_b32_e32 v181, v9
	v_writelane_b32 v253, s0, 28
	;; [unrolled: 5-line block ×3, first 2 shown]
	v_lshlrev_b32_sdwa v9, v46, v5 dst_sel:DWORD dst_unused:UNUSED_PAD src0_sel:DWORD src1_sel:BYTE_3
	v_writelane_b32 v253, s1, 31
	v_cmp_gt_i64_e64 s[0:1], 0, v[8:9]
	v_not_b32_e32 v95, v9
	v_writelane_b32 v253, s0, 32
	v_lshlrev_b32_sdwa v9, v48, v5 dst_sel:DWORD dst_unused:UNUSED_PAD src0_sel:DWORD src1_sel:BYTE_3
	v_writelane_b32 v253, s1, 33
	v_cmp_gt_i64_e64 s[0:1], 0, v[8:9]
	v_not_b32_e32 v97, v9
	v_writelane_b32 v253, s0, 34
	v_lshlrev_b32_sdwa v9, v54, v5 dst_sel:DWORD dst_unused:UNUSED_PAD src0_sel:DWORD src1_sel:BYTE_3
	v_writelane_b32 v253, s1, 35
	v_lshrrev_b32_e32 v48, 4, v2
	v_cmp_gt_i64_e64 s[0:1], 0, v[8:9]
	v_not_b32_e32 v99, v9
	v_writelane_b32 v253, s0, 36
	v_lshlrev_b32_e32 v9, 30, v48
	v_writelane_b32 v253, s1, 37
	v_cmp_gt_i64_e64 s[0:1], 0, v[8:9]
	v_not_b32_e32 v101, v9
	v_writelane_b32 v253, s0, 38
	v_lshlrev_b32_e32 v9, 29, v48
	v_writelane_b32 v253, s1, 39
	v_cmp_gt_i64_e64 s[0:1], 0, v[8:9]
	v_not_b32_e32 v103, v9
	v_writelane_b32 v253, s0, 40
	v_lshlrev_b32_e32 v9, 28, v48
	v_writelane_b32 v253, s1, 41
	v_lshrrev_b32_e32 v54, 12, v2
	v_cmp_gt_i64_e64 s[0:1], 0, v[8:9]
	v_not_b32_e32 v105, v9
	v_writelane_b32 v253, s0, 42
	v_lshlrev_b32_e32 v9, 30, v54
	v_writelane_b32 v253, s1, 43
	v_cmp_gt_i64_e64 s[0:1], 0, v[8:9]
	v_not_b32_e32 v107, v9
	v_writelane_b32 v253, s0, 44
	v_lshlrev_b32_e32 v9, 29, v54
	v_writelane_b32 v253, s1, 45
	v_cmp_gt_i64_e64 s[0:1], 0, v[8:9]
	v_not_b32_e32 v186, v9
	v_writelane_b32 v253, s0, 46
	v_lshlrev_b32_e32 v9, 28, v54
	;; [unrolled: 16-line block ×3, first 2 shown]
	v_writelane_b32 v253, s1, 53
	v_lshrrev_b32_e32 v68, 28, v2
	v_cmp_gt_i64_e64 s[0:1], 0, v[8:9]
	v_not_b32_e32 v91, v9
	v_writelane_b32 v253, s0, 54
	v_lshlrev_b32_e32 v9, 30, v68
	v_writelane_b32 v253, s1, 55
	v_cmp_gt_i64_e64 s[0:1], 0, v[8:9]
	buffer_store_dword v6, off, s[96:99], 0 offset:132 ; 4-byte Folded Spill
	v_not_b32_e32 v6, v9
	v_writelane_b32 v253, s0, 56
	v_lshlrev_b32_e32 v9, 29, v68
	v_writelane_b32 v253, s1, 57
	v_cmp_gt_i64_e64 s[0:1], 0, v[8:9]
	v_ashrrev_i32_e32 v232, 31, v10
	v_not_b32_e32 v10, v9
	v_writelane_b32 v253, s0, 58
	v_and_b32_e32 v9, 0xf0000000, v2
	v_and_b32_e32 v17, 0x100, v2
	;; [unrolled: 1-line block ×4, first 2 shown]
	v_bfe_u32 v46, v2, 4, 4
	v_and_b32_e32 v86, 16, v2
	v_bfe_u32 v48, v2, 12, 4
	v_and_b32_e32 v102, 0x1000, v2
	;; [unrolled: 2-line block ×3, first 2 shown]
	v_and_b32_e32 v175, 0x10000000, v2
	v_writelane_b32 v253, s1, 59
	v_lshrrev_b32_e32 v2, 4, v3
	v_cmp_gt_i64_e64 s[0:1], 0, v[8:9]
	v_ashrrev_i32_e32 v228, 31, v14
	v_not_b32_e32 v14, v9
	v_writelane_b32 v253, s0, 60
	v_lshlrev_b32_e32 v9, 30, v2
	v_writelane_b32 v253, s1, 61
	v_cmp_gt_i64_e64 s[0:1], 0, v[8:9]
	v_not_b32_e32 v16, v9
	v_writelane_b32 v253, s0, 62
	v_lshlrev_b32_e32 v9, 29, v2
	v_writelane_b32 v253, s1, 63
	v_cmp_gt_i64_e64 s[0:1], 0, v[8:9]
	v_not_b32_e32 v18, v9
	v_writelane_b32 v254, s0, 0
	v_lshlrev_b32_e32 v9, 28, v2
	v_writelane_b32 v254, s1, 1
	v_lshrrev_b32_e32 v2, 12, v3
	v_cmp_gt_i64_e64 s[0:1], 0, v[8:9]
	v_not_b32_e32 v22, v9
	v_writelane_b32 v254, s0, 2
	v_lshlrev_b32_e32 v9, 30, v2
	v_writelane_b32 v254, s1, 3
	v_cmp_gt_i64_e64 s[0:1], 0, v[8:9]
	v_not_b32_e32 v24, v9
	v_writelane_b32 v254, s0, 4
	v_lshlrev_b32_e32 v9, 29, v2
	v_writelane_b32 v254, s1, 5
	v_cmp_gt_i64_e64 s[0:1], 0, v[8:9]
	v_not_b32_e32 v26, v9
	v_writelane_b32 v254, s0, 6
	v_lshlrev_b32_e32 v9, 28, v2
	v_writelane_b32 v254, s1, 7
	v_lshrrev_b32_e32 v2, 20, v3
	v_cmp_gt_i64_e64 s[0:1], 0, v[8:9]
	;; [unrolled: 16-line block ×3, first 2 shown]
	v_not_b32_e32 v115, v9
	v_writelane_b32 v254, s0, 14
	v_lshlrev_b32_e32 v9, 30, v76
	v_writelane_b32 v254, s1, 15
	v_cmp_gt_i64_e64 s[0:1], 0, v[8:9]
	v_not_b32_e32 v117, v9
	v_writelane_b32 v254, s0, 16
	v_lshlrev_b32_e32 v9, 29, v76
	v_writelane_b32 v254, s1, 17
	v_cmp_gt_i64_e64 s[0:1], 0, v[8:9]
	v_not_b32_e32 v119, v9
	v_writelane_b32 v254, s0, 18
	v_and_b32_e32 v9, 0xf0000000, v3
	v_writelane_b32 v254, s1, 19
	v_lshrrev_b32_e32 v2, 4, v4
	v_cmp_gt_i64_e64 s[0:1], 0, v[8:9]
	v_and_b32_e32 v31, 15, v3
	v_bfe_u32 v38, v3, 8, 4
	v_and_b32_e32 v33, 0x100, v3
	v_bfe_u32 v42, v3, 16, 4
	;; [unrolled: 2-line block ×6, first 2 shown]
	v_and_b32_e32 v182, 0x100000, v3
	v_and_b32_e32 v183, 0x10000000, v3
	v_not_b32_e32 v3, v9
	v_writelane_b32 v254, s0, 20
	v_lshlrev_b32_e32 v9, 30, v2
	v_writelane_b32 v254, s1, 21
	v_cmp_gt_i64_e64 s[0:1], 0, v[8:9]
	v_not_b32_e32 v121, v9
	v_writelane_b32 v254, s0, 22
	v_lshlrev_b32_e32 v9, 29, v2
	v_writelane_b32 v254, s1, 23
	v_cmp_gt_i64_e64 s[0:1], 0, v[8:9]
	v_not_b32_e32 v123, v9
	v_writelane_b32 v254, s0, 24
	v_lshlrev_b32_e32 v9, 28, v2
	v_writelane_b32 v254, s1, 25
	v_lshrrev_b32_e32 v2, 12, v4
	v_cmp_gt_i64_e64 s[0:1], 0, v[8:9]
	v_not_b32_e32 v125, v9
	v_writelane_b32 v254, s0, 26
	v_lshlrev_b32_e32 v9, 30, v2
	v_writelane_b32 v254, s1, 27
	v_cmp_gt_i64_e64 s[0:1], 0, v[8:9]
	v_not_b32_e32 v127, v9
	v_writelane_b32 v254, s0, 28
	v_lshlrev_b32_e32 v9, 29, v2
	v_writelane_b32 v254, s1, 29
	v_cmp_gt_i64_e64 s[0:1], 0, v[8:9]
	v_not_b32_e32 v129, v9
	v_writelane_b32 v254, s0, 30
	v_lshlrev_b32_e32 v9, 28, v2
	v_writelane_b32 v254, s1, 31
	v_lshrrev_b32_e32 v2, 20, v4
	v_cmp_gt_i64_e64 s[0:1], 0, v[8:9]
	;; [unrolled: 16-line block ×3, first 2 shown]
	v_not_b32_e32 v137, v9
	v_writelane_b32 v254, s0, 38
	v_lshlrev_b32_e32 v9, 30, v88
	v_writelane_b32 v254, s1, 39
	v_cmp_gt_i64_e64 s[0:1], 0, v[8:9]
	v_not_b32_e32 v139, v9
	v_writelane_b32 v254, s0, 40
	v_lshlrev_b32_e32 v9, 29, v88
	v_writelane_b32 v254, s1, 41
	v_cmp_gt_i64_e64 s[0:1], 0, v[8:9]
	v_not_b32_e32 v141, v9
	v_writelane_b32 v254, s0, 42
	v_and_b32_e32 v9, 0xf0000000, v4
	v_writelane_b32 v254, s1, 43
	v_lshrrev_b32_e32 v2, 4, v5
	v_cmp_gt_i64_e64 s[0:1], 0, v[8:9]
	v_not_b32_e32 v143, v9
	v_writelane_b32 v254, s0, 44
	v_lshlrev_b32_e32 v9, 30, v2
	v_writelane_b32 v254, s1, 45
	v_cmp_gt_i64_e64 s[0:1], 0, v[8:9]
	v_not_b32_e32 v145, v9
	v_writelane_b32 v254, s0, 46
	v_lshlrev_b32_e32 v9, 29, v2
	v_writelane_b32 v254, s1, 47
	v_cmp_gt_i64_e64 s[0:1], 0, v[8:9]
	v_not_b32_e32 v147, v9
	v_writelane_b32 v254, s0, 48
	v_lshlrev_b32_e32 v9, 28, v2
	v_writelane_b32 v254, s1, 49
	v_lshrrev_b32_e32 v2, 12, v5
	v_cmp_gt_i64_e64 s[0:1], 0, v[8:9]
	v_not_b32_e32 v149, v9
	v_writelane_b32 v254, s0, 50
	v_lshlrev_b32_e32 v9, 30, v2
	v_writelane_b32 v254, s1, 51
	v_cmp_gt_i64_e64 s[0:1], 0, v[8:9]
	v_not_b32_e32 v151, v9
	v_writelane_b32 v254, s0, 52
	v_lshlrev_b32_e32 v9, 29, v2
	v_writelane_b32 v254, s1, 53
	v_cmp_gt_i64_e64 s[0:1], 0, v[8:9]
	v_not_b32_e32 v153, v9
	v_writelane_b32 v254, s0, 54
	v_lshlrev_b32_e32 v9, 28, v2
	;; [unrolled: 16-line block ×3, first 2 shown]
	v_writelane_b32 v254, s1, 61
	v_lshrrev_b32_e32 v96, 28, v5
	v_cmp_gt_i64_e64 s[0:1], 0, v[8:9]
	v_not_b32_e32 v161, v9
	v_writelane_b32 v254, s0, 62
	v_lshlrev_b32_e32 v9, 30, v96
	v_writelane_b32 v254, s1, 63
	v_cmp_gt_i64_e64 s[0:1], 0, v[8:9]
	v_not_b32_e32 v163, v9
	v_writelane_b32 v255, s0, 0
	v_lshlrev_b32_e32 v9, 29, v96
	v_writelane_b32 v255, s1, 1
	v_cmp_gt_i64_e64 s[0:1], 0, v[8:9]
	v_and_b32_e32 v50, 15, v4
	v_writelane_b32 v255, s0, 2
	v_bfe_u32 v52, v4, 8, 4
	v_writelane_b32 v255, s1, 3
	v_cmp_eq_u32_e64 s[0:1], v23, v28
	v_mul_u32_u24_e32 v23, 9, v50
	v_bfe_u32 v56, v4, 16, 4
	v_add_lshl_u32 v192, v21, v23, 2
	v_mul_u32_u24_e32 v23, 9, v52
	v_bfe_u32 v58, v4, 24, 4
	v_add_lshl_u32 v239, v21, v23, 2
	v_mul_u32_u24_e32 v23, 9, v56
	v_and_b32_e32 v60, 15, v5
	v_add_lshl_u32 v241, v21, v23, 2
	v_mul_u32_u24_e32 v23, 9, v58
	v_bfe_u32 v78, v5, 8, 4
	v_add_lshl_u32 v110, v21, v23, 2
	v_mul_u32_u24_e32 v23, 9, v60
	v_bfe_u32 v62, v5, 16, 4
	;; [unrolled: 3-line block ×3, first 2 shown]
	v_add_lshl_u32 v205, v21, v23, 2
	v_mul_u32_u24_e32 v23, 9, v62
	v_add_lshl_u32 v221, v21, v23, 2
	v_mul_u32_u24_e32 v23, 9, v66
	;; [unrolled: 2-line block ×3, first 2 shown]
	v_add_lshl_u32 v23, v21, v23, 2
	buffer_store_dword v23, off, s[96:99], 0 offset:408 ; 4-byte Folded Spill
	v_mul_u32_u24_e32 v23, 9, v48
	v_add_lshl_u32 v245, v21, v23, 2
	v_mul_u32_u24_e32 v23, 9, v54
	v_add_lshl_u32 v201, v21, v23, 2
	;; [unrolled: 2-line block ×5, first 2 shown]
	v_mul_u32_u24_e32 v23, 9, v74
	v_bfe_u32 v80, v4, 4, 4
	v_add_lshl_u32 v247, v21, v23, 2
	v_mul_u32_u24_e32 v23, 9, v76
	v_bfe_u32 v82, v4, 12, 4
	v_add_lshl_u32 v249, v21, v23, 2
	v_mul_u32_u24_e32 v23, 9, v80
	v_add_lshl_u32 v219, v21, v23, 2
	v_mul_u32_u24_e32 v23, 9, v82
	v_ashrrev_i32_e32 v82, 31, v0
	v_ashrrev_i32_e32 v0, 31, v157
	buffer_store_dword v0, off, s[96:99], 0 offset:424 ; 4-byte Folded Spill
	s_nop 0
	buffer_store_dword v1, off, s[96:99], 0 offset:428 ; 4-byte Folded Spill
	v_ashrrev_i32_e32 v0, 31, v159
	buffer_store_dword v0, off, s[96:99], 0 offset:432 ; 4-byte Folded Spill
	s_nop 0
	buffer_store_dword v1, off, s[96:99], 0 offset:436 ; 4-byte Folded Spill
	;; [unrolled: 4-line block ×4, first 2 shown]
	v_not_b32_e32 v165, v9
	v_ashrrev_i32_e32 v0, 31, v165
	v_and_b32_e32 v9, 0xf0000000, v5
	buffer_store_dword v0, off, s[96:99], 0 offset:456 ; 4-byte Folded Spill
	s_nop 0
	buffer_store_dword v1, off, s[96:99], 0 offset:460 ; 4-byte Folded Spill
	v_not_b32_e32 v1, v9
	v_mov_b32_e32 v0, v220
	v_ashrrev_i32_e32 v196, 31, v1
	buffer_store_dword v0, off, s[96:99], 0 offset:152 ; 4-byte Folded Spill
	s_nop 0
	buffer_store_dword v1, off, s[96:99], 0 offset:156 ; 4-byte Folded Spill
	v_mov_b32_e32 v1, v220
	v_mov_b32_e32 v0, v222
	buffer_store_dword v0, off, s[96:99], 0 offset:160 ; 4-byte Folded Spill
	s_nop 0
	buffer_store_dword v1, off, s[96:99], 0 offset:164 ; 4-byte Folded Spill
	v_mov_b32_e32 v0, v224
	buffer_store_dword v0, off, s[96:99], 0 offset:168 ; 4-byte Folded Spill
	s_nop 0
	buffer_store_dword v1, off, s[96:99], 0 offset:172 ; 4-byte Folded Spill
	;; [unrolled: 4-line block ×9, first 2 shown]
	v_ashrrev_i32_e32 v234, 31, v29
	v_mov_b32_e32 v0, v234
	buffer_store_dword v0, off, s[96:99], 0 offset:264 ; 4-byte Folded Spill
	s_nop 0
	buffer_store_dword v1, off, s[96:99], 0 offset:268 ; 4-byte Folded Spill
	v_ashrrev_i32_e32 v236, 31, v30
	v_mov_b32_e32 v0, v236
	buffer_store_dword v0, off, s[96:99], 0 offset:272 ; 4-byte Folded Spill
	s_nop 0
	buffer_store_dword v1, off, s[96:99], 0 offset:276 ; 4-byte Folded Spill
	;; [unrolled: 5-line block ×15, first 2 shown]
	v_and_b32_e32 v63, 0x100, v4
	v_and_b32_e32 v67, 0x10000, v4
	v_and_b32_e32 v71, 0x1000000, v4
	v_and_b32_e32 v184, 16, v4
	v_and_b32_e32 v185, 0x1000, v4
	v_bfe_u32 v84, v4, 20, 4
	v_and_b32_e32 v187, 0x100000, v4
	v_and_b32_e32 v188, 0x10000000, v4
	v_mul_u32_u24_e32 v4, 9, v44
	v_add_lshl_u32 v124, v21, v4, 2
	v_ashrrev_i32_e32 v4, 31, v59
	v_mov_b32_e32 v0, v4
	buffer_store_dword v0, off, s[96:99], 0 offset:384 ; 4-byte Folded Spill
	s_nop 0
	buffer_store_dword v1, off, s[96:99], 0 offset:388 ; 4-byte Folded Spill
	v_mul_u32_u24_e32 v2, 9, v31
	v_add_lshl_u32 v118, v21, v2, 2
	v_mul_u32_u24_e32 v2, 9, v38
	v_ashrrev_i32_e32 v38, 31, v61
	v_mov_b32_e32 v0, v38
	buffer_store_dword v0, off, s[96:99], 0 offset:392 ; 4-byte Folded Spill
	s_nop 0
	buffer_store_dword v1, off, s[96:99], 0 offset:396 ; 4-byte Folded Spill
	v_ashrrev_i32_e32 v40, 31, v104
	v_add_lshl_u32 v251, v21, v23, 2
	v_mul_u32_u24_e32 v23, 9, v84
	v_mov_b32_e32 v0, v40
	v_bfe_u32 v90, v5, 4, 4
	v_add_lshl_u32 v227, v21, v2, 2
	v_mul_u32_u24_e32 v2, 9, v42
	v_add_lshl_u32 v235, v21, v23, 2
	v_mul_u32_u24_e32 v23, 9, v88
	v_ashrrev_i32_e32 v56, 31, v99
	v_ashrrev_i32_e32 v152, 31, v115
	;; [unrolled: 1-line block ×3, first 2 shown]
	buffer_store_dword v0, off, s[96:99], 0 offset:400 ; 4-byte Folded Spill
	s_nop 0
	buffer_store_dword v1, off, s[96:99], 0 offset:404 ; 4-byte Folded Spill
	v_add_lshl_u32 v122, v21, v2, 2
	v_add_lshl_u32 v126, v21, v23, 2
	v_mul_u32_u24_e32 v23, 9, v90
	v_cmp_ne_u32_e64 s[26:27], 0, v17
	v_ashrrev_i32_e32 v90, 31, v95
	v_ashrrev_i32_e32 v2, 31, v137
	v_mov_b32_e32 v17, v218
	v_mov_b32_e32 v218, v56
	;; [unrolled: 1-line block ×8, first 2 shown]
	buffer_load_dword v210, off, s[96:99], 0 offset:424 ; 4-byte Folded Reload
	buffer_load_dword v211, off, s[96:99], 0 offset:428 ; 4-byte Folded Reload
	v_ashrrev_i32_e32 v172, 31, v135
	v_ashrrev_i32_e32 v202, 31, v153
	;; [unrolled: 1-line block ×3, first 2 shown]
	v_cmp_ne_u32_e64 s[28:29], 0, v19
	v_cmp_ne_u32_e64 s[58:59], 0, v86
	v_ashrrev_i32_e32 v84, 31, v179
	v_ashrrev_i32_e32 v86, 31, v181
	v_mov_b32_e32 v19, v200
	v_mov_b32_e32 v238, v172
	;; [unrolled: 1-line block ×8, first 2 shown]
	v_cmp_eq_u32_e64 s[34:35], 1, v27
	v_cmp_ne_u32_e64 s[72:73], 0, v183
	v_mov_b32_e32 v27, v206
	v_bfe_u32 v92, v5, 12, 4
	v_bfe_u32 v94, v5, 20, 4
	v_add_lshl_u32 v207, v21, v23, 2
	v_mul_u32_u24_e32 v23, 9, v92
	v_add_lshl_u32 v229, v21, v23, 2
	v_mul_u32_u24_e32 v23, 9, v94
	;; [unrolled: 2-line block ×3, first 2 shown]
	v_ashrrev_i32_e32 v170, 31, v133
	v_ashrrev_i32_e32 v208, 31, v149
	v_add_lshl_u32 v233, v21, v23, 2
	v_cmp_eq_u32_e64 s[24:25], 1, v15
	v_cmp_ne_u32_e64 s[76:77], 0, v185
	v_mov_b32_e32 v15, v194
	v_mov_b32_e32 v23, v236
	;; [unrolled: 1-line block ×7, first 2 shown]
	v_cmp_ne_u32_e64 s[78:79], 0, v187
	v_mov_b32_e32 v240, v2
	v_mov_b32_e32 v161, v2
	v_and_b32_e32 v176, 0x100, v5
	v_and_b32_e32 v190, 0x1000, v5
	;; [unrolled: 1-line block ×7, first 2 shown]
	v_ashrrev_i32_e32 v94, 31, v65
	v_ashrrev_i32_e32 v32, 31, v98
	;; [unrolled: 1-line block ×6, first 2 shown]
	v_cmp_ne_u32_e64 s[52:53], 0, v176
	v_ashrrev_i32_e32 v48, 31, v73
	v_ashrrev_i32_e32 v50, 31, v140
	;; [unrolled: 1-line block ×4, first 2 shown]
	v_cmp_ne_u32_e64 s[60:61], 0, v102
	v_ashrrev_i32_e32 v54, 31, v79
	v_cmp_ne_u32_e64 s[62:63], 0, v174
	v_ashrrev_i32_e32 v58, 31, v81
	v_ashrrev_i32_e32 v60, 31, v83
	v_cmp_ne_u32_e64 s[66:67], 0, v178
	v_cmp_ne_u32_e64 s[68:69], 0, v180
	;; [unrolled: 1-line block ×3, first 2 shown]
	v_ashrrev_i32_e32 v88, 31, v93
	v_cmp_ne_u32_e64 s[74:75], 0, v184
	v_ashrrev_i32_e32 v92, 31, v97
	v_cmp_ne_u32_e64 s[80:81], 0, v188
	v_ashrrev_i32_e32 v96, 31, v101
	v_ashrrev_i32_e32 v98, 31, v103
	v_cmp_ne_u32_e64 s[84:85], 0, v190
	v_ashrrev_i32_e32 v100, 31, v105
	v_ashrrev_i32_e32 v102, 31, v107
	;; [unrolled: 1-line block ×5, first 2 shown]
	s_waitcnt vmcnt(1)
	v_mov_b32_e32 v204, v210
	v_mov_b32_e32 v181, v210
	buffer_load_dword v210, off, s[96:99], 0 offset:432 ; 4-byte Folded Reload
	buffer_load_dword v211, off, s[96:99], 0 offset:436 ; 4-byte Folded Reload
	v_ashrrev_i32_e32 v174, 31, v89
	v_ashrrev_i32_e32 v176, 31, v91
	;; [unrolled: 1-line block ×27, first 2 shown]
	v_cmp_ne_u32_e64 s[30:31], 0, v25
	v_cmp_ne_u32_e64 s[36:37], 0, v33
	;; [unrolled: 1-line block ×4, first 2 shown]
	v_cmp_eq_u32_e64 s[42:43], 1, v53
	v_cmp_ne_u32_e64 s[44:45], 0, v63
	v_cmp_ne_u32_e64 s[46:47], 0, v67
	;; [unrolled: 1-line block ×3, first 2 shown]
	v_cmp_eq_u32_e64 s[50:51], 1, v75
	v_cmp_ne_u32_e64 s[54:55], 0, v12
	v_cmp_ne_u32_e64 s[56:57], 0, v85
	;; [unrolled: 1-line block ×6, first 2 shown]
	v_cmp_gt_i64_e64 s[90:91], 0, v[8:9]
	v_mov_b32_e32 v3, v222
	v_mov_b32_e32 v5, v224
	v_mov_b32_e32 v7, v226
	v_mov_b32_e32 v9, v228
	v_mov_b32_e32 v11, v230
	v_mov_b32_e32 v13, v232
	v_mov_b32_e32 v21, v234
	v_mov_b32_e32 v25, v30
	v_mov_b32_e32 v29, v28
	v_mov_b32_e32 v31, v64
	v_mov_b32_e32 v33, v78
	v_mov_b32_e32 v35, v66
	v_mov_b32_e32 v37, v62
	v_mov_b32_e32 v39, v70
	v_mov_b32_e32 v41, v72
	v_mov_b32_e32 v43, v68
	v_mov_b32_e32 v45, v76
	v_mov_b32_e32 v47, v74
	v_mov_b32_e32 v49, v80
	v_mov_b32_e32 v51, v4
	v_mov_b32_e32 v53, v38
	v_mov_b32_e32 v55, v40
	v_mov_b32_e32 v10, v94
	v_mov_b32_e32 v57, v94
	v_mov_b32_e32 v12, v32
	v_mov_b32_e32 v59, v32
	v_mov_b32_e32 v14, v42
	v_mov_b32_e32 v61, v42
	v_mov_b32_e32 v16, v44
	v_mov_b32_e32 v63, v44
	v_mov_b32_e32 v18, v46
	v_mov_b32_e32 v65, v46
	v_mov_b32_e32 v20, v34
	v_mov_b32_e32 v67, v34
	v_mov_b32_e32 v22, v48
	v_mov_b32_e32 v69, v48
	s_waitcnt vmcnt(1)
	v_mov_b32_e32 v206, v210
	v_mov_b32_e32 v183, v210
	buffer_load_dword v210, off, s[96:99], 0 offset:440 ; 4-byte Folded Reload
	buffer_load_dword v211, off, s[96:99], 0 offset:444 ; 4-byte Folded Reload
	v_mov_b32_e32 v24, v50
	v_mov_b32_e32 v71, v50
	;; [unrolled: 1-line block ×79, first 2 shown]
	s_waitcnt vmcnt(1)
	v_mov_b32_e32 v208, v210
	v_mov_b32_e32 v185, v210
	buffer_load_dword v210, off, s[96:99], 0 offset:448 ; 4-byte Folded Reload
	buffer_load_dword v211, off, s[96:99], 0 offset:452 ; 4-byte Folded Reload
	v_mov_b32_e32 v149, v162
	v_mov_b32_e32 v162, v167
	v_mov_b32_e32 v232, v164
	v_mov_b32_e32 v151, v164
	v_mov_b32_e32 v164, v166
	v_mov_b32_e32 v153, v166
	v_mov_b32_e32 v166, v169
	v_mov_b32_e32 v234, v168
	v_mov_b32_e32 v155, v168
	v_mov_b32_e32 v168, v171
	v_mov_b32_e32 v244, v212
	v_mov_b32_e32 v165, v212
	v_mov_b32_e32 v246, v214
	v_mov_b32_e32 v167, v214
	v_mov_b32_e32 v248, v216
	v_mov_b32_e32 v169, v216
	v_mov_b32_e32 v250, v6
	v_mov_b32_e32 v171, v6
	v_mov_b32_e32 v175, v198
	v_mov_b32_e32 v6, v196
	v_mov_b32_e32 v191, v196
	s_waitcnt vmcnt(1)
	v_mov_b32_e32 v2, v210
	v_mov_b32_e32 v187, v210
	buffer_load_dword v210, off, s[96:99], 0 offset:456 ; 4-byte Folded Reload
	buffer_load_dword v211, off, s[96:99], 0 offset:460 ; 4-byte Folded Reload
	s_waitcnt vmcnt(1)
	v_mov_b32_e32 v4, v210
	v_mov_b32_e32 v189, v210
	;; [unrolled: 1-line block ×3, first 2 shown]
	s_branch .LBB86_2
.LBB86_1:                               ;   in Loop: Header=BB86_2 Depth=1
	s_or_b64 exec, exec, s[94:95]
	buffer_load_dword v217, off, s[96:99], 0 ; 4-byte Folded Reload
	s_waitcnt lgkmcnt(0)
	v_add_u32_e32 v196, v197, v196
	s_add_i32 s33, s33, -1
	s_cmp_eq_u32 s33, 0
	s_waitcnt vmcnt(0)
	ds_bpermute_b32 v196, v217, v196
	s_waitcnt lgkmcnt(0)
	v_cndmask_b32_e64 v196, v196, v197, s[92:93]
	ds_write_b32 v193, v196 offset:32
	s_waitcnt lgkmcnt(0)
	s_barrier
	s_cbranch_scc1 .LBB86_78
.LBB86_2:                               ; =>This Inner Loop Header: Depth=1
	v_cndmask_b32_e64 v62, 0, 1, s[24:25]
	ds_write_b32 v193, v8 offset:32
	s_waitcnt lgkmcnt(0)
	s_barrier
	v_cmp_ne_u32_e32 vcc, 0, v62
	buffer_load_dword v62, off, s[96:99], 0 offset:28 ; 4-byte Folded Reload
	buffer_load_dword v64, off, s[96:99], 0 offset:24 ; 4-byte Folded Reload
	;; [unrolled: 1-line block ×4, first 2 shown]
	v_readlane_b32 s94, v252, 6
	v_readlane_b32 s95, v252, 7
	v_cndmask_b32_e64 v66, 0, 1, s[94:95]
	v_readlane_b32 s94, v252, 8
	v_readlane_b32 s95, v252, 9
	s_waitcnt vmcnt(3)
	v_xor_b32_e32 v62, vcc_hi, v62
	s_waitcnt vmcnt(2)
	v_xor_b32_e32 v64, vcc_lo, v64
	v_cmp_ne_u32_e32 vcc, 0, v66
	s_waitcnt vmcnt(1)
	v_xor_b32_e32 v68, vcc_lo, v196
	buffer_load_dword v196, off, s[96:99], 0 offset:160 ; 4-byte Folded Reload
	buffer_load_dword v197, off, s[96:99], 0 offset:164 ; 4-byte Folded Reload
	v_and_b32_e32 v62, exec_hi, v62
	v_xor_b32_e32 v66, vcc_hi, v1
	v_and_b32_e32 v62, v62, v66
	v_cndmask_b32_e64 v66, 0, 1, s[94:95]
	v_and_b32_e32 v64, exec_lo, v64
	v_cmp_ne_u32_e32 vcc, 0, v66
	v_and_b32_e32 v64, v64, v68
	v_readlane_b32 s94, v252, 10
	v_xor_b32_e32 v66, vcc_hi, v3
	v_readlane_b32 s95, v252, 11
	v_and_b32_e32 v62, v62, v66
	v_cndmask_b32_e64 v66, 0, 1, s[94:95]
	s_waitcnt vmcnt(1)
	v_xor_b32_e32 v68, vcc_lo, v196
	buffer_load_dword v196, off, s[96:99], 0 offset:168 ; 4-byte Folded Reload
	buffer_load_dword v197, off, s[96:99], 0 offset:172 ; 4-byte Folded Reload
	v_cmp_ne_u32_e32 vcc, 0, v66
	v_and_b32_e32 v64, v64, v68
	v_xor_b32_e32 v66, vcc_hi, v5
	s_waitcnt vmcnt(0)
	v_and_b32_e32 v197, v62, v66
	; wave barrier
	v_xor_b32_e32 v68, vcc_lo, v196
	v_and_b32_e32 v196, v64, v68
	v_mbcnt_lo_u32_b32 v62, v196, 0
	v_mbcnt_hi_u32_b32 v62, v197, v62
	v_cmp_eq_u32_e64 s[94:95], 0, v62
	v_cmp_ne_u64_e32 vcc, 0, v[196:197]
	s_and_b64 vcc, vcc, s[94:95]
	s_and_saveexec_b64 s[94:95], vcc
	s_cbranch_execz .LBB86_4
; %bb.3:                                ;   in Loop: Header=BB86_2 Depth=1
	buffer_load_dword v64, off, s[96:99], 0 offset:412 ; 4-byte Folded Reload
	v_bcnt_u32_b32 v62, v196, 0
	v_bcnt_u32_b32 v62, v197, v62
	s_waitcnt vmcnt(0)
	ds_write_b32 v64, v62 offset:32
.LBB86_4:                               ;   in Loop: Header=BB86_2 Depth=1
	s_or_b64 exec, exec, s[94:95]
	; wave barrier
	buffer_load_dword v62, off, s[96:99], 0 offset:4 ; 4-byte Folded Reload
	buffer_load_dword v66, off, s[96:99], 0 offset:32 ; 4-byte Folded Reload
	v_cndmask_b32_e64 v64, 0, 1, s[26:27]
	v_cmp_ne_u32_e32 vcc, 0, v64
	buffer_load_dword v64, off, s[96:99], 0 offset:36 ; 4-byte Folded Reload
	v_readlane_b32 s94, v252, 12
	v_readlane_b32 s95, v252, 13
	v_cndmask_b32_e64 v68, 0, 1, s[94:95]
	v_readlane_b32 s94, v252, 14
	v_readlane_b32 s95, v252, 15
	s_waitcnt vmcnt(2)
	ds_read_b32 v62, v62 offset:32
	buffer_load_dword v196, off, s[96:99], 0 offset:176 ; 4-byte Folded Reload
	buffer_load_dword v197, off, s[96:99], 0 offset:180 ; 4-byte Folded Reload
	s_waitcnt vmcnt(3)
	v_xor_b32_e32 v66, vcc_lo, v66
	v_and_b32_e32 v66, exec_lo, v66
	s_waitcnt vmcnt(2)
	v_xor_b32_e32 v64, vcc_hi, v64
	v_cmp_ne_u32_e32 vcc, 0, v68
	v_and_b32_e32 v64, exec_hi, v64
	v_xor_b32_e32 v68, vcc_hi, v7
	v_and_b32_e32 v64, v64, v68
	v_cndmask_b32_e64 v68, 0, 1, s[94:95]
	v_readlane_b32 s94, v252, 16
	v_readlane_b32 s95, v252, 17
	s_waitcnt vmcnt(1)
	v_xor_b32_e32 v70, vcc_lo, v196
	buffer_load_dword v196, off, s[96:99], 0 offset:184 ; 4-byte Folded Reload
	buffer_load_dword v197, off, s[96:99], 0 offset:188 ; 4-byte Folded Reload
	v_cmp_ne_u32_e32 vcc, 0, v68
	v_and_b32_e32 v66, v66, v70
	v_xor_b32_e32 v68, vcc_hi, v9
	v_and_b32_e32 v64, v64, v68
	v_cndmask_b32_e64 v68, 0, 1, s[94:95]
	s_waitcnt vmcnt(1)
	v_xor_b32_e32 v70, vcc_lo, v196
	buffer_load_dword v196, off, s[96:99], 0 offset:204 ; 4-byte Folded Reload
	buffer_load_dword v197, off, s[96:99], 0 offset:208 ; 4-byte Folded Reload
	v_cmp_ne_u32_e32 vcc, 0, v68
	v_and_b32_e32 v66, v66, v70
	v_xor_b32_e32 v68, vcc_hi, v11
	s_waitcnt vmcnt(0)
	v_and_b32_e32 v197, v64, v68
	; wave barrier
	v_xor_b32_e32 v70, vcc_lo, v196
	v_and_b32_e32 v196, v66, v70
	v_mbcnt_lo_u32_b32 v64, v196, 0
	v_mbcnt_hi_u32_b32 v64, v197, v64
	v_cmp_eq_u32_e32 vcc, 0, v64
	v_cmp_ne_u64_e64 s[94:95], 0, v[196:197]
	s_and_b64 vcc, s[94:95], vcc
	s_and_saveexec_b64 s[94:95], vcc
	s_cbranch_execz .LBB86_6
; %bb.5:                                ;   in Loop: Header=BB86_2 Depth=1
	v_bcnt_u32_b32 v64, v196, 0
	v_bcnt_u32_b32 v64, v197, v64
	s_waitcnt lgkmcnt(0)
	v_add_u32_e32 v62, v62, v64
	buffer_load_dword v64, off, s[96:99], 0 offset:4 ; 4-byte Folded Reload
	s_waitcnt vmcnt(0)
	ds_write_b32 v64, v62 offset:32
.LBB86_6:                               ;   in Loop: Header=BB86_2 Depth=1
	s_or_b64 exec, exec, s[94:95]
	; wave barrier
	s_waitcnt lgkmcnt(0)
	buffer_load_dword v62, off, s[96:99], 0 offset:8 ; 4-byte Folded Reload
	buffer_load_dword v66, off, s[96:99], 0 offset:40 ; 4-byte Folded Reload
	v_cndmask_b32_e64 v64, 0, 1, s[28:29]
	v_cmp_ne_u32_e32 vcc, 0, v64
	buffer_load_dword v64, off, s[96:99], 0 offset:44 ; 4-byte Folded Reload
	v_readlane_b32 s94, v252, 18
	v_readlane_b32 s95, v252, 19
	v_cndmask_b32_e64 v68, 0, 1, s[94:95]
	v_readlane_b32 s94, v252, 20
	v_readlane_b32 s95, v252, 21
	s_waitcnt vmcnt(2)
	ds_read_b32 v62, v62 offset:32
	buffer_load_dword v196, off, s[96:99], 0 offset:220 ; 4-byte Folded Reload
	buffer_load_dword v197, off, s[96:99], 0 offset:224 ; 4-byte Folded Reload
	s_waitcnt vmcnt(3)
	v_xor_b32_e32 v66, vcc_lo, v66
	v_and_b32_e32 v66, exec_lo, v66
	s_waitcnt vmcnt(2)
	v_xor_b32_e32 v64, vcc_hi, v64
	v_cmp_ne_u32_e32 vcc, 0, v68
	v_and_b32_e32 v64, exec_hi, v64
	v_xor_b32_e32 v68, vcc_hi, v13
	v_and_b32_e32 v64, v64, v68
	v_cndmask_b32_e64 v68, 0, 1, s[94:95]
	v_readlane_b32 s94, v252, 22
	v_readlane_b32 s95, v252, 23
	s_waitcnt vmcnt(1)
	v_xor_b32_e32 v70, vcc_lo, v196
	buffer_load_dword v196, off, s[96:99], 0 offset:236 ; 4-byte Folded Reload
	buffer_load_dword v197, off, s[96:99], 0 offset:240 ; 4-byte Folded Reload
	v_cmp_ne_u32_e32 vcc, 0, v68
	v_and_b32_e32 v66, v66, v70
	v_xor_b32_e32 v68, vcc_hi, v15
	v_and_b32_e32 v64, v64, v68
	v_cndmask_b32_e64 v68, 0, 1, s[94:95]
	s_waitcnt vmcnt(1)
	v_xor_b32_e32 v70, vcc_lo, v196
	buffer_load_dword v196, off, s[96:99], 0 offset:248 ; 4-byte Folded Reload
	buffer_load_dword v197, off, s[96:99], 0 offset:252 ; 4-byte Folded Reload
	v_cmp_ne_u32_e32 vcc, 0, v68
	v_and_b32_e32 v66, v66, v70
	v_xor_b32_e32 v68, vcc_hi, v17
	s_waitcnt vmcnt(0)
	v_and_b32_e32 v197, v64, v68
	; wave barrier
	v_xor_b32_e32 v70, vcc_lo, v196
	v_and_b32_e32 v196, v66, v70
	v_mbcnt_lo_u32_b32 v64, v196, 0
	v_mbcnt_hi_u32_b32 v64, v197, v64
	v_cmp_eq_u32_e32 vcc, 0, v64
	v_cmp_ne_u64_e64 s[94:95], 0, v[196:197]
	s_and_b64 vcc, s[94:95], vcc
	s_and_saveexec_b64 s[94:95], vcc
	s_cbranch_execz .LBB86_8
; %bb.7:                                ;   in Loop: Header=BB86_2 Depth=1
	v_bcnt_u32_b32 v64, v196, 0
	v_bcnt_u32_b32 v64, v197, v64
	s_waitcnt lgkmcnt(0)
	v_add_u32_e32 v62, v62, v64
	buffer_load_dword v64, off, s[96:99], 0 offset:8 ; 4-byte Folded Reload
	s_waitcnt vmcnt(0)
	ds_write_b32 v64, v62 offset:32
.LBB86_8:                               ;   in Loop: Header=BB86_2 Depth=1
	s_or_b64 exec, exec, s[94:95]
	; wave barrier
	s_waitcnt lgkmcnt(0)
	buffer_load_dword v62, off, s[96:99], 0 offset:12 ; 4-byte Folded Reload
	buffer_load_dword v66, off, s[96:99], 0 offset:48 ; 4-byte Folded Reload
	v_cndmask_b32_e64 v64, 0, 1, s[30:31]
	v_cmp_ne_u32_e32 vcc, 0, v64
	buffer_load_dword v64, off, s[96:99], 0 offset:52 ; 4-byte Folded Reload
	v_readlane_b32 s94, v252, 24
	v_readlane_b32 s95, v252, 25
	v_cndmask_b32_e64 v68, 0, 1, s[94:95]
	v_readlane_b32 s94, v252, 26
	v_readlane_b32 s95, v252, 27
	s_waitcnt vmcnt(2)
	ds_read_b32 v62, v62 offset:32
	buffer_load_dword v196, off, s[96:99], 0 offset:256 ; 4-byte Folded Reload
	buffer_load_dword v197, off, s[96:99], 0 offset:260 ; 4-byte Folded Reload
	s_waitcnt vmcnt(3)
	v_xor_b32_e32 v66, vcc_lo, v66
	v_and_b32_e32 v66, exec_lo, v66
	s_waitcnt vmcnt(2)
	v_xor_b32_e32 v64, vcc_hi, v64
	v_cmp_ne_u32_e32 vcc, 0, v68
	v_and_b32_e32 v64, exec_hi, v64
	v_xor_b32_e32 v68, vcc_hi, v19
	v_and_b32_e32 v64, v64, v68
	v_cndmask_b32_e64 v68, 0, 1, s[94:95]
	v_readlane_b32 s94, v252, 28
	v_readlane_b32 s95, v252, 29
	s_waitcnt vmcnt(1)
	v_xor_b32_e32 v70, vcc_lo, v196
	buffer_load_dword v196, off, s[96:99], 0 offset:264 ; 4-byte Folded Reload
	buffer_load_dword v197, off, s[96:99], 0 offset:268 ; 4-byte Folded Reload
	v_cmp_ne_u32_e32 vcc, 0, v68
	v_and_b32_e32 v66, v66, v70
	v_xor_b32_e32 v68, vcc_hi, v21
	v_and_b32_e32 v64, v64, v68
	v_cndmask_b32_e64 v68, 0, 1, s[94:95]
	s_waitcnt vmcnt(1)
	v_xor_b32_e32 v70, vcc_lo, v196
	buffer_load_dword v196, off, s[96:99], 0 offset:272 ; 4-byte Folded Reload
	buffer_load_dword v197, off, s[96:99], 0 offset:276 ; 4-byte Folded Reload
	v_cmp_ne_u32_e32 vcc, 0, v68
	v_and_b32_e32 v66, v66, v70
	v_xor_b32_e32 v68, vcc_hi, v23
	s_waitcnt vmcnt(0)
	v_and_b32_e32 v197, v64, v68
	; wave barrier
	v_xor_b32_e32 v70, vcc_lo, v196
	v_and_b32_e32 v196, v66, v70
	v_mbcnt_lo_u32_b32 v64, v196, 0
	v_mbcnt_hi_u32_b32 v64, v197, v64
	v_cmp_eq_u32_e32 vcc, 0, v64
	v_cmp_ne_u64_e64 s[94:95], 0, v[196:197]
	s_and_b64 vcc, s[94:95], vcc
	s_and_saveexec_b64 s[94:95], vcc
	s_cbranch_execz .LBB86_10
; %bb.9:                                ;   in Loop: Header=BB86_2 Depth=1
	v_bcnt_u32_b32 v64, v196, 0
	v_bcnt_u32_b32 v64, v197, v64
	s_waitcnt lgkmcnt(0)
	v_add_u32_e32 v62, v62, v64
	buffer_load_dword v64, off, s[96:99], 0 offset:12 ; 4-byte Folded Reload
	s_waitcnt vmcnt(0)
	ds_write_b32 v64, v62 offset:32
.LBB86_10:                              ;   in Loop: Header=BB86_2 Depth=1
	s_or_b64 exec, exec, s[94:95]
	v_cndmask_b32_e64 v64, 0, 1, s[34:35]
	; wave barrier
	v_cmp_ne_u32_e32 vcc, 0, v64
	buffer_load_dword v64, off, s[96:99], 0 offset:60 ; 4-byte Folded Reload
	buffer_load_dword v66, off, s[96:99], 0 offset:56 ; 4-byte Folded Reload
	s_waitcnt lgkmcnt(0)
	ds_read_b32 v62, v118 offset:32
	buffer_load_dword v196, off, s[96:99], 0 offset:280 ; 4-byte Folded Reload
	buffer_load_dword v197, off, s[96:99], 0 offset:284 ; 4-byte Folded Reload
	v_readlane_b32 s94, v252, 30
	v_readlane_b32 s95, v252, 31
	v_cndmask_b32_e64 v68, 0, 1, s[94:95]
	v_readlane_b32 s94, v252, 32
	v_readlane_b32 s95, v252, 33
	s_waitcnt vmcnt(3)
	v_xor_b32_e32 v64, vcc_hi, v64
	s_waitcnt vmcnt(2)
	v_xor_b32_e32 v66, vcc_lo, v66
	v_cmp_ne_u32_e32 vcc, 0, v68
	s_waitcnt vmcnt(1)
	v_xor_b32_e32 v70, vcc_lo, v196
	buffer_load_dword v196, off, s[96:99], 0 offset:288 ; 4-byte Folded Reload
	buffer_load_dword v197, off, s[96:99], 0 offset:292 ; 4-byte Folded Reload
	v_and_b32_e32 v64, exec_hi, v64
	v_xor_b32_e32 v68, vcc_hi, v25
	v_and_b32_e32 v64, v64, v68
	v_cndmask_b32_e64 v68, 0, 1, s[94:95]
	v_and_b32_e32 v66, exec_lo, v66
	v_cmp_ne_u32_e32 vcc, 0, v68
	v_and_b32_e32 v66, v66, v70
	v_readlane_b32 s94, v252, 34
	v_xor_b32_e32 v68, vcc_hi, v27
	v_readlane_b32 s95, v252, 35
	v_and_b32_e32 v64, v64, v68
	v_cndmask_b32_e64 v68, 0, 1, s[94:95]
	s_waitcnt vmcnt(1)
	v_xor_b32_e32 v70, vcc_lo, v196
	buffer_load_dword v196, off, s[96:99], 0 offset:296 ; 4-byte Folded Reload
	buffer_load_dword v197, off, s[96:99], 0 offset:300 ; 4-byte Folded Reload
	v_cmp_ne_u32_e32 vcc, 0, v68
	v_and_b32_e32 v66, v66, v70
	v_xor_b32_e32 v68, vcc_hi, v29
	s_waitcnt vmcnt(0)
	v_and_b32_e32 v197, v64, v68
	; wave barrier
	v_xor_b32_e32 v70, vcc_lo, v196
	v_and_b32_e32 v196, v66, v70
	v_mbcnt_lo_u32_b32 v64, v196, 0
	v_mbcnt_hi_u32_b32 v64, v197, v64
	v_cmp_eq_u32_e32 vcc, 0, v64
	v_cmp_ne_u64_e64 s[94:95], 0, v[196:197]
	s_and_b64 vcc, s[94:95], vcc
	s_and_saveexec_b64 s[94:95], vcc
	s_cbranch_execz .LBB86_12
; %bb.11:                               ;   in Loop: Header=BB86_2 Depth=1
	v_bcnt_u32_b32 v64, v196, 0
	v_bcnt_u32_b32 v64, v197, v64
	s_waitcnt lgkmcnt(0)
	v_add_u32_e32 v62, v62, v64
	ds_write_b32 v118, v62 offset:32
.LBB86_12:                              ;   in Loop: Header=BB86_2 Depth=1
	s_or_b64 exec, exec, s[94:95]
	v_cndmask_b32_e64 v64, 0, 1, s[36:37]
	; wave barrier
	v_cmp_ne_u32_e32 vcc, 0, v64
	buffer_load_dword v64, off, s[96:99], 0 offset:68 ; 4-byte Folded Reload
	buffer_load_dword v66, off, s[96:99], 0 offset:64 ; 4-byte Folded Reload
	s_waitcnt lgkmcnt(0)
	ds_read_b32 v62, v227 offset:32
	buffer_load_dword v196, off, s[96:99], 0 offset:304 ; 4-byte Folded Reload
	buffer_load_dword v197, off, s[96:99], 0 offset:308 ; 4-byte Folded Reload
	v_readlane_b32 s94, v252, 36
	v_readlane_b32 s95, v252, 37
	v_cndmask_b32_e64 v68, 0, 1, s[94:95]
	v_readlane_b32 s94, v252, 38
	v_readlane_b32 s95, v252, 39
	s_waitcnt vmcnt(3)
	v_xor_b32_e32 v64, vcc_hi, v64
	s_waitcnt vmcnt(2)
	v_xor_b32_e32 v66, vcc_lo, v66
	v_cmp_ne_u32_e32 vcc, 0, v68
	s_waitcnt vmcnt(1)
	v_xor_b32_e32 v70, vcc_lo, v196
	buffer_load_dword v196, off, s[96:99], 0 offset:312 ; 4-byte Folded Reload
	buffer_load_dword v197, off, s[96:99], 0 offset:316 ; 4-byte Folded Reload
	v_and_b32_e32 v64, exec_hi, v64
	v_xor_b32_e32 v68, vcc_hi, v31
	v_and_b32_e32 v64, v64, v68
	v_cndmask_b32_e64 v68, 0, 1, s[94:95]
	v_and_b32_e32 v66, exec_lo, v66
	v_cmp_ne_u32_e32 vcc, 0, v68
	v_and_b32_e32 v66, v66, v70
	v_readlane_b32 s94, v252, 40
	v_xor_b32_e32 v68, vcc_hi, v33
	v_readlane_b32 s95, v252, 41
	v_and_b32_e32 v64, v64, v68
	v_cndmask_b32_e64 v68, 0, 1, s[94:95]
	s_waitcnt vmcnt(1)
	v_xor_b32_e32 v70, vcc_lo, v196
	buffer_load_dword v196, off, s[96:99], 0 offset:320 ; 4-byte Folded Reload
	buffer_load_dword v197, off, s[96:99], 0 offset:324 ; 4-byte Folded Reload
	v_cmp_ne_u32_e32 vcc, 0, v68
	v_and_b32_e32 v66, v66, v70
	v_xor_b32_e32 v68, vcc_hi, v35
	s_waitcnt vmcnt(0)
	v_and_b32_e32 v197, v64, v68
	; wave barrier
	v_xor_b32_e32 v70, vcc_lo, v196
	v_and_b32_e32 v196, v66, v70
	v_mbcnt_lo_u32_b32 v64, v196, 0
	v_mbcnt_hi_u32_b32 v64, v197, v64
	v_cmp_eq_u32_e32 vcc, 0, v64
	v_cmp_ne_u64_e64 s[94:95], 0, v[196:197]
	s_and_b64 vcc, s[94:95], vcc
	s_and_saveexec_b64 s[94:95], vcc
	s_cbranch_execz .LBB86_14
; %bb.13:                               ;   in Loop: Header=BB86_2 Depth=1
	v_bcnt_u32_b32 v64, v196, 0
	v_bcnt_u32_b32 v64, v197, v64
	s_waitcnt lgkmcnt(0)
	v_add_u32_e32 v62, v62, v64
	ds_write_b32 v227, v62 offset:32
.LBB86_14:                              ;   in Loop: Header=BB86_2 Depth=1
	;; [unrolled: 62-line block ×5, first 2 shown]
	s_or_b64 exec, exec, s[94:95]
	v_cndmask_b32_e64 v64, 0, 1, s[44:45]
	; wave barrier
	v_cmp_ne_u32_e32 vcc, 0, v64
	buffer_load_dword v64, off, s[96:99], 0 offset:100 ; 4-byte Folded Reload
	buffer_load_dword v66, off, s[96:99], 0 offset:96 ; 4-byte Folded Reload
	s_waitcnt lgkmcnt(0)
	ds_read_b32 v62, v239 offset:32
	buffer_load_dword v196, off, s[96:99], 0 offset:400 ; 4-byte Folded Reload
	buffer_load_dword v197, off, s[96:99], 0 offset:404 ; 4-byte Folded Reload
	v_readlane_b32 s94, v252, 60
	v_readlane_b32 s95, v252, 61
	v_cndmask_b32_e64 v68, 0, 1, s[94:95]
	v_readlane_b32 s94, v252, 62
	v_readlane_b32 s95, v252, 63
	; wave barrier
	s_waitcnt vmcnt(3)
	v_xor_b32_e32 v64, vcc_hi, v64
	s_waitcnt vmcnt(2)
	v_xor_b32_e32 v66, vcc_lo, v66
	v_cmp_ne_u32_e32 vcc, 0, v68
	v_and_b32_e32 v64, exec_hi, v64
	v_xor_b32_e32 v68, vcc_hi, v55
	v_and_b32_e32 v64, v64, v68
	v_cndmask_b32_e64 v68, 0, 1, s[94:95]
	v_and_b32_e32 v66, exec_lo, v66
	s_waitcnt vmcnt(1)
	v_xor_b32_e32 v70, vcc_lo, v196
	v_cmp_ne_u32_e32 vcc, 0, v68
	v_readlane_b32 s94, v253, 0
	v_and_b32_e32 v66, v66, v70
	v_xor_b32_e32 v68, vcc_hi, v57
	v_mov_b32_e32 v70, v10
	v_readlane_b32 s95, v253, 1
	v_xor_b32_e32 v70, vcc_lo, v70
	v_and_b32_e32 v64, v64, v68
	v_cndmask_b32_e64 v68, 0, 1, s[94:95]
	v_and_b32_e32 v66, v66, v70
	v_cmp_ne_u32_e32 vcc, 0, v68
	v_mov_b32_e32 v70, v12
	v_xor_b32_e32 v70, vcc_lo, v70
	v_xor_b32_e32 v68, vcc_hi, v59
	v_and_b32_e32 v196, v66, v70
	s_waitcnt vmcnt(0)
	v_and_b32_e32 v197, v64, v68
	v_mbcnt_lo_u32_b32 v64, v196, 0
	v_mbcnt_hi_u32_b32 v64, v197, v64
	v_cmp_eq_u32_e32 vcc, 0, v64
	v_cmp_ne_u64_e64 s[94:95], 0, v[196:197]
	s_and_b64 vcc, s[94:95], vcc
	s_and_saveexec_b64 s[94:95], vcc
	s_cbranch_execz .LBB86_22
; %bb.21:                               ;   in Loop: Header=BB86_2 Depth=1
	v_bcnt_u32_b32 v64, v196, 0
	v_bcnt_u32_b32 v64, v197, v64
	s_waitcnt lgkmcnt(0)
	v_add_u32_e32 v62, v62, v64
	ds_write_b32 v239, v62 offset:32
.LBB86_22:                              ;   in Loop: Header=BB86_2 Depth=1
	s_or_b64 exec, exec, s[94:95]
	v_cndmask_b32_e64 v64, 0, 1, s[46:47]
	; wave barrier
	v_cmp_ne_u32_e32 vcc, 0, v64
	buffer_load_dword v64, off, s[96:99], 0 offset:108 ; 4-byte Folded Reload
	buffer_load_dword v66, off, s[96:99], 0 offset:104 ; 4-byte Folded Reload
	v_readlane_b32 s94, v253, 2
	v_readlane_b32 s95, v253, 3
	v_cndmask_b32_e64 v68, 0, 1, s[94:95]
	v_readlane_b32 s94, v253, 4
	v_readlane_b32 s95, v253, 5
	v_mov_b32_e32 v70, v14
	s_waitcnt lgkmcnt(0)
	ds_read_b32 v62, v241 offset:32
	; wave barrier
	s_waitcnt vmcnt(1)
	v_xor_b32_e32 v64, vcc_hi, v64
	s_waitcnt vmcnt(0)
	v_xor_b32_e32 v66, vcc_lo, v66
	v_cmp_ne_u32_e32 vcc, 0, v68
	v_and_b32_e32 v64, exec_hi, v64
	v_xor_b32_e32 v68, vcc_hi, v61
	v_and_b32_e32 v64, v64, v68
	v_cndmask_b32_e64 v68, 0, 1, s[94:95]
	v_and_b32_e32 v66, exec_lo, v66
	v_xor_b32_e32 v70, vcc_lo, v70
	v_cmp_ne_u32_e32 vcc, 0, v68
	v_readlane_b32 s94, v253, 6
	v_and_b32_e32 v66, v66, v70
	v_xor_b32_e32 v68, vcc_hi, v63
	v_mov_b32_e32 v70, v16
	v_readlane_b32 s95, v253, 7
	v_xor_b32_e32 v70, vcc_lo, v70
	v_and_b32_e32 v64, v64, v68
	v_cndmask_b32_e64 v68, 0, 1, s[94:95]
	v_and_b32_e32 v66, v66, v70
	v_cmp_ne_u32_e32 vcc, 0, v68
	v_mov_b32_e32 v70, v18
	v_xor_b32_e32 v70, vcc_lo, v70
	v_xor_b32_e32 v68, vcc_hi, v65
	v_and_b32_e32 v196, v66, v70
	v_and_b32_e32 v197, v64, v68
	v_mbcnt_lo_u32_b32 v64, v196, 0
	v_mbcnt_hi_u32_b32 v64, v197, v64
	v_cmp_eq_u32_e32 vcc, 0, v64
	v_cmp_ne_u64_e64 s[94:95], 0, v[196:197]
	s_and_b64 vcc, s[94:95], vcc
	s_and_saveexec_b64 s[94:95], vcc
	s_cbranch_execz .LBB86_24
; %bb.23:                               ;   in Loop: Header=BB86_2 Depth=1
	v_bcnt_u32_b32 v64, v196, 0
	v_bcnt_u32_b32 v64, v197, v64
	s_waitcnt lgkmcnt(0)
	v_add_u32_e32 v62, v62, v64
	ds_write_b32 v241, v62 offset:32
.LBB86_24:                              ;   in Loop: Header=BB86_2 Depth=1
	s_or_b64 exec, exec, s[94:95]
	v_cndmask_b32_e64 v64, 0, 1, s[48:49]
	; wave barrier
	v_cmp_ne_u32_e32 vcc, 0, v64
	buffer_load_dword v64, off, s[96:99], 0 offset:116 ; 4-byte Folded Reload
	buffer_load_dword v66, off, s[96:99], 0 offset:112 ; 4-byte Folded Reload
	v_readlane_b32 s94, v253, 8
	v_readlane_b32 s95, v253, 9
	v_cndmask_b32_e64 v68, 0, 1, s[94:95]
	v_readlane_b32 s94, v253, 10
	v_readlane_b32 s95, v253, 11
	v_mov_b32_e32 v70, v20
	s_waitcnt lgkmcnt(0)
	ds_read_b32 v62, v110 offset:32
	; wave barrier
	s_waitcnt vmcnt(1)
	v_xor_b32_e32 v64, vcc_hi, v64
	s_waitcnt vmcnt(0)
	v_xor_b32_e32 v66, vcc_lo, v66
	v_cmp_ne_u32_e32 vcc, 0, v68
	v_and_b32_e32 v64, exec_hi, v64
	v_xor_b32_e32 v68, vcc_hi, v67
	v_and_b32_e32 v64, v64, v68
	v_cndmask_b32_e64 v68, 0, 1, s[94:95]
	v_and_b32_e32 v66, exec_lo, v66
	v_xor_b32_e32 v70, vcc_lo, v70
	v_cmp_ne_u32_e32 vcc, 0, v68
	v_readlane_b32 s94, v253, 12
	v_and_b32_e32 v66, v66, v70
	v_xor_b32_e32 v68, vcc_hi, v69
	v_mov_b32_e32 v70, v22
	v_readlane_b32 s95, v253, 13
	v_xor_b32_e32 v70, vcc_lo, v70
	v_and_b32_e32 v64, v64, v68
	v_cndmask_b32_e64 v68, 0, 1, s[94:95]
	v_and_b32_e32 v66, v66, v70
	v_cmp_ne_u32_e32 vcc, 0, v68
	v_mov_b32_e32 v70, v24
	v_xor_b32_e32 v70, vcc_lo, v70
	v_xor_b32_e32 v68, vcc_hi, v71
	v_and_b32_e32 v196, v66, v70
	;; [unrolled: 56-line block ×6, first 2 shown]
	v_and_b32_e32 v197, v64, v68
	v_mbcnt_lo_u32_b32 v64, v196, 0
	v_mbcnt_hi_u32_b32 v64, v197, v64
	v_cmp_eq_u32_e32 vcc, 0, v64
	v_cmp_ne_u64_e64 s[94:95], 0, v[196:197]
	s_and_b64 vcc, s[94:95], vcc
	s_and_saveexec_b64 s[94:95], vcc
	s_cbranch_execz .LBB86_34
; %bb.33:                               ;   in Loop: Header=BB86_2 Depth=1
	v_bcnt_u32_b32 v64, v196, 0
	v_bcnt_u32_b32 v64, v197, v64
	s_waitcnt lgkmcnt(0)
	v_add_u32_e32 v62, v62, v64
	ds_write_b32 v243, v62 offset:32
.LBB86_34:                              ;   in Loop: Header=BB86_2 Depth=1
	s_or_b64 exec, exec, s[94:95]
	; wave barrier
	s_waitcnt lgkmcnt(0)
	s_barrier
	ds_read_b32 v62, v193 offset:32
	s_waitcnt lgkmcnt(0)
	s_nop 0
	v_mov_b32_dpp v64, v62 row_shr:1 row_mask:0xf bank_mask:0xf
	v_cndmask_b32_e64 v64, v64, 0, s[6:7]
	v_add_u32_e32 v62, v64, v62
	s_nop 1
	v_mov_b32_dpp v64, v62 row_shr:2 row_mask:0xf bank_mask:0xf
	v_cndmask_b32_e64 v64, 0, v64, s[8:9]
	v_add_u32_e32 v62, v62, v64
	;; [unrolled: 4-line block ×4, first 2 shown]
	s_nop 1
	v_mov_b32_dpp v64, v62 row_bcast:15 row_mask:0xf bank_mask:0xf
	v_cndmask_b32_e64 v64, v64, 0, s[14:15]
	v_add_u32_e32 v62, v62, v64
	s_nop 1
	v_mov_b32_dpp v64, v62 row_bcast:31 row_mask:0xf bank_mask:0xf
	v_cndmask_b32_e64 v64, 0, v64, s[16:17]
	v_add_u32_e32 v62, v62, v64
	s_and_saveexec_b64 s[94:95], s[0:1]
	s_xor_b64 s[94:95], exec, s[94:95]
	s_cbranch_execz .LBB86_36
; %bb.35:                               ;   in Loop: Header=BB86_2 Depth=1
	buffer_load_dword v64, off, s[96:99], 0 offset:16 ; 4-byte Folded Reload
	s_waitcnt vmcnt(0)
	ds_write_b32 v64, v62
.LBB86_36:                              ;   in Loop: Header=BB86_2 Depth=1
	s_or_b64 exec, exec, s[94:95]
	s_waitcnt lgkmcnt(0)
	s_barrier
	s_and_saveexec_b64 s[94:95], s[2:3]
	s_cbranch_execz .LBB86_38
; %bb.37:                               ;   in Loop: Header=BB86_2 Depth=1
	ds_read_b32 v64, v193
	s_waitcnt lgkmcnt(0)
	s_nop 0
	v_mov_b32_dpp v66, v64 row_shr:1 row_mask:0xf bank_mask:0xf
	v_cndmask_b32_e64 v66, v66, 0, s[18:19]
	v_add_u32_e32 v64, v66, v64
	s_nop 1
	v_mov_b32_dpp v66, v64 row_shr:2 row_mask:0xf bank_mask:0xf
	v_cndmask_b32_e64 v66, 0, v66, s[20:21]
	v_add_u32_e32 v64, v64, v66
	s_nop 1
	v_mov_b32_dpp v66, v64 row_shr:4 row_mask:0xf bank_mask:0xf
	v_cndmask_b32_e64 v66, 0, v66, s[22:23]
	v_add_u32_e32 v64, v64, v66
	ds_write_b32 v193, v64
.LBB86_38:                              ;   in Loop: Header=BB86_2 Depth=1
	s_or_b64 exec, exec, s[94:95]
	v_mov_b32_e32 v64, 0
	s_waitcnt lgkmcnt(0)
	s_barrier
	s_and_saveexec_b64 s[94:95], s[4:5]
	s_cbranch_execz .LBB86_40
; %bb.39:                               ;   in Loop: Header=BB86_2 Depth=1
	buffer_load_dword v64, off, s[96:99], 0 offset:20 ; 4-byte Folded Reload
	s_waitcnt vmcnt(0)
	ds_read_b32 v64, v64
.LBB86_40:                              ;   in Loop: Header=BB86_2 Depth=1
	s_or_b64 exec, exec, s[94:95]
	buffer_load_dword v66, off, s[96:99], 0 ; 4-byte Folded Reload
	s_waitcnt lgkmcnt(0)
	v_add_u32_e32 v62, v64, v62
	v_readlane_b32 s94, v253, 38
	v_readlane_b32 s95, v253, 39
	v_mov_b32_e32 v68, v48
	s_waitcnt vmcnt(0)
	ds_bpermute_b32 v62, v66, v62
	v_cndmask_b32_e64 v66, 0, 1, s[94:95]
	v_readlane_b32 s94, v253, 40
	v_readlane_b32 s95, v253, 41
	s_waitcnt lgkmcnt(0)
	v_cndmask_b32_e64 v62, v62, v64, s[92:93]
	ds_write_b32 v193, v62 offset:32
	v_cndmask_b32_e64 v62, 0, 1, s[58:59]
	s_waitcnt lgkmcnt(0)
	s_barrier
	ds_write_b32 v193, v8 offset:32
	s_waitcnt lgkmcnt(0)
	s_barrier
	v_cmp_ne_u32_e32 vcc, 0, v62
	buffer_load_dword v62, off, s[96:99], 0 offset:196 ; 4-byte Folded Reload
	buffer_load_dword v64, off, s[96:99], 0 offset:192 ; 4-byte Folded Reload
	; wave barrier
	s_waitcnt vmcnt(1)
	v_xor_b32_e32 v62, vcc_hi, v62
	s_waitcnt vmcnt(0)
	v_xor_b32_e32 v64, vcc_lo, v64
	v_cmp_ne_u32_e32 vcc, 0, v66
	v_and_b32_e32 v62, exec_hi, v62
	v_xor_b32_e32 v66, vcc_hi, v97
	v_and_b32_e32 v62, v62, v66
	v_cndmask_b32_e64 v66, 0, 1, s[94:95]
	v_and_b32_e32 v64, exec_lo, v64
	v_xor_b32_e32 v68, vcc_lo, v68
	v_cmp_ne_u32_e32 vcc, 0, v66
	v_readlane_b32 s94, v253, 42
	v_and_b32_e32 v64, v64, v68
	v_xor_b32_e32 v66, vcc_hi, v99
	v_mov_b32_e32 v68, v220
	v_readlane_b32 s95, v253, 43
	v_xor_b32_e32 v68, vcc_lo, v68
	v_and_b32_e32 v62, v62, v66
	v_cndmask_b32_e64 v66, 0, 1, s[94:95]
	v_and_b32_e32 v64, v64, v68
	v_cmp_ne_u32_e32 vcc, 0, v66
	v_mov_b32_e32 v68, v50
	v_xor_b32_e32 v68, vcc_lo, v68
	v_xor_b32_e32 v66, vcc_hi, v101
	v_and_b32_e32 v196, v64, v68
	v_and_b32_e32 v197, v62, v66
	v_mbcnt_lo_u32_b32 v62, v196, 0
	v_mbcnt_hi_u32_b32 v62, v197, v62
	v_cmp_eq_u32_e32 vcc, 0, v62
	v_cmp_ne_u64_e64 s[94:95], 0, v[196:197]
	s_and_b64 vcc, s[94:95], vcc
	s_and_saveexec_b64 s[94:95], vcc
	s_cbranch_execz .LBB86_42
; %bb.41:                               ;   in Loop: Header=BB86_2 Depth=1
	buffer_load_dword v66, off, s[96:99], 0 offset:408 ; 4-byte Folded Reload
	v_bcnt_u32_b32 v64, v196, 0
	v_bcnt_u32_b32 v64, v197, v64
	s_waitcnt vmcnt(0)
	ds_write_b32 v66, v64 offset:32
.LBB86_42:                              ;   in Loop: Header=BB86_2 Depth=1
	s_or_b64 exec, exec, s[94:95]
	v_readlane_b32 s94, v253, 44
	v_cndmask_b32_e64 v66, 0, 1, s[60:61]
	v_readlane_b32 s95, v253, 45
	v_cmp_ne_u32_e32 vcc, 0, v66
	v_cndmask_b32_e64 v70, 0, 1, s[94:95]
	v_xor_b32_e32 v66, vcc_hi, v152
	v_xor_b32_e32 v68, vcc_lo, v150
	v_cmp_ne_u32_e32 vcc, 0, v70
	v_readlane_b32 s94, v253, 46
	v_and_b32_e32 v66, exec_hi, v66
	v_xor_b32_e32 v70, vcc_hi, v103
	v_readlane_b32 s95, v253, 47
	v_mov_b32_e32 v72, v222
	v_and_b32_e32 v66, v66, v70
	v_cndmask_b32_e64 v70, 0, 1, s[94:95]
	v_and_b32_e32 v68, exec_lo, v68
	v_xor_b32_e32 v72, vcc_lo, v72
	v_cmp_ne_u32_e32 vcc, 0, v70
	v_readlane_b32 s94, v253, 48
	v_and_b32_e32 v68, v68, v72
	v_xor_b32_e32 v70, vcc_hi, v105
	v_mov_b32_e32 v72, v52
	v_readlane_b32 s95, v253, 49
	v_xor_b32_e32 v72, vcc_lo, v72
	v_and_b32_e32 v66, v66, v70
	v_cndmask_b32_e64 v70, 0, 1, s[94:95]
	v_and_b32_e32 v68, v68, v72
	v_cmp_ne_u32_e32 vcc, 0, v70
	v_mov_b32_e32 v72, v224
	v_xor_b32_e32 v72, vcc_lo, v72
	; wave barrier
	ds_read_b32 v64, v245 offset:32
	v_xor_b32_e32 v70, vcc_hi, v107
	v_and_b32_e32 v196, v68, v72
	v_and_b32_e32 v197, v66, v70
	v_mbcnt_lo_u32_b32 v66, v196, 0
	v_mbcnt_hi_u32_b32 v66, v197, v66
	v_cmp_eq_u32_e32 vcc, 0, v66
	v_cmp_ne_u64_e64 s[94:95], 0, v[196:197]
	s_and_b64 vcc, s[94:95], vcc
	; wave barrier
	s_and_saveexec_b64 s[94:95], vcc
	s_cbranch_execz .LBB86_44
; %bb.43:                               ;   in Loop: Header=BB86_2 Depth=1
	v_bcnt_u32_b32 v68, v196, 0
	v_bcnt_u32_b32 v68, v197, v68
	s_waitcnt lgkmcnt(0)
	v_add_u32_e32 v68, v64, v68
	ds_write_b32 v245, v68 offset:32
.LBB86_44:                              ;   in Loop: Header=BB86_2 Depth=1
	s_or_b64 exec, exec, s[94:95]
	v_cndmask_b32_e64 v70, 0, 1, s[62:63]
	; wave barrier
	v_cmp_ne_u32_e32 vcc, 0, v70
	buffer_load_dword v70, off, s[96:99], 0 offset:212 ; 4-byte Folded Reload
	buffer_load_dword v72, off, s[96:99], 0 offset:200 ; 4-byte Folded Reload
	v_readlane_b32 s94, v253, 50
	v_readlane_b32 s95, v253, 51
	v_cndmask_b32_e64 v74, 0, 1, s[94:95]
	v_readlane_b32 s94, v253, 52
	v_readlane_b32 s95, v253, 53
	v_mov_b32_e32 v76, v54
	ds_read_b32 v68, v201 offset:32
	; wave barrier
	s_waitcnt vmcnt(1)
	v_xor_b32_e32 v70, vcc_hi, v70
	s_waitcnt vmcnt(0)
	v_xor_b32_e32 v72, vcc_lo, v72
	v_cmp_ne_u32_e32 vcc, 0, v74
	v_and_b32_e32 v70, exec_hi, v70
	v_xor_b32_e32 v74, vcc_hi, v109
	v_and_b32_e32 v70, v70, v74
	v_cndmask_b32_e64 v74, 0, 1, s[94:95]
	v_and_b32_e32 v72, exec_lo, v72
	v_xor_b32_e32 v76, vcc_lo, v76
	v_cmp_ne_u32_e32 vcc, 0, v74
	v_readlane_b32 s94, v253, 54
	v_and_b32_e32 v72, v72, v76
	v_xor_b32_e32 v74, vcc_hi, v111
	v_mov_b32_e32 v76, v226
	v_readlane_b32 s95, v253, 55
	v_xor_b32_e32 v76, vcc_lo, v76
	v_and_b32_e32 v70, v70, v74
	v_cndmask_b32_e64 v74, 0, 1, s[94:95]
	v_and_b32_e32 v72, v72, v76
	v_cmp_ne_u32_e32 vcc, 0, v74
	v_mov_b32_e32 v76, v174
	v_xor_b32_e32 v76, vcc_lo, v76
	v_xor_b32_e32 v74, vcc_hi, v113
	v_and_b32_e32 v196, v72, v76
	v_and_b32_e32 v197, v70, v74
	v_mbcnt_lo_u32_b32 v70, v196, 0
	v_mbcnt_hi_u32_b32 v70, v197, v70
	v_cmp_eq_u32_e32 vcc, 0, v70
	v_cmp_ne_u64_e64 s[94:95], 0, v[196:197]
	s_and_b64 vcc, s[94:95], vcc
	s_and_saveexec_b64 s[94:95], vcc
	s_cbranch_execz .LBB86_46
; %bb.45:                               ;   in Loop: Header=BB86_2 Depth=1
	v_bcnt_u32_b32 v72, v196, 0
	v_bcnt_u32_b32 v72, v197, v72
	s_waitcnt lgkmcnt(0)
	v_add_u32_e32 v72, v68, v72
	ds_write_b32 v201, v72 offset:32
.LBB86_46:                              ;   in Loop: Header=BB86_2 Depth=1
	s_or_b64 exec, exec, s[94:95]
	v_readlane_b32 s94, v253, 56
	v_cndmask_b32_e64 v74, 0, 1, s[64:65]
	v_readlane_b32 s95, v253, 57
	v_cmp_ne_u32_e32 vcc, 0, v74
	v_cndmask_b32_e64 v78, 0, 1, s[94:95]
	v_xor_b32_e32 v74, vcc_hi, v146
	v_xor_b32_e32 v76, vcc_lo, v156
	v_cmp_ne_u32_e32 vcc, 0, v78
	v_readlane_b32 s94, v253, 58
	v_and_b32_e32 v74, exec_hi, v74
	v_xor_b32_e32 v78, vcc_hi, v115
	v_readlane_b32 s95, v253, 59
	v_mov_b32_e32 v80, v176
	v_and_b32_e32 v74, v74, v78
	v_cndmask_b32_e64 v78, 0, 1, s[94:95]
	v_and_b32_e32 v76, exec_lo, v76
	v_xor_b32_e32 v80, vcc_lo, v80
	v_cmp_ne_u32_e32 vcc, 0, v78
	v_readlane_b32 s94, v253, 60
	v_and_b32_e32 v76, v76, v80
	v_xor_b32_e32 v78, vcc_hi, v117
	v_mov_b32_e32 v80, v178
	v_readlane_b32 s95, v253, 61
	v_xor_b32_e32 v80, vcc_lo, v80
	v_and_b32_e32 v74, v74, v78
	v_cndmask_b32_e64 v78, 0, 1, s[94:95]
	v_and_b32_e32 v76, v76, v80
	v_cmp_ne_u32_e32 vcc, 0, v78
	v_mov_b32_e32 v80, v180
	v_xor_b32_e32 v80, vcc_lo, v80
	; wave barrier
	ds_read_b32 v72, v112 offset:32
	v_xor_b32_e32 v78, vcc_hi, v119
	v_and_b32_e32 v196, v76, v80
	v_and_b32_e32 v197, v74, v78
	v_mbcnt_lo_u32_b32 v74, v196, 0
	v_mbcnt_hi_u32_b32 v74, v197, v74
	v_cmp_eq_u32_e32 vcc, 0, v74
	v_cmp_ne_u64_e64 s[94:95], 0, v[196:197]
	s_and_b64 vcc, s[94:95], vcc
	; wave barrier
	s_and_saveexec_b64 s[94:95], vcc
	s_cbranch_execz .LBB86_48
; %bb.47:                               ;   in Loop: Header=BB86_2 Depth=1
	v_bcnt_u32_b32 v76, v196, 0
	v_bcnt_u32_b32 v76, v197, v76
	s_waitcnt lgkmcnt(0)
	v_add_u32_e32 v76, v72, v76
	ds_write_b32 v112, v76 offset:32
.LBB86_48:                              ;   in Loop: Header=BB86_2 Depth=1
	s_or_b64 exec, exec, s[94:95]
	v_cndmask_b32_e64 v78, 0, 1, s[66:67]
	; wave barrier
	v_cmp_ne_u32_e32 vcc, 0, v78
	buffer_load_dword v78, off, s[96:99], 0 offset:228 ; 4-byte Folded Reload
	buffer_load_dword v80, off, s[96:99], 0 offset:216 ; 4-byte Folded Reload
	v_readlane_b32 s94, v253, 62
	v_readlane_b32 s95, v253, 63
	v_cndmask_b32_e64 v82, 0, 1, s[94:95]
	v_readlane_b32 s94, v254, 0
	v_readlane_b32 s95, v254, 1
	v_mov_b32_e32 v84, v182
	ds_read_b32 v76, v114 offset:32
	; wave barrier
	s_waitcnt vmcnt(1)
	v_xor_b32_e32 v78, vcc_hi, v78
	s_waitcnt vmcnt(0)
	v_xor_b32_e32 v80, vcc_lo, v80
	v_cmp_ne_u32_e32 vcc, 0, v82
	v_and_b32_e32 v78, exec_hi, v78
	v_xor_b32_e32 v82, vcc_hi, v121
	v_and_b32_e32 v78, v78, v82
	v_cndmask_b32_e64 v82, 0, 1, s[94:95]
	v_and_b32_e32 v80, exec_lo, v80
	v_xor_b32_e32 v84, vcc_lo, v84
	v_cmp_ne_u32_e32 vcc, 0, v82
	v_readlane_b32 s94, v254, 2
	v_and_b32_e32 v80, v80, v84
	v_xor_b32_e32 v82, vcc_hi, v123
	v_mov_b32_e32 v84, v184
	v_readlane_b32 s95, v254, 3
	v_xor_b32_e32 v84, vcc_lo, v84
	v_and_b32_e32 v78, v78, v82
	v_cndmask_b32_e64 v82, 0, 1, s[94:95]
	v_and_b32_e32 v80, v80, v84
	v_cmp_ne_u32_e32 vcc, 0, v82
	v_mov_b32_e32 v84, v186
	v_xor_b32_e32 v84, vcc_lo, v84
	v_xor_b32_e32 v82, vcc_hi, v125
	v_and_b32_e32 v196, v80, v84
	v_and_b32_e32 v197, v78, v82
	v_mbcnt_lo_u32_b32 v78, v196, 0
	v_mbcnt_hi_u32_b32 v78, v197, v78
	v_cmp_eq_u32_e32 vcc, 0, v78
	v_cmp_ne_u64_e64 s[94:95], 0, v[196:197]
	s_and_b64 vcc, s[94:95], vcc
	s_and_saveexec_b64 s[94:95], vcc
	s_cbranch_execz .LBB86_50
; %bb.49:                               ;   in Loop: Header=BB86_2 Depth=1
	v_bcnt_u32_b32 v80, v196, 0
	v_bcnt_u32_b32 v80, v197, v80
	s_waitcnt lgkmcnt(0)
	v_add_u32_e32 v80, v76, v80
	ds_write_b32 v114, v80 offset:32
.LBB86_50:                              ;   in Loop: Header=BB86_2 Depth=1
	s_or_b64 exec, exec, s[94:95]
	v_readlane_b32 s94, v254, 4
	v_cndmask_b32_e64 v82, 0, 1, s[68:69]
	v_readlane_b32 s95, v254, 5
	v_cmp_ne_u32_e32 vcc, 0, v82
	v_cndmask_b32_e64 v86, 0, 1, s[94:95]
	v_xor_b32_e32 v82, vcc_hi, v162
	v_xor_b32_e32 v84, vcc_lo, v160
	v_cmp_ne_u32_e32 vcc, 0, v86
	v_readlane_b32 s94, v254, 6
	v_and_b32_e32 v82, exec_hi, v82
	v_xor_b32_e32 v86, vcc_hi, v127
	v_readlane_b32 s95, v254, 7
	v_mov_b32_e32 v88, v188
	v_and_b32_e32 v82, v82, v86
	v_cndmask_b32_e64 v86, 0, 1, s[94:95]
	v_and_b32_e32 v84, exec_lo, v84
	v_xor_b32_e32 v88, vcc_lo, v88
	v_cmp_ne_u32_e32 vcc, 0, v86
	v_readlane_b32 s94, v254, 8
	v_and_b32_e32 v84, v84, v88
	v_xor_b32_e32 v86, vcc_hi, v129
	v_mov_b32_e32 v88, v140
	v_readlane_b32 s95, v254, 9
	v_xor_b32_e32 v88, vcc_lo, v88
	v_and_b32_e32 v82, v82, v86
	v_cndmask_b32_e64 v86, 0, 1, s[94:95]
	v_and_b32_e32 v84, v84, v88
	v_cmp_ne_u32_e32 vcc, 0, v86
	v_mov_b32_e32 v88, v142
	v_xor_b32_e32 v88, vcc_lo, v88
	; wave barrier
	ds_read_b32 v80, v225 offset:32
	v_xor_b32_e32 v86, vcc_hi, v131
	v_and_b32_e32 v196, v84, v88
	v_and_b32_e32 v197, v82, v86
	v_mbcnt_lo_u32_b32 v82, v196, 0
	v_mbcnt_hi_u32_b32 v210, v197, v82
	v_cmp_eq_u32_e32 vcc, 0, v210
	v_cmp_ne_u64_e64 s[94:95], 0, v[196:197]
	s_and_b64 vcc, s[94:95], vcc
	; wave barrier
	s_and_saveexec_b64 s[94:95], vcc
	s_cbranch_execz .LBB86_52
; %bb.51:                               ;   in Loop: Header=BB86_2 Depth=1
	v_bcnt_u32_b32 v82, v196, 0
	v_bcnt_u32_b32 v82, v197, v82
	s_waitcnt lgkmcnt(0)
	v_add_u32_e32 v82, v80, v82
	ds_write_b32 v225, v82 offset:32
.LBB86_52:                              ;   in Loop: Header=BB86_2 Depth=1
	s_or_b64 exec, exec, s[94:95]
	v_cndmask_b32_e64 v82, 0, 1, s[70:71]
	; wave barrier
	v_cmp_ne_u32_e32 vcc, 0, v82
	buffer_load_dword v82, off, s[96:99], 0 offset:244 ; 4-byte Folded Reload
	buffer_load_dword v84, off, s[96:99], 0 offset:232 ; 4-byte Folded Reload
	v_readlane_b32 s94, v254, 10
	v_readlane_b32 s95, v254, 11
	v_cndmask_b32_e64 v86, 0, 1, s[94:95]
	v_readlane_b32 s94, v254, 12
	v_readlane_b32 s95, v254, 13
	v_mov_b32_e32 v88, v190
	ds_read_b32 v211, v247 offset:32
	; wave barrier
	s_waitcnt vmcnt(1)
	v_xor_b32_e32 v82, vcc_hi, v82
	s_waitcnt vmcnt(0)
	v_xor_b32_e32 v84, vcc_lo, v84
	v_cmp_ne_u32_e32 vcc, 0, v86
	v_and_b32_e32 v82, exec_hi, v82
	v_xor_b32_e32 v86, vcc_hi, v133
	v_and_b32_e32 v82, v82, v86
	v_cndmask_b32_e64 v86, 0, 1, s[94:95]
	v_and_b32_e32 v84, exec_lo, v84
	v_xor_b32_e32 v88, vcc_lo, v88
	v_cmp_ne_u32_e32 vcc, 0, v86
	v_readlane_b32 s94, v254, 14
	v_and_b32_e32 v84, v84, v88
	v_xor_b32_e32 v86, vcc_hi, v135
	v_mov_b32_e32 v88, v148
	v_readlane_b32 s95, v254, 15
	v_xor_b32_e32 v88, vcc_lo, v88
	v_and_b32_e32 v82, v82, v86
	v_cndmask_b32_e64 v86, 0, 1, s[94:95]
	v_and_b32_e32 v84, v84, v88
	v_cmp_ne_u32_e32 vcc, 0, v86
	v_mov_b32_e32 v88, v56
	v_xor_b32_e32 v88, vcc_lo, v88
	v_xor_b32_e32 v86, vcc_hi, v137
	v_and_b32_e32 v196, v84, v88
	v_and_b32_e32 v197, v82, v86
	v_mbcnt_lo_u32_b32 v82, v196, 0
	v_mbcnt_hi_u32_b32 v82, v197, v82
	v_cmp_eq_u32_e32 vcc, 0, v82
	v_cmp_ne_u64_e64 s[94:95], 0, v[196:197]
	s_and_b64 vcc, s[94:95], vcc
	s_and_saveexec_b64 s[94:95], vcc
	s_cbranch_execz .LBB86_54
; %bb.53:                               ;   in Loop: Header=BB86_2 Depth=1
	v_bcnt_u32_b32 v84, v196, 0
	v_bcnt_u32_b32 v84, v197, v84
	s_waitcnt lgkmcnt(0)
	v_add_u32_e32 v84, v211, v84
	ds_write_b32 v247, v84 offset:32
.LBB86_54:                              ;   in Loop: Header=BB86_2 Depth=1
	s_or_b64 exec, exec, s[94:95]
	v_readlane_b32 s94, v254, 16
	v_cndmask_b32_e64 v86, 0, 1, s[72:73]
	v_readlane_b32 s95, v254, 17
	v_cmp_ne_u32_e32 vcc, 0, v86
	v_cndmask_b32_e64 v90, 0, 1, s[94:95]
	v_xor_b32_e32 v86, vcc_hi, v168
	v_xor_b32_e32 v88, vcc_lo, v166
	v_cmp_ne_u32_e32 vcc, 0, v90
	v_readlane_b32 s94, v254, 18
	v_and_b32_e32 v86, exec_hi, v86
	v_xor_b32_e32 v90, vcc_hi, v139
	v_readlane_b32 s95, v254, 19
	v_mov_b32_e32 v92, v228
	v_and_b32_e32 v86, v86, v90
	v_cndmask_b32_e64 v90, 0, 1, s[94:95]
	v_and_b32_e32 v88, exec_lo, v88
	v_xor_b32_e32 v92, vcc_lo, v92
	v_cmp_ne_u32_e32 vcc, 0, v90
	v_readlane_b32 s94, v254, 20
	v_and_b32_e32 v88, v88, v92
	v_xor_b32_e32 v90, vcc_hi, v141
	v_mov_b32_e32 v92, v154
	v_readlane_b32 s95, v254, 21
	v_xor_b32_e32 v92, vcc_lo, v92
	v_and_b32_e32 v86, v86, v90
	v_cndmask_b32_e64 v90, 0, 1, s[94:95]
	v_and_b32_e32 v88, v88, v92
	v_cmp_ne_u32_e32 vcc, 0, v90
	v_mov_b32_e32 v92, v58
	v_xor_b32_e32 v92, vcc_lo, v92
	; wave barrier
	ds_read_b32 v84, v249 offset:32
	v_xor_b32_e32 v90, vcc_hi, v143
	v_and_b32_e32 v196, v88, v92
	v_and_b32_e32 v197, v86, v90
	v_mbcnt_lo_u32_b32 v86, v196, 0
	v_mbcnt_hi_u32_b32 v86, v197, v86
	v_cmp_eq_u32_e32 vcc, 0, v86
	v_cmp_ne_u64_e64 s[94:95], 0, v[196:197]
	s_and_b64 vcc, s[94:95], vcc
	; wave barrier
	s_and_saveexec_b64 s[94:95], vcc
	s_cbranch_execz .LBB86_56
; %bb.55:                               ;   in Loop: Header=BB86_2 Depth=1
	v_bcnt_u32_b32 v88, v196, 0
	v_bcnt_u32_b32 v88, v197, v88
	s_waitcnt lgkmcnt(0)
	v_add_u32_e32 v88, v84, v88
	ds_write_b32 v249, v88 offset:32
.LBB86_56:                              ;   in Loop: Header=BB86_2 Depth=1
	s_or_b64 exec, exec, s[94:95]
	v_readlane_b32 s94, v254, 22
	v_cndmask_b32_e64 v90, 0, 1, s[74:75]
	v_readlane_b32 s95, v254, 23
	v_cmp_ne_u32_e32 vcc, 0, v90
	v_cndmask_b32_e64 v94, 0, 1, s[94:95]
	v_xor_b32_e32 v90, vcc_hi, v172
	v_xor_b32_e32 v92, vcc_lo, v170
	v_cmp_ne_u32_e32 vcc, 0, v94
	v_readlane_b32 s94, v254, 24
	v_and_b32_e32 v90, exec_hi, v90
	v_xor_b32_e32 v94, vcc_hi, v145
	v_readlane_b32 s95, v254, 25
	v_mov_b32_e32 v96, v230
	v_and_b32_e32 v90, v90, v94
	v_cndmask_b32_e64 v94, 0, 1, s[94:95]
	v_and_b32_e32 v92, exec_lo, v92
	v_xor_b32_e32 v96, vcc_lo, v96
	v_cmp_ne_u32_e32 vcc, 0, v94
	v_readlane_b32 s94, v254, 26
	v_and_b32_e32 v92, v92, v96
	v_xor_b32_e32 v94, vcc_hi, v147
	v_mov_b32_e32 v96, v158
	v_readlane_b32 s95, v254, 27
	v_xor_b32_e32 v96, vcc_lo, v96
	v_and_b32_e32 v90, v90, v94
	v_cndmask_b32_e64 v94, 0, 1, s[94:95]
	v_and_b32_e32 v92, v92, v96
	v_cmp_ne_u32_e32 vcc, 0, v94
	v_mov_b32_e32 v96, v60
	v_xor_b32_e32 v96, vcc_lo, v96
	; wave barrier
	ds_read_b32 v88, v219 offset:32
	v_xor_b32_e32 v94, vcc_hi, v149
	v_and_b32_e32 v196, v92, v96
	v_and_b32_e32 v197, v90, v94
	v_mbcnt_lo_u32_b32 v90, v196, 0
	v_mbcnt_hi_u32_b32 v90, v197, v90
	v_cmp_eq_u32_e32 vcc, 0, v90
	v_cmp_ne_u64_e64 s[94:95], 0, v[196:197]
	s_and_b64 vcc, s[94:95], vcc
	; wave barrier
	;; [unrolled: 51-line block ×5, first 2 shown]
	s_and_saveexec_b64 s[94:95], vcc
	s_cbranch_execz .LBB86_64
; %bb.63:                               ;   in Loop: Header=BB86_2 Depth=1
	v_bcnt_u32_b32 v104, v196, 0
	v_bcnt_u32_b32 v104, v197, v104
	s_waitcnt lgkmcnt(0)
	v_add_u32_e32 v104, v100, v104
	ds_write_b32 v126, v104 offset:32
.LBB86_64:                              ;   in Loop: Header=BB86_2 Depth=1
	s_or_b64 exec, exec, s[94:95]
	v_readlane_b32 s94, v254, 46
	v_cndmask_b32_e64 v106, 0, 1, s[82:83]
	v_readlane_b32 s95, v254, 47
	v_cmp_ne_u32_e32 vcc, 0, v106
	v_cndmask_b32_e64 v196, 0, 1, s[94:95]
	v_xor_b32_e32 v106, vcc_hi, v136
	v_xor_b32_e32 v108, vcc_lo, v134
	v_cmp_ne_u32_e32 vcc, 0, v196
	v_readlane_b32 s94, v254, 48
	v_and_b32_e32 v106, exec_hi, v106
	v_xor_b32_e32 v196, vcc_hi, v169
	v_readlane_b32 s95, v254, 49
	v_mov_b32_e32 v212, v248
	v_and_b32_e32 v106, v106, v196
	v_cndmask_b32_e64 v196, 0, 1, s[94:95]
	v_xor_b32_e32 v197, vcc_lo, v212
	v_cmp_ne_u32_e32 vcc, 0, v196
	v_readlane_b32 s94, v254, 50
	v_xor_b32_e32 v196, vcc_hi, v171
	v_readlane_b32 s95, v254, 51
	v_and_b32_e32 v108, exec_lo, v108
	v_mov_b32_e32 v212, v250
	v_and_b32_e32 v106, v106, v196
	v_cndmask_b32_e64 v196, 0, 1, s[94:95]
	v_and_b32_e32 v108, v108, v197
	v_xor_b32_e32 v197, vcc_lo, v212
	v_cmp_ne_u32_e32 vcc, 0, v196
	v_mov_b32_e32 v212, v194
	v_and_b32_e32 v108, v108, v197
	v_xor_b32_e32 v196, vcc_hi, v173
	v_xor_b32_e32 v212, vcc_lo, v212
	; wave barrier
	ds_read_b32 v104, v207 offset:32
	v_and_b32_e32 v197, v106, v196
	v_and_b32_e32 v196, v108, v212
	v_mbcnt_lo_u32_b32 v106, v196, 0
	v_mbcnt_hi_u32_b32 v106, v197, v106
	v_cmp_eq_u32_e32 vcc, 0, v106
	v_cmp_ne_u64_e64 s[94:95], 0, v[196:197]
	s_and_b64 vcc, s[94:95], vcc
	; wave barrier
	s_and_saveexec_b64 s[94:95], vcc
	s_cbranch_execz .LBB86_66
; %bb.65:                               ;   in Loop: Header=BB86_2 Depth=1
	v_bcnt_u32_b32 v108, v196, 0
	v_bcnt_u32_b32 v108, v197, v108
	s_waitcnt lgkmcnt(0)
	v_add_u32_e32 v108, v104, v108
	ds_write_b32 v207, v108 offset:32
.LBB86_66:                              ;   in Loop: Header=BB86_2 Depth=1
	s_or_b64 exec, exec, s[94:95]
	v_readlane_b32 s94, v254, 52
	v_cndmask_b32_e64 v196, 0, 1, s[84:85]
	v_readlane_b32 s95, v254, 53
	v_cmp_ne_u32_e32 vcc, 0, v196
	v_cndmask_b32_e64 v212, 0, 1, s[94:95]
	v_xor_b32_e32 v196, vcc_hi, v237
	v_xor_b32_e32 v197, vcc_lo, v138
	v_cmp_ne_u32_e32 vcc, 0, v212
	v_readlane_b32 s94, v254, 54
	v_and_b32_e32 v196, exec_hi, v196
	v_xor_b32_e32 v212, vcc_hi, v175
	v_readlane_b32 s95, v254, 55
	v_mov_b32_e32 v214, v198
	v_and_b32_e32 v196, v196, v212
	v_cndmask_b32_e64 v212, 0, 1, s[94:95]
	v_and_b32_e32 v197, exec_lo, v197
	v_xor_b32_e32 v213, vcc_lo, v214
	v_cmp_ne_u32_e32 vcc, 0, v212
	v_mov_b32_e32 v214, v200
	v_readlane_b32 s94, v254, 56
	v_and_b32_e32 v197, v197, v213
	v_xor_b32_e32 v212, vcc_hi, v177
	v_xor_b32_e32 v213, vcc_lo, v214
	v_readlane_b32 s95, v254, 57
	v_and_b32_e32 v196, v196, v212
	v_and_b32_e32 v212, v197, v213
	v_cndmask_b32_e64 v197, 0, 1, s[94:95]
	v_cmp_ne_u32_e32 vcc, 0, v197
	v_mov_b32_e32 v214, v202
	v_xor_b32_e32 v197, vcc_hi, v179
	v_xor_b32_e32 v213, vcc_lo, v214
	; wave barrier
	ds_read_b32 v108, v229 offset:32
	v_and_b32_e32 v197, v196, v197
	v_and_b32_e32 v196, v212, v213
	v_mbcnt_lo_u32_b32 v212, v196, 0
	v_mbcnt_hi_u32_b32 v212, v197, v212
	v_cmp_eq_u32_e32 vcc, 0, v212
	v_cmp_ne_u64_e64 s[94:95], 0, v[196:197]
	s_and_b64 vcc, s[94:95], vcc
	; wave barrier
	s_and_saveexec_b64 s[94:95], vcc
	s_cbranch_execz .LBB86_68
; %bb.67:                               ;   in Loop: Header=BB86_2 Depth=1
	v_bcnt_u32_b32 v196, v196, 0
	v_bcnt_u32_b32 v196, v197, v196
	s_waitcnt lgkmcnt(0)
	v_add_u32_e32 v196, v108, v196
	ds_write_b32 v229, v196 offset:32
.LBB86_68:                              ;   in Loop: Header=BB86_2 Depth=1
	s_or_b64 exec, exec, s[94:95]
	v_readlane_b32 s94, v254, 58
	v_cndmask_b32_e64 v196, 0, 1, s[86:87]
	v_readlane_b32 s95, v254, 59
	v_cmp_ne_u32_e32 vcc, 0, v196
	v_cndmask_b32_e64 v214, 0, 1, s[94:95]
	v_xor_b32_e32 v196, vcc_hi, v144
	v_xor_b32_e32 v197, vcc_lo, v223
	v_cmp_ne_u32_e32 vcc, 0, v214
	v_readlane_b32 s94, v254, 60
	v_and_b32_e32 v196, exec_hi, v196
	v_xor_b32_e32 v214, vcc_hi, v181
	v_readlane_b32 s95, v254, 61
	v_mov_b32_e32 v216, v204
	v_and_b32_e32 v196, v196, v214
	v_cndmask_b32_e64 v214, 0, 1, s[94:95]
	v_and_b32_e32 v197, exec_lo, v197
	v_xor_b32_e32 v215, vcc_lo, v216
	v_cmp_ne_u32_e32 vcc, 0, v214
	v_mov_b32_e32 v216, v206
	v_readlane_b32 s94, v254, 62
	v_and_b32_e32 v197, v197, v215
	v_xor_b32_e32 v214, vcc_hi, v183
	v_xor_b32_e32 v215, vcc_lo, v216
	v_readlane_b32 s95, v254, 63
	v_and_b32_e32 v196, v196, v214
	v_and_b32_e32 v214, v197, v215
	v_cndmask_b32_e64 v197, 0, 1, s[94:95]
	v_cmp_ne_u32_e32 vcc, 0, v197
	v_mov_b32_e32 v216, v208
	v_xor_b32_e32 v197, vcc_hi, v185
	v_xor_b32_e32 v215, vcc_lo, v216
	; wave barrier
	ds_read_b32 v213, v231 offset:32
	v_and_b32_e32 v197, v196, v197
	v_and_b32_e32 v196, v214, v215
	v_mbcnt_lo_u32_b32 v214, v196, 0
	v_mbcnt_hi_u32_b32 v214, v197, v214
	v_cmp_eq_u32_e32 vcc, 0, v214
	v_cmp_ne_u64_e64 s[94:95], 0, v[196:197]
	s_and_b64 vcc, s[94:95], vcc
	; wave barrier
	s_and_saveexec_b64 s[94:95], vcc
	s_cbranch_execz .LBB86_70
; %bb.69:                               ;   in Loop: Header=BB86_2 Depth=1
	v_bcnt_u32_b32 v196, v196, 0
	v_bcnt_u32_b32 v196, v197, v196
	s_waitcnt lgkmcnt(0)
	v_add_u32_e32 v196, v213, v196
	ds_write_b32 v231, v196 offset:32
.LBB86_70:                              ;   in Loop: Header=BB86_2 Depth=1
	s_or_b64 exec, exec, s[94:95]
	v_readlane_b32 s94, v255, 0
	v_cndmask_b32_e64 v196, 0, 1, s[88:89]
	v_readlane_b32 s95, v255, 1
	v_cmp_ne_u32_e32 vcc, 0, v196
	v_cndmask_b32_e64 v216, 0, 1, s[94:95]
	v_xor_b32_e32 v196, vcc_hi, v209
	v_xor_b32_e32 v197, vcc_lo, v116
	v_cmp_ne_u32_e32 vcc, 0, v216
	v_readlane_b32 s94, v255, 2
	v_and_b32_e32 v196, exec_hi, v196
	v_xor_b32_e32 v216, vcc_hi, v187
	v_readlane_b32 s95, v255, 3
	v_mov_b32_e32 v0, v2
	v_and_b32_e32 v196, v196, v216
	v_cndmask_b32_e64 v216, 0, 1, s[94:95]
	v_and_b32_e32 v197, exec_lo, v197
	v_xor_b32_e32 v217, vcc_lo, v0
	v_cmp_ne_u32_e32 vcc, 0, v216
	v_mov_b32_e32 v0, v4
	v_and_b32_e32 v197, v197, v217
	v_xor_b32_e32 v216, vcc_hi, v189
	v_xor_b32_e32 v217, vcc_lo, v0
	v_and_b32_e32 v196, v196, v216
	v_and_b32_e32 v216, v197, v217
	v_cndmask_b32_e64 v197, 0, 1, s[90:91]
	v_cmp_ne_u32_e32 vcc, 0, v197
	v_mov_b32_e32 v0, v6
	v_xor_b32_e32 v197, vcc_hi, v191
	v_xor_b32_e32 v217, vcc_lo, v0
	; wave barrier
	ds_read_b32 v215, v233 offset:32
	v_and_b32_e32 v197, v196, v197
	v_and_b32_e32 v196, v216, v217
	v_mbcnt_lo_u32_b32 v216, v196, 0
	v_mbcnt_hi_u32_b32 v216, v197, v216
	v_cmp_eq_u32_e32 vcc, 0, v216
	v_cmp_ne_u64_e64 s[94:95], 0, v[196:197]
	s_and_b64 vcc, s[94:95], vcc
	; wave barrier
	s_and_saveexec_b64 s[94:95], vcc
	s_cbranch_execz .LBB86_72
; %bb.71:                               ;   in Loop: Header=BB86_2 Depth=1
	v_bcnt_u32_b32 v196, v196, 0
	v_bcnt_u32_b32 v196, v197, v196
	s_waitcnt lgkmcnt(0)
	v_add_u32_e32 v196, v215, v196
	ds_write_b32 v233, v196 offset:32
.LBB86_72:                              ;   in Loop: Header=BB86_2 Depth=1
	s_or_b64 exec, exec, s[94:95]
	; wave barrier
	s_waitcnt lgkmcnt(0)
	s_barrier
	ds_read_b32 v196, v193 offset:32
	s_waitcnt lgkmcnt(0)
	s_nop 0
	v_mov_b32_dpp v197, v196 row_shr:1 row_mask:0xf bank_mask:0xf
	v_cndmask_b32_e64 v197, v197, 0, s[6:7]
	v_add_u32_e32 v196, v197, v196
	s_nop 1
	v_mov_b32_dpp v197, v196 row_shr:2 row_mask:0xf bank_mask:0xf
	v_cndmask_b32_e64 v197, 0, v197, s[8:9]
	v_add_u32_e32 v196, v196, v197
	;; [unrolled: 4-line block ×4, first 2 shown]
	s_nop 1
	v_mov_b32_dpp v197, v196 row_bcast:15 row_mask:0xf bank_mask:0xf
	v_cndmask_b32_e64 v197, v197, 0, s[14:15]
	v_add_u32_e32 v196, v196, v197
	s_nop 1
	v_mov_b32_dpp v197, v196 row_bcast:31 row_mask:0xf bank_mask:0xf
	v_cndmask_b32_e64 v197, 0, v197, s[16:17]
	v_add_u32_e32 v196, v196, v197
	s_and_saveexec_b64 s[94:95], s[0:1]
	s_cbranch_execz .LBB86_74
; %bb.73:                               ;   in Loop: Header=BB86_2 Depth=1
	buffer_load_dword v197, off, s[96:99], 0 offset:16 ; 4-byte Folded Reload
	s_waitcnt vmcnt(0)
	ds_write_b32 v197, v196
.LBB86_74:                              ;   in Loop: Header=BB86_2 Depth=1
	s_or_b64 exec, exec, s[94:95]
	s_waitcnt lgkmcnt(0)
	s_barrier
	s_and_saveexec_b64 s[94:95], s[2:3]
	s_cbranch_execz .LBB86_76
; %bb.75:                               ;   in Loop: Header=BB86_2 Depth=1
	ds_read_b32 v197, v193
	s_waitcnt lgkmcnt(0)
	s_nop 0
	v_mov_b32_dpp v217, v197 row_shr:1 row_mask:0xf bank_mask:0xf
	v_cndmask_b32_e64 v217, v217, 0, s[18:19]
	v_add_u32_e32 v197, v217, v197
	s_nop 1
	v_mov_b32_dpp v217, v197 row_shr:2 row_mask:0xf bank_mask:0xf
	v_cndmask_b32_e64 v217, 0, v217, s[20:21]
	v_add_u32_e32 v197, v197, v217
	;; [unrolled: 4-line block ×3, first 2 shown]
	ds_write_b32 v193, v197
.LBB86_76:                              ;   in Loop: Header=BB86_2 Depth=1
	s_or_b64 exec, exec, s[94:95]
	v_mov_b32_e32 v197, 0
	s_waitcnt lgkmcnt(0)
	s_barrier
	s_and_saveexec_b64 s[94:95], s[4:5]
	s_cbranch_execz .LBB86_1
; %bb.77:                               ;   in Loop: Header=BB86_2 Depth=1
	buffer_load_dword v197, off, s[96:99], 0 offset:20 ; 4-byte Folded Reload
	s_waitcnt vmcnt(0)
	ds_read_b32 v197, v197
	s_branch .LBB86_1
.LBB86_78:
	ds_read_b32 v4, v233 offset:32
	ds_read_b32 v5, v231 offset:32
	;; [unrolled: 1-line block ×15, first 2 shown]
	buffer_load_dword v1, off, s[96:99], 0 offset:408 ; 4-byte Folded Reload
	v_readlane_b32 s0, v252, 4
	v_readlane_b32 s4, v252, 0
	;; [unrolled: 1-line block ×5, first 2 shown]
	s_lshl_b64 s[0:1], s[0:1], 2
	s_mov_b64 s[2:3], s[6:7]
	s_add_u32 s0, s2, s0
	s_addc_u32 s1, s3, s1
	v_readlane_b32 s5, v252, 1
	s_waitcnt vmcnt(0)
	ds_read_b32 v3, v1 offset:32
	buffer_load_dword v18, off, s[96:99], 0 offset:416 ; 4-byte Folded Reload
	buffer_load_dword v19, off, s[96:99], 0 offset:420 ; 4-byte Folded Reload
	s_waitcnt lgkmcnt(1)
	v_add3_u32 v1, v66, v64, v0
	s_waitcnt lgkmcnt(0)
	v_add_u32_e32 v0, v3, v62
	v_add3_u32 v3, v74, v72, v2
	v_add3_u32 v2, v70, v68, v16
	s_waitcnt vmcnt(1)
	v_lshlrev_b32_e32 v17, 2, v18
	global_store_dwordx4 v17, v[0:3], s[0:1]
	s_nop 0
	v_add3_u32 v1, v210, v80, v14
	v_add3_u32 v0, v78, v76, v15
	v_add3_u32 v3, v86, v84, v12
	v_add3_u32 v2, v82, v211, v13
	global_store_dwordx4 v17, v[0:3], s[0:1] offset:16
	s_nop 0
	v_add3_u32 v1, v94, v92, v10
	v_add3_u32 v0, v90, v88, v11
	v_add3_u32 v3, v102, v100, v8
	v_add3_u32 v2, v98, v96, v9
	global_store_dwordx4 v17, v[0:3], s[0:1] offset:32
	;; [unrolled: 6-line block ×3, first 2 shown]
	s_endpgm
	.section	.rodata,"a",@progbits
	.p2align	6, 0x0
	.amdhsa_kernel _Z11rank_kernelIhLj4ELb0EL18RadixRankAlgorithm2ELj512ELj16ELj10EEvPKT_Pi
		.amdhsa_group_segment_fixed_size 2080
		.amdhsa_private_segment_fixed_size 468
		.amdhsa_kernarg_size 272
		.amdhsa_user_sgpr_count 6
		.amdhsa_user_sgpr_private_segment_buffer 1
		.amdhsa_user_sgpr_dispatch_ptr 0
		.amdhsa_user_sgpr_queue_ptr 0
		.amdhsa_user_sgpr_kernarg_segment_ptr 1
		.amdhsa_user_sgpr_dispatch_id 0
		.amdhsa_user_sgpr_flat_scratch_init 0
		.amdhsa_user_sgpr_kernarg_preload_length 0
		.amdhsa_user_sgpr_kernarg_preload_offset 0
		.amdhsa_user_sgpr_private_segment_size 0
		.amdhsa_uses_dynamic_stack 0
		.amdhsa_system_sgpr_private_segment_wavefront_offset 1
		.amdhsa_system_sgpr_workgroup_id_x 1
		.amdhsa_system_sgpr_workgroup_id_y 0
		.amdhsa_system_sgpr_workgroup_id_z 0
		.amdhsa_system_sgpr_workgroup_info 0
		.amdhsa_system_vgpr_workitem_id 2
		.amdhsa_next_free_vgpr 256
		.amdhsa_next_free_sgpr 100
		.amdhsa_accum_offset 256
		.amdhsa_reserve_vcc 1
		.amdhsa_reserve_flat_scratch 0
		.amdhsa_float_round_mode_32 0
		.amdhsa_float_round_mode_16_64 0
		.amdhsa_float_denorm_mode_32 3
		.amdhsa_float_denorm_mode_16_64 3
		.amdhsa_dx10_clamp 1
		.amdhsa_ieee_mode 1
		.amdhsa_fp16_overflow 0
		.amdhsa_tg_split 0
		.amdhsa_exception_fp_ieee_invalid_op 0
		.amdhsa_exception_fp_denorm_src 0
		.amdhsa_exception_fp_ieee_div_zero 0
		.amdhsa_exception_fp_ieee_overflow 0
		.amdhsa_exception_fp_ieee_underflow 0
		.amdhsa_exception_fp_ieee_inexact 0
		.amdhsa_exception_int_div_zero 0
	.end_amdhsa_kernel
	.section	.text._Z11rank_kernelIhLj4ELb0EL18RadixRankAlgorithm2ELj512ELj16ELj10EEvPKT_Pi,"axG",@progbits,_Z11rank_kernelIhLj4ELb0EL18RadixRankAlgorithm2ELj512ELj16ELj10EEvPKT_Pi,comdat
.Lfunc_end86:
	.size	_Z11rank_kernelIhLj4ELb0EL18RadixRankAlgorithm2ELj512ELj16ELj10EEvPKT_Pi, .Lfunc_end86-_Z11rank_kernelIhLj4ELb0EL18RadixRankAlgorithm2ELj512ELj16ELj10EEvPKT_Pi
                                        ; -- End function
	.section	.AMDGPU.csdata,"",@progbits
; Kernel info:
; codeLenInByte = 18164
; NumSgprs: 104
; NumVgprs: 256
; NumAgprs: 0
; TotalNumVgprs: 256
; ScratchSize: 468
; MemoryBound: 0
; FloatMode: 240
; IeeeMode: 1
; LDSByteSize: 2080 bytes/workgroup (compile time only)
; SGPRBlocks: 12
; VGPRBlocks: 31
; NumSGPRsForWavesPerEU: 104
; NumVGPRsForWavesPerEU: 256
; AccumOffset: 256
; Occupancy: 2
; WaveLimiterHint : 0
; COMPUTE_PGM_RSRC2:SCRATCH_EN: 1
; COMPUTE_PGM_RSRC2:USER_SGPR: 6
; COMPUTE_PGM_RSRC2:TRAP_HANDLER: 0
; COMPUTE_PGM_RSRC2:TGID_X_EN: 1
; COMPUTE_PGM_RSRC2:TGID_Y_EN: 0
; COMPUTE_PGM_RSRC2:TGID_Z_EN: 0
; COMPUTE_PGM_RSRC2:TIDIG_COMP_CNT: 2
; COMPUTE_PGM_RSRC3_GFX90A:ACCUM_OFFSET: 63
; COMPUTE_PGM_RSRC3_GFX90A:TG_SPLIT: 0
	.section	.text._Z11rank_kernelIhLj4ELb0EL18RadixRankAlgorithm0ELj512ELj32ELj10EEvPKT_Pi,"axG",@progbits,_Z11rank_kernelIhLj4ELb0EL18RadixRankAlgorithm0ELj512ELj32ELj10EEvPKT_Pi,comdat
	.protected	_Z11rank_kernelIhLj4ELb0EL18RadixRankAlgorithm0ELj512ELj32ELj10EEvPKT_Pi ; -- Begin function _Z11rank_kernelIhLj4ELb0EL18RadixRankAlgorithm0ELj512ELj32ELj10EEvPKT_Pi
	.globl	_Z11rank_kernelIhLj4ELb0EL18RadixRankAlgorithm0ELj512ELj32ELj10EEvPKT_Pi
	.p2align	8
	.type	_Z11rank_kernelIhLj4ELb0EL18RadixRankAlgorithm0ELj512ELj32ELj10EEvPKT_Pi,@function
_Z11rank_kernelIhLj4ELb0EL18RadixRankAlgorithm0ELj512ELj32ELj10EEvPKT_Pi: ; @_Z11rank_kernelIhLj4ELb0EL18RadixRankAlgorithm0ELj512ELj32ELj10EEvPKT_Pi
; %bb.0:
	s_load_dwordx4 s[24:27], s[4:5], 0x0
	s_lshl_b32 s28, s6, 14
	v_lshlrev_b32_e32 v10, 5, v0
	v_mbcnt_lo_u32_b32 v11, -1, 0
	v_mbcnt_hi_u32_b32 v14, -1, v11
	s_waitcnt lgkmcnt(0)
	s_add_u32 s0, s24, s28
	s_addc_u32 s1, s25, 0
	global_load_dwordx4 v[2:5], v10, s[0:1]
	global_load_dwordx4 v[6:9], v10, s[0:1] offset:16
	v_and_b32_e32 v11, 15, v14
	v_cmp_eq_u32_e64 s[0:1], 0, v11
	v_cmp_lt_u32_e64 s[2:3], 1, v11
	v_cmp_lt_u32_e64 s[4:5], 3, v11
	;; [unrolled: 1-line block ×3, first 2 shown]
	v_and_b32_e32 v11, 16, v14
	v_cmp_eq_u32_e64 s[8:9], 0, v11
	v_or_b32_e32 v11, 63, v0
	v_cmp_eq_u32_e64 s[12:13], v11, v0
	v_add_u32_e32 v11, -1, v14
	v_and_b32_e32 v12, 64, v14
	v_cmp_lt_i32_e32 vcc, v11, v12
	s_mov_b32 s29, 0
	v_cmp_lt_u32_e64 s[10:11], 31, v14
	v_cndmask_b32_e32 v11, v11, v14, vcc
	v_cmp_eq_u32_e64 s[18:19], 0, v14
	v_lshrrev_b32_e32 v12, 4, v0
	v_lshlrev_b32_e32 v13, 2, v0
	v_and_b32_e32 v14, 7, v14
	v_mov_b32_e32 v1, 0
	v_cmp_gt_u32_e64 s[14:15], 8, v0
	v_cmp_lt_u32_e64 s[16:17], 63, v0
	v_lshlrev_b32_e32 v11, 2, v11
	v_and_b32_e32 v12, 28, v12
	v_cmp_eq_u32_e64 s[20:21], 0, v14
	v_cmp_lt_u32_e64 s[22:23], 1, v14
	v_cmp_lt_u32_e64 s[24:25], 3, v14
	v_or_b32_e32 v14, 0x800, v13
	v_or_b32_e32 v15, 0x1000, v13
	;; [unrolled: 1-line block ×7, first 2 shown]
	s_mov_b64 s[30:31], -1
	s_movk_i32 s33, 0xe00
	s_mov_b32 s38, s29
	s_branch .LBB87_2
.LBB87_1:                               ;   in Loop: Header=BB87_2 Depth=1
	s_add_i32 s38, s38, 1
	s_cmp_eq_u32 s38, 10
	s_cbranch_scc1 .LBB87_18
.LBB87_2:                               ; =>This Loop Header: Depth=1
                                        ;     Child Loop BB87_4 Depth 2
	s_mov_b64 s[34:35], -1
	s_mov_b32 s39, 28
	s_branch .LBB87_4
.LBB87_3:                               ;   in Loop: Header=BB87_4 Depth=2
	s_or_b64 exec, exec, s[36:37]
	s_waitcnt lgkmcnt(0)
	v_add_u32_e32 v85, v86, v85
	ds_bpermute_b32 v85, v11, v85
	ds_read_b32 v88, v1 offset:16412
	s_xor_b64 s[34:35], s[34:35], -1
	s_mov_b32 s39, 24
	s_andn2_b64 vcc, exec, s[34:35]
	s_waitcnt lgkmcnt(1)
	v_cndmask_b32_e64 v85, v85, v86, s[18:19]
	ds_read2_b32 v[86:87], v10 offset1:1
	s_waitcnt lgkmcnt(1)
	v_lshl_add_u32 v85, v88, 16, v85
	ds_read2_b32 v[88:89], v10 offset0:2 offset1:3
	ds_read2_b32 v[90:91], v10 offset0:4 offset1:5
	ds_read_b32 v92, v10 offset:24
	s_mov_b64 s[34:35], 0
	s_waitcnt lgkmcnt(3)
	v_add_u32_e32 v86, v85, v86
	ds_write2_b32 v10, v85, v86 offset1:1
	v_add_u32_e32 v85, v87, v86
	s_waitcnt lgkmcnt(3)
	v_add_u32_e32 v86, v88, v85
	ds_write2_b32 v10, v85, v86 offset0:2 offset1:3
	v_add_u32_e32 v85, v89, v86
	s_waitcnt lgkmcnt(3)
	v_add_u32_e32 v86, v90, v85
	ds_write2_b32 v10, v85, v86 offset0:4 offset1:5
	;; [unrolled: 4-line block ×3, first 2 shown]
	s_waitcnt lgkmcnt(0)
	s_barrier
	s_cbranch_vccz .LBB87_1
.LBB87_4:                               ;   Parent Loop BB87_2 Depth=1
                                        ; =>  This Inner Loop Header: Depth=2
	ds_write_b32 v13, v1
	ds_write_b32 v14, v1
	;; [unrolled: 1-line block ×4, first 2 shown]
	s_and_saveexec_b64 s[36:37], s[30:31]
	s_cbranch_execnz .LBB87_15
; %bb.5:                                ;   in Loop: Header=BB87_4 Depth=2
	s_or_b64 exec, exec, s[36:37]
	s_and_saveexec_b64 s[36:37], s[30:31]
	s_cbranch_execnz .LBB87_16
.LBB87_6:                               ;   in Loop: Header=BB87_4 Depth=2
	s_or_b64 exec, exec, s[36:37]
	s_and_saveexec_b64 s[36:37], s[30:31]
	s_cbranch_execnz .LBB87_17
.LBB87_7:                               ;   in Loop: Header=BB87_4 Depth=2
	s_or_b64 exec, exec, s[36:37]
	s_and_saveexec_b64 s[36:37], s[30:31]
	s_cbranch_execz .LBB87_9
.LBB87_8:                               ;   in Loop: Header=BB87_4 Depth=2
	ds_write_b32 v20, v1
.LBB87_9:                               ;   in Loop: Header=BB87_4 Depth=2
	s_or_b64 exec, exec, s[36:37]
	s_waitcnt vmcnt(1)
	v_lshlrev_b32_sdwa v21, s39, v2 dst_sel:DWORD dst_unused:UNUSED_PAD src0_sel:DWORD src1_sel:BYTE_0
	v_lshrrev_b32_e32 v22, 19, v21
	v_and_or_b32 v22, v22, s33, v0
	v_alignbit_b32 v21, v22, v21, 31
	v_lshlrev_b32_e32 v22, 1, v21
	ds_read_u16 v21, v22
	v_lshlrev_b32_sdwa v23, s39, v2 dst_sel:DWORD dst_unused:UNUSED_PAD src0_sel:DWORD src1_sel:BYTE_1
	v_lshrrev_b32_e32 v24, 19, v23
	v_and_or_b32 v24, v24, s33, v0
	v_alignbit_b32 v23, v24, v23, 31
	s_waitcnt lgkmcnt(0)
	v_add_u16_e32 v24, 1, v21
	ds_write_b16 v22, v24
	v_lshlrev_b32_e32 v25, 1, v23
	ds_read_u16 v23, v25
	v_lshlrev_b32_sdwa v24, s39, v2 dst_sel:DWORD dst_unused:UNUSED_PAD src0_sel:DWORD src1_sel:BYTE_2
	v_lshrrev_b32_e32 v26, 19, v24
	v_and_or_b32 v26, v26, s33, v0
	v_alignbit_b32 v24, v26, v24, 31
	s_waitcnt lgkmcnt(0)
	v_add_u16_e32 v27, 1, v23
	ds_write_b16 v25, v27
	v_lshlrev_b32_e32 v27, 1, v24
	ds_read_u16 v24, v27
	v_lshlrev_b32_sdwa v26, s39, v2 dst_sel:DWORD dst_unused:UNUSED_PAD src0_sel:DWORD src1_sel:BYTE_3
	v_lshrrev_b32_e32 v28, 19, v26
	v_and_or_b32 v28, v28, s33, v0
	v_alignbit_b32 v26, v28, v26, 31
	s_waitcnt lgkmcnt(0)
	v_add_u16_e32 v29, 1, v24
	ds_write_b16 v27, v29
	v_lshlrev_b32_e32 v29, 1, v26
	ds_read_u16 v26, v29
	v_lshlrev_b32_sdwa v28, s39, v3 dst_sel:DWORD dst_unused:UNUSED_PAD src0_sel:DWORD src1_sel:BYTE_0
	s_waitcnt lgkmcnt(0)
	v_add_u16_e32 v30, 1, v26
	ds_write_b16 v29, v30
	v_lshrrev_b32_e32 v30, 19, v28
	v_and_or_b32 v30, v30, s33, v0
	v_alignbit_b32 v28, v30, v28, 31
	v_lshlrev_b32_e32 v32, 1, v28
	ds_read_u16 v28, v32
	s_waitcnt lgkmcnt(0)
	v_add_u16_e32 v30, 1, v28
	ds_write_b16 v32, v30
	v_lshlrev_b32_sdwa v30, s39, v3 dst_sel:DWORD dst_unused:UNUSED_PAD src0_sel:DWORD src1_sel:BYTE_1
	v_lshrrev_b32_e32 v31, 19, v30
	v_and_or_b32 v31, v31, s33, v0
	v_alignbit_b32 v30, v31, v30, 31
	v_lshlrev_b32_e32 v34, 1, v30
	ds_read_u16 v30, v34
	s_waitcnt lgkmcnt(0)
	v_add_u16_e32 v31, 1, v30
	ds_write_b16 v34, v31
	v_lshlrev_b32_sdwa v31, s39, v3 dst_sel:DWORD dst_unused:UNUSED_PAD src0_sel:DWORD src1_sel:BYTE_2
	v_lshrrev_b32_e32 v33, 19, v31
	v_and_or_b32 v33, v33, s33, v0
	v_alignbit_b32 v31, v33, v31, 31
	v_lshlrev_b32_e32 v36, 1, v31
	ds_read_u16 v31, v36
	s_waitcnt lgkmcnt(0)
	v_add_u16_e32 v33, 1, v31
	ds_write_b16 v36, v33
	v_lshlrev_b32_sdwa v33, s39, v3 dst_sel:DWORD dst_unused:UNUSED_PAD src0_sel:DWORD src1_sel:BYTE_3
	v_lshrrev_b32_e32 v35, 19, v33
	v_and_or_b32 v35, v35, s33, v0
	v_alignbit_b32 v33, v35, v33, 31
	v_lshlrev_b32_e32 v40, 1, v33
	ds_read_u16 v33, v40
	s_waitcnt lgkmcnt(0)
	v_add_u16_e32 v35, 1, v33
	ds_write_b16 v40, v35
	v_lshlrev_b32_sdwa v35, s39, v4 dst_sel:DWORD dst_unused:UNUSED_PAD src0_sel:DWORD src1_sel:BYTE_0
	v_lshrrev_b32_e32 v37, 19, v35
	v_and_or_b32 v37, v37, s33, v0
	v_alignbit_b32 v35, v37, v35, 31
	v_lshlrev_b32_e32 v38, 1, v35
	ds_read_u16 v35, v38
	s_waitcnt lgkmcnt(0)
	v_add_u16_e32 v37, 1, v35
	ds_write_b16 v38, v37
	v_lshlrev_b32_sdwa v37, s39, v4 dst_sel:DWORD dst_unused:UNUSED_PAD src0_sel:DWORD src1_sel:BYTE_1
	v_lshrrev_b32_e32 v39, 19, v37
	v_and_or_b32 v39, v39, s33, v0
	v_alignbit_b32 v37, v39, v37, 31
	v_lshlrev_b32_e32 v41, 1, v37
	ds_read_u16 v37, v41
	s_waitcnt lgkmcnt(0)
	v_add_u16_e32 v39, 1, v37
	ds_write_b16 v41, v39
	v_lshlrev_b32_sdwa v39, s39, v4 dst_sel:DWORD dst_unused:UNUSED_PAD src0_sel:DWORD src1_sel:BYTE_2
	v_lshrrev_b32_e32 v42, 19, v39
	v_and_or_b32 v42, v42, s33, v0
	v_alignbit_b32 v39, v42, v39, 31
	v_lshlrev_b32_e32 v43, 1, v39
	ds_read_u16 v39, v43
	s_waitcnt lgkmcnt(0)
	v_add_u16_e32 v42, 1, v39
	ds_write_b16 v43, v42
	v_lshlrev_b32_sdwa v42, s39, v4 dst_sel:DWORD dst_unused:UNUSED_PAD src0_sel:DWORD src1_sel:BYTE_3
	v_lshrrev_b32_e32 v44, 19, v42
	v_and_or_b32 v44, v44, s33, v0
	v_alignbit_b32 v42, v44, v42, 31
	v_lshlrev_b32_e32 v45, 1, v42
	ds_read_u16 v42, v45
	s_waitcnt lgkmcnt(0)
	v_add_u16_e32 v44, 1, v42
	ds_write_b16 v45, v44
	v_lshlrev_b32_sdwa v44, s39, v5 dst_sel:DWORD dst_unused:UNUSED_PAD src0_sel:DWORD src1_sel:BYTE_0
	v_lshrrev_b32_e32 v46, 19, v44
	v_and_or_b32 v46, v46, s33, v0
	v_alignbit_b32 v44, v46, v44, 31
	v_lshlrev_b32_e32 v48, 1, v44
	ds_read_u16 v44, v48
	s_waitcnt lgkmcnt(0)
	v_add_u16_e32 v46, 1, v44
	ds_write_b16 v48, v46
	v_lshlrev_b32_sdwa v46, s39, v5 dst_sel:DWORD dst_unused:UNUSED_PAD src0_sel:DWORD src1_sel:BYTE_1
	v_lshrrev_b32_e32 v47, 19, v46
	v_and_or_b32 v47, v47, s33, v0
	v_alignbit_b32 v46, v47, v46, 31
	v_lshlrev_b32_e32 v50, 1, v46
	ds_read_u16 v46, v50
	s_waitcnt lgkmcnt(0)
	v_add_u16_e32 v47, 1, v46
	ds_write_b16 v50, v47
	v_lshlrev_b32_sdwa v47, s39, v5 dst_sel:DWORD dst_unused:UNUSED_PAD src0_sel:DWORD src1_sel:BYTE_2
	v_lshrrev_b32_e32 v49, 19, v47
	v_and_or_b32 v49, v49, s33, v0
	v_alignbit_b32 v47, v49, v47, 31
	v_lshlrev_b32_e32 v52, 1, v47
	ds_read_u16 v47, v52
	s_waitcnt lgkmcnt(0)
	v_add_u16_e32 v49, 1, v47
	ds_write_b16 v52, v49
	v_lshlrev_b32_sdwa v49, s39, v5 dst_sel:DWORD dst_unused:UNUSED_PAD src0_sel:DWORD src1_sel:BYTE_3
	v_lshrrev_b32_e32 v51, 19, v49
	v_and_or_b32 v51, v51, s33, v0
	v_alignbit_b32 v49, v51, v49, 31
	v_lshlrev_b32_e32 v55, 1, v49
	ds_read_u16 v49, v55
	s_waitcnt lgkmcnt(0)
	v_add_u16_e32 v51, 1, v49
	ds_write_b16 v55, v51
	s_waitcnt vmcnt(0)
	v_lshlrev_b32_sdwa v51, s39, v6 dst_sel:DWORD dst_unused:UNUSED_PAD src0_sel:DWORD src1_sel:BYTE_0
	v_lshrrev_b32_e32 v53, 19, v51
	v_and_or_b32 v53, v53, s33, v0
	v_alignbit_b32 v51, v53, v51, 31
	v_lshlrev_b32_e32 v59, 1, v51
	ds_read_u16 v51, v59
	s_waitcnt lgkmcnt(0)
	v_add_u16_e32 v53, 1, v51
	ds_write_b16 v59, v53
	v_lshlrev_b32_sdwa v53, s39, v6 dst_sel:DWORD dst_unused:UNUSED_PAD src0_sel:DWORD src1_sel:BYTE_1
	v_lshrrev_b32_e32 v54, 19, v53
	v_and_or_b32 v54, v54, s33, v0
	v_alignbit_b32 v53, v54, v53, 31
	v_lshlrev_b32_e32 v61, 1, v53
	ds_read_u16 v53, v61
	s_waitcnt lgkmcnt(0)
	v_add_u16_e32 v54, 1, v53
	ds_write_b16 v61, v54
	v_lshlrev_b32_sdwa v54, s39, v6 dst_sel:DWORD dst_unused:UNUSED_PAD src0_sel:DWORD src1_sel:BYTE_2
	v_lshrrev_b32_e32 v56, 19, v54
	v_and_or_b32 v56, v56, s33, v0
	v_alignbit_b32 v54, v56, v54, 31
	v_lshlrev_b32_e32 v64, 1, v54
	ds_read_u16 v54, v64
	s_waitcnt lgkmcnt(0)
	v_add_u16_e32 v56, 1, v54
	ds_write_b16 v64, v56
	v_lshlrev_b32_sdwa v56, s39, v6 dst_sel:DWORD dst_unused:UNUSED_PAD src0_sel:DWORD src1_sel:BYTE_3
	v_lshrrev_b32_e32 v57, 19, v56
	v_and_or_b32 v57, v57, s33, v0
	v_alignbit_b32 v56, v57, v56, 31
	v_lshlrev_b32_e32 v66, 1, v56
	ds_read_u16 v56, v66
	s_waitcnt lgkmcnt(0)
	v_add_u16_e32 v57, 1, v56
	ds_write_b16 v66, v57
	v_lshlrev_b32_sdwa v57, s39, v7 dst_sel:DWORD dst_unused:UNUSED_PAD src0_sel:DWORD src1_sel:BYTE_0
	v_lshrrev_b32_e32 v58, 19, v57
	v_and_or_b32 v58, v58, s33, v0
	v_alignbit_b32 v57, v58, v57, 31
	v_lshlrev_b32_e32 v68, 1, v57
	ds_read_u16 v57, v68
	s_waitcnt lgkmcnt(0)
	v_add_u16_e32 v58, 1, v57
	ds_write_b16 v68, v58
	v_lshlrev_b32_sdwa v58, s39, v7 dst_sel:DWORD dst_unused:UNUSED_PAD src0_sel:DWORD src1_sel:BYTE_1
	v_lshrrev_b32_e32 v60, 19, v58
	v_and_or_b32 v60, v60, s33, v0
	v_alignbit_b32 v58, v60, v58, 31
	v_lshlrev_b32_e32 v71, 1, v58
	ds_read_u16 v58, v71
	s_waitcnt lgkmcnt(0)
	v_add_u16_e32 v60, 1, v58
	ds_write_b16 v71, v60
	v_lshlrev_b32_sdwa v60, s39, v7 dst_sel:DWORD dst_unused:UNUSED_PAD src0_sel:DWORD src1_sel:BYTE_2
	v_lshrrev_b32_e32 v62, 19, v60
	v_and_or_b32 v62, v62, s33, v0
	v_alignbit_b32 v60, v62, v60, 31
	v_lshlrev_b32_e32 v73, 1, v60
	ds_read_u16 v60, v73
	s_waitcnt lgkmcnt(0)
	v_add_u16_e32 v62, 1, v60
	ds_write_b16 v73, v62
	v_lshlrev_b32_sdwa v62, s39, v7 dst_sel:DWORD dst_unused:UNUSED_PAD src0_sel:DWORD src1_sel:BYTE_3
	v_lshrrev_b32_e32 v63, 19, v62
	v_and_or_b32 v63, v63, s33, v0
	v_alignbit_b32 v62, v63, v62, 31
	v_lshlrev_b32_e32 v75, 1, v62
	ds_read_u16 v62, v75
	s_waitcnt lgkmcnt(0)
	v_add_u16_e32 v63, 1, v62
	ds_write_b16 v75, v63
	;; [unrolled: 36-line block ×4, first 2 shown]
	s_waitcnt lgkmcnt(0)
	s_barrier
	ds_read2_b32 v[86:87], v10 offset1:1
	ds_read2_b32 v[88:89], v10 offset0:2 offset1:3
	ds_read2_b32 v[90:91], v10 offset0:4 offset1:5
	;; [unrolled: 1-line block ×3, first 2 shown]
	s_waitcnt lgkmcnt(3)
	v_add_u32_e32 v85, v87, v86
	s_waitcnt lgkmcnt(2)
	v_add3_u32 v85, v85, v88, v89
	s_waitcnt lgkmcnt(1)
	v_add3_u32 v85, v85, v90, v91
	;; [unrolled: 2-line block ×3, first 2 shown]
	s_nop 1
	v_mov_b32_dpp v86, v85 row_shr:1 row_mask:0xf bank_mask:0xf
	v_cndmask_b32_e64 v86, v86, 0, s[0:1]
	v_add_u32_e32 v85, v86, v85
	s_nop 1
	v_mov_b32_dpp v86, v85 row_shr:2 row_mask:0xf bank_mask:0xf
	v_cndmask_b32_e64 v86, 0, v86, s[2:3]
	v_add_u32_e32 v85, v85, v86
	;; [unrolled: 4-line block ×4, first 2 shown]
	s_nop 1
	v_mov_b32_dpp v86, v85 row_bcast:15 row_mask:0xf bank_mask:0xf
	v_cndmask_b32_e64 v86, v86, 0, s[8:9]
	v_add_u32_e32 v85, v85, v86
	s_nop 1
	v_mov_b32_dpp v86, v85 row_bcast:31 row_mask:0xf bank_mask:0xf
	v_cndmask_b32_e64 v86, 0, v86, s[10:11]
	v_add_u32_e32 v85, v85, v86
	s_and_saveexec_b64 s[36:37], s[12:13]
	s_cbranch_execz .LBB87_11
; %bb.10:                               ;   in Loop: Header=BB87_4 Depth=2
	ds_write_b32 v12, v85 offset:16384
.LBB87_11:                              ;   in Loop: Header=BB87_4 Depth=2
	s_or_b64 exec, exec, s[36:37]
	s_waitcnt lgkmcnt(0)
	s_barrier
	s_and_saveexec_b64 s[36:37], s[14:15]
	s_cbranch_execz .LBB87_13
; %bb.12:                               ;   in Loop: Header=BB87_4 Depth=2
	ds_read_b32 v86, v13 offset:16384
	s_waitcnt lgkmcnt(0)
	s_nop 0
	v_mov_b32_dpp v87, v86 row_shr:1 row_mask:0xf bank_mask:0xf
	v_cndmask_b32_e64 v87, v87, 0, s[20:21]
	v_add_u32_e32 v86, v87, v86
	s_nop 1
	v_mov_b32_dpp v87, v86 row_shr:2 row_mask:0xf bank_mask:0xf
	v_cndmask_b32_e64 v87, 0, v87, s[22:23]
	v_add_u32_e32 v86, v86, v87
	;; [unrolled: 4-line block ×3, first 2 shown]
	ds_write_b32 v13, v86 offset:16384
.LBB87_13:                              ;   in Loop: Header=BB87_4 Depth=2
	s_or_b64 exec, exec, s[36:37]
	v_mov_b32_e32 v86, 0
	s_waitcnt lgkmcnt(0)
	s_barrier
	s_and_saveexec_b64 s[36:37], s[16:17]
	s_cbranch_execz .LBB87_3
; %bb.14:                               ;   in Loop: Header=BB87_4 Depth=2
	ds_read_b32 v86, v12 offset:16380
	s_branch .LBB87_3
.LBB87_15:                              ;   in Loop: Header=BB87_4 Depth=2
	ds_write_b32 v17, v1
	s_or_b64 exec, exec, s[36:37]
	s_and_saveexec_b64 s[36:37], s[30:31]
	s_cbranch_execz .LBB87_6
.LBB87_16:                              ;   in Loop: Header=BB87_4 Depth=2
	ds_write_b32 v18, v1
	s_or_b64 exec, exec, s[36:37]
	s_and_saveexec_b64 s[36:37], s[30:31]
	s_cbranch_execz .LBB87_7
.LBB87_17:                              ;   in Loop: Header=BB87_4 Depth=2
	ds_write_b32 v19, v1
	s_or_b64 exec, exec, s[36:37]
	s_and_saveexec_b64 s[36:37], s[30:31]
	s_cbranch_execnz .LBB87_8
	s_branch .LBB87_9
.LBB87_18:
	ds_read_u16 v8, v84
	ds_read_u16 v9, v83
	;; [unrolled: 1-line block ×32, first 2 shown]
	s_lshl_b64 s[0:1], s[28:29], 2
	s_add_u32 s0, s26, s0
	s_waitcnt lgkmcnt(8)
	v_add_u32_sdwa v0, v0, v21 dst_sel:DWORD dst_unused:UNUSED_PAD src0_sel:DWORD src1_sel:WORD_0
	v_add_u32_sdwa v1, v1, v23 dst_sel:DWORD dst_unused:UNUSED_PAD src0_sel:DWORD src1_sel:WORD_0
	;; [unrolled: 1-line block ×4, first 2 shown]
	s_waitcnt lgkmcnt(0)
	v_add_u32_sdwa v12, v12, v35 dst_sel:DWORD dst_unused:UNUSED_PAD src0_sel:DWORD src1_sel:WORD_0
	v_add_u32_sdwa v35, v8, v76 dst_sel:DWORD dst_unused:UNUSED_PAD src0_sel:DWORD src1_sel:WORD_0
	s_addc_u32 s1, s27, s1
	v_lshlrev_b32_e32 v8, 2, v10
	v_add_u32_sdwa v4, v4, v28 dst_sel:DWORD dst_unused:UNUSED_PAD src0_sel:DWORD src1_sel:WORD_0
	v_add_u32_sdwa v5, v5, v30 dst_sel:DWORD dst_unused:UNUSED_PAD src0_sel:DWORD src1_sel:WORD_0
	;; [unrolled: 1-line block ×26, first 2 shown]
	global_store_dwordx4 v8, v[0:3], s[0:1]
	global_store_dwordx4 v8, v[4:7], s[0:1] offset:16
	global_store_dwordx4 v8, v[12:15], s[0:1] offset:32
	;; [unrolled: 1-line block ×7, first 2 shown]
	s_endpgm
	.section	.rodata,"a",@progbits
	.p2align	6, 0x0
	.amdhsa_kernel _Z11rank_kernelIhLj4ELb0EL18RadixRankAlgorithm0ELj512ELj32ELj10EEvPKT_Pi
		.amdhsa_group_segment_fixed_size 16416
		.amdhsa_private_segment_fixed_size 0
		.amdhsa_kernarg_size 16
		.amdhsa_user_sgpr_count 6
		.amdhsa_user_sgpr_private_segment_buffer 1
		.amdhsa_user_sgpr_dispatch_ptr 0
		.amdhsa_user_sgpr_queue_ptr 0
		.amdhsa_user_sgpr_kernarg_segment_ptr 1
		.amdhsa_user_sgpr_dispatch_id 0
		.amdhsa_user_sgpr_flat_scratch_init 0
		.amdhsa_user_sgpr_kernarg_preload_length 0
		.amdhsa_user_sgpr_kernarg_preload_offset 0
		.amdhsa_user_sgpr_private_segment_size 0
		.amdhsa_uses_dynamic_stack 0
		.amdhsa_system_sgpr_private_segment_wavefront_offset 0
		.amdhsa_system_sgpr_workgroup_id_x 1
		.amdhsa_system_sgpr_workgroup_id_y 0
		.amdhsa_system_sgpr_workgroup_id_z 0
		.amdhsa_system_sgpr_workgroup_info 0
		.amdhsa_system_vgpr_workitem_id 0
		.amdhsa_next_free_vgpr 94
		.amdhsa_next_free_sgpr 40
		.amdhsa_accum_offset 96
		.amdhsa_reserve_vcc 1
		.amdhsa_reserve_flat_scratch 0
		.amdhsa_float_round_mode_32 0
		.amdhsa_float_round_mode_16_64 0
		.amdhsa_float_denorm_mode_32 3
		.amdhsa_float_denorm_mode_16_64 3
		.amdhsa_dx10_clamp 1
		.amdhsa_ieee_mode 1
		.amdhsa_fp16_overflow 0
		.amdhsa_tg_split 0
		.amdhsa_exception_fp_ieee_invalid_op 0
		.amdhsa_exception_fp_denorm_src 0
		.amdhsa_exception_fp_ieee_div_zero 0
		.amdhsa_exception_fp_ieee_overflow 0
		.amdhsa_exception_fp_ieee_underflow 0
		.amdhsa_exception_fp_ieee_inexact 0
		.amdhsa_exception_int_div_zero 0
	.end_amdhsa_kernel
	.section	.text._Z11rank_kernelIhLj4ELb0EL18RadixRankAlgorithm0ELj512ELj32ELj10EEvPKT_Pi,"axG",@progbits,_Z11rank_kernelIhLj4ELb0EL18RadixRankAlgorithm0ELj512ELj32ELj10EEvPKT_Pi,comdat
.Lfunc_end87:
	.size	_Z11rank_kernelIhLj4ELb0EL18RadixRankAlgorithm0ELj512ELj32ELj10EEvPKT_Pi, .Lfunc_end87-_Z11rank_kernelIhLj4ELb0EL18RadixRankAlgorithm0ELj512ELj32ELj10EEvPKT_Pi
                                        ; -- End function
	.section	.AMDGPU.csdata,"",@progbits
; Kernel info:
; codeLenInByte = 3452
; NumSgprs: 44
; NumVgprs: 94
; NumAgprs: 0
; TotalNumVgprs: 94
; ScratchSize: 0
; MemoryBound: 0
; FloatMode: 240
; IeeeMode: 1
; LDSByteSize: 16416 bytes/workgroup (compile time only)
; SGPRBlocks: 5
; VGPRBlocks: 11
; NumSGPRsForWavesPerEU: 44
; NumVGPRsForWavesPerEU: 94
; AccumOffset: 96
; Occupancy: 5
; WaveLimiterHint : 0
; COMPUTE_PGM_RSRC2:SCRATCH_EN: 0
; COMPUTE_PGM_RSRC2:USER_SGPR: 6
; COMPUTE_PGM_RSRC2:TRAP_HANDLER: 0
; COMPUTE_PGM_RSRC2:TGID_X_EN: 1
; COMPUTE_PGM_RSRC2:TGID_Y_EN: 0
; COMPUTE_PGM_RSRC2:TGID_Z_EN: 0
; COMPUTE_PGM_RSRC2:TIDIG_COMP_CNT: 0
; COMPUTE_PGM_RSRC3_GFX90A:ACCUM_OFFSET: 23
; COMPUTE_PGM_RSRC3_GFX90A:TG_SPLIT: 0
	.section	.text._Z11rank_kernelIhLj4ELb0EL18RadixRankAlgorithm1ELj512ELj32ELj10EEvPKT_Pi,"axG",@progbits,_Z11rank_kernelIhLj4ELb0EL18RadixRankAlgorithm1ELj512ELj32ELj10EEvPKT_Pi,comdat
	.protected	_Z11rank_kernelIhLj4ELb0EL18RadixRankAlgorithm1ELj512ELj32ELj10EEvPKT_Pi ; -- Begin function _Z11rank_kernelIhLj4ELb0EL18RadixRankAlgorithm1ELj512ELj32ELj10EEvPKT_Pi
	.globl	_Z11rank_kernelIhLj4ELb0EL18RadixRankAlgorithm1ELj512ELj32ELj10EEvPKT_Pi
	.p2align	8
	.type	_Z11rank_kernelIhLj4ELb0EL18RadixRankAlgorithm1ELj512ELj32ELj10EEvPKT_Pi,@function
_Z11rank_kernelIhLj4ELb0EL18RadixRankAlgorithm1ELj512ELj32ELj10EEvPKT_Pi: ; @_Z11rank_kernelIhLj4ELb0EL18RadixRankAlgorithm1ELj512ELj32ELj10EEvPKT_Pi
; %bb.0:
	s_load_dwordx4 s[24:27], s[4:5], 0x0
	s_lshl_b32 s28, s6, 14
	v_lshlrev_b32_e32 v10, 5, v0
	v_mbcnt_lo_u32_b32 v11, -1, 0
	v_mbcnt_hi_u32_b32 v12, -1, v11
	s_waitcnt lgkmcnt(0)
	s_add_u32 s0, s24, s28
	s_addc_u32 s1, s25, 0
	global_load_dwordx4 v[2:5], v10, s[0:1]
	global_load_dwordx4 v[6:9], v10, s[0:1] offset:16
	v_and_b32_e32 v11, 15, v12
	v_cmp_eq_u32_e64 s[0:1], 0, v11
	v_cmp_lt_u32_e64 s[2:3], 1, v11
	v_cmp_lt_u32_e64 s[4:5], 3, v11
	;; [unrolled: 1-line block ×3, first 2 shown]
	v_and_b32_e32 v11, 16, v12
	v_cmp_eq_u32_e64 s[8:9], 0, v11
	v_or_b32_e32 v11, 63, v0
	v_cmp_eq_u32_e64 s[12:13], v11, v0
	v_add_u32_e32 v11, -1, v12
	v_and_b32_e32 v13, 64, v12
	v_cmp_lt_i32_e32 vcc, v11, v13
	s_mov_b32 s29, 0
	v_cmp_lt_u32_e64 s[10:11], 31, v12
	v_cndmask_b32_e32 v11, v11, v12, vcc
	v_cmp_eq_u32_e64 s[18:19], 0, v12
	v_lshrrev_b32_e32 v13, 4, v0
	v_lshlrev_b32_e32 v21, 2, v0
	v_and_b32_e32 v12, 7, v12
	v_mov_b32_e32 v1, 0
	v_cmp_gt_u32_e64 s[14:15], 8, v0
	v_cmp_lt_u32_e64 s[16:17], 63, v0
	v_lshlrev_b32_e32 v11, 2, v11
	v_and_b32_e32 v20, 28, v13
	v_cmp_eq_u32_e64 s[20:21], 0, v12
	v_cmp_lt_u32_e64 s[22:23], 1, v12
	v_cmp_lt_u32_e64 s[24:25], 3, v12
	v_or_b32_e32 v22, 0x800, v21
	v_or_b32_e32 v23, 0x1000, v21
	v_or_b32_e32 v24, 0x1800, v21
	v_or_b32_e32 v25, 0x2000, v21
	v_or_b32_e32 v26, 0x2800, v21
	v_or_b32_e32 v27, 0x3000, v21
	v_or_b32_e32 v28, 0x3800, v21
	s_mov_b64 s[30:31], -1
	s_movk_i32 s33, 0xe00
	s_mov_b32 s38, s29
	s_branch .LBB88_2
.LBB88_1:                               ;   in Loop: Header=BB88_2 Depth=1
	s_add_i32 s38, s38, 1
	s_cmp_eq_u32 s38, 10
	s_cbranch_scc1 .LBB88_18
.LBB88_2:                               ; =>This Loop Header: Depth=1
                                        ;     Child Loop BB88_4 Depth 2
	s_mov_b64 s[34:35], -1
	s_mov_b32 s39, 28
	s_branch .LBB88_4
.LBB88_3:                               ;   in Loop: Header=BB88_4 Depth=2
	s_or_b64 exec, exec, s[36:37]
	s_waitcnt lgkmcnt(0)
	v_add_u32_e32 v15, v93, v15
	ds_bpermute_b32 v15, v11, v15
	ds_read_b32 v94, v1 offset:16412
	s_xor_b64 s[34:35], s[34:35], -1
	s_mov_b32 s39, 24
	s_andn2_b64 vcc, exec, s[34:35]
	s_waitcnt lgkmcnt(1)
	v_cndmask_b32_e64 v15, v15, v93, s[18:19]
	s_waitcnt lgkmcnt(0)
	v_lshl_add_u32 v15, v94, 16, v15
	v_add_u32_e32 v18, v15, v18
	v_add_u32_e32 v19, v18, v19
	ds_write2_b32 v10, v15, v18 offset1:1
	v_add_u32_e32 v15, v19, v16
	v_add_u32_e32 v16, v15, v17
	;; [unrolled: 1-line block ×4, first 2 shown]
	ds_write2_b32 v10, v16, v12 offset0:4 offset1:5
	v_add_u32_e32 v12, v13, v14
	s_mov_b64 s[34:35], 0
	ds_write2_b32 v10, v19, v15 offset0:2 offset1:3
	ds_write2_b32 v10, v13, v12 offset0:6 offset1:7
	s_waitcnt lgkmcnt(0)
	s_barrier
	s_cbranch_vccz .LBB88_1
.LBB88_4:                               ;   Parent Loop BB88_2 Depth=1
                                        ; =>  This Inner Loop Header: Depth=2
	ds_write_b32 v21, v1
	ds_write_b32 v22, v1
	;; [unrolled: 1-line block ×4, first 2 shown]
	s_and_saveexec_b64 s[36:37], s[30:31]
	s_cbranch_execnz .LBB88_15
; %bb.5:                                ;   in Loop: Header=BB88_4 Depth=2
	s_or_b64 exec, exec, s[36:37]
	s_and_saveexec_b64 s[36:37], s[30:31]
	s_cbranch_execnz .LBB88_16
.LBB88_6:                               ;   in Loop: Header=BB88_4 Depth=2
	s_or_b64 exec, exec, s[36:37]
	s_and_saveexec_b64 s[36:37], s[30:31]
	s_cbranch_execnz .LBB88_17
.LBB88_7:                               ;   in Loop: Header=BB88_4 Depth=2
	s_or_b64 exec, exec, s[36:37]
	s_and_saveexec_b64 s[36:37], s[30:31]
	s_cbranch_execz .LBB88_9
.LBB88_8:                               ;   in Loop: Header=BB88_4 Depth=2
	ds_write_b32 v28, v1
.LBB88_9:                               ;   in Loop: Header=BB88_4 Depth=2
	s_or_b64 exec, exec, s[36:37]
	s_waitcnt vmcnt(1)
	v_lshlrev_b32_sdwa v12, s39, v2 dst_sel:DWORD dst_unused:UNUSED_PAD src0_sel:DWORD src1_sel:BYTE_0
	v_lshrrev_b32_e32 v13, 19, v12
	v_and_or_b32 v13, v13, s33, v0
	v_alignbit_b32 v12, v13, v12, 31
	v_lshlrev_b32_e32 v30, 1, v12
	ds_read_u16 v29, v30
	v_lshlrev_b32_sdwa v12, s39, v2 dst_sel:DWORD dst_unused:UNUSED_PAD src0_sel:DWORD src1_sel:BYTE_1
	v_lshrrev_b32_e32 v13, 19, v12
	v_and_or_b32 v13, v13, s33, v0
	v_alignbit_b32 v12, v13, v12, 31
	s_waitcnt lgkmcnt(0)
	v_add_u16_e32 v13, 1, v29
	ds_write_b16 v30, v13
	v_lshlrev_b32_e32 v33, 1, v12
	ds_read_u16 v31, v33
	v_lshlrev_b32_sdwa v12, s39, v2 dst_sel:DWORD dst_unused:UNUSED_PAD src0_sel:DWORD src1_sel:BYTE_2
	v_lshrrev_b32_e32 v13, 19, v12
	v_and_or_b32 v13, v13, s33, v0
	v_alignbit_b32 v12, v13, v12, 31
	s_waitcnt lgkmcnt(0)
	v_add_u16_e32 v14, 1, v31
	ds_write_b16 v33, v14
	v_lshlrev_b32_e32 v35, 1, v12
	ds_read_u16 v32, v35
	v_lshlrev_b32_sdwa v12, s39, v2 dst_sel:DWORD dst_unused:UNUSED_PAD src0_sel:DWORD src1_sel:BYTE_3
	v_lshrrev_b32_e32 v13, 19, v12
	v_and_or_b32 v13, v13, s33, v0
	v_alignbit_b32 v12, v13, v12, 31
	s_waitcnt lgkmcnt(0)
	v_add_u16_e32 v14, 1, v32
	ds_write_b16 v35, v14
	v_lshlrev_b32_e32 v37, 1, v12
	ds_read_u16 v34, v37
	v_lshlrev_b32_sdwa v12, s39, v3 dst_sel:DWORD dst_unused:UNUSED_PAD src0_sel:DWORD src1_sel:BYTE_0
	s_waitcnt lgkmcnt(0)
	v_add_u16_e32 v13, 1, v34
	ds_write_b16 v37, v13
	v_lshrrev_b32_e32 v13, 19, v12
	v_and_or_b32 v13, v13, s33, v0
	v_alignbit_b32 v12, v13, v12, 31
	v_lshlrev_b32_e32 v40, 1, v12
	ds_read_u16 v36, v40
	s_waitcnt lgkmcnt(0)
	v_add_u16_e32 v12, 1, v36
	ds_write_b16 v40, v12
	v_lshlrev_b32_sdwa v12, s39, v3 dst_sel:DWORD dst_unused:UNUSED_PAD src0_sel:DWORD src1_sel:BYTE_1
	v_lshrrev_b32_e32 v13, 19, v12
	v_and_or_b32 v13, v13, s33, v0
	v_alignbit_b32 v12, v13, v12, 31
	v_lshlrev_b32_e32 v42, 1, v12
	ds_read_u16 v38, v42
	s_waitcnt lgkmcnt(0)
	v_add_u16_e32 v12, 1, v38
	ds_write_b16 v42, v12
	v_lshlrev_b32_sdwa v12, s39, v3 dst_sel:DWORD dst_unused:UNUSED_PAD src0_sel:DWORD src1_sel:BYTE_2
	v_lshrrev_b32_e32 v13, 19, v12
	v_and_or_b32 v13, v13, s33, v0
	v_alignbit_b32 v12, v13, v12, 31
	v_lshlrev_b32_e32 v44, 1, v12
	ds_read_u16 v39, v44
	s_waitcnt lgkmcnt(0)
	v_add_u16_e32 v12, 1, v39
	ds_write_b16 v44, v12
	v_lshlrev_b32_sdwa v12, s39, v3 dst_sel:DWORD dst_unused:UNUSED_PAD src0_sel:DWORD src1_sel:BYTE_3
	v_lshrrev_b32_e32 v13, 19, v12
	v_and_or_b32 v13, v13, s33, v0
	v_alignbit_b32 v12, v13, v12, 31
	v_lshlrev_b32_e32 v48, 1, v12
	ds_read_u16 v41, v48
	s_waitcnt lgkmcnt(0)
	v_add_u16_e32 v12, 1, v41
	ds_write_b16 v48, v12
	v_lshlrev_b32_sdwa v12, s39, v4 dst_sel:DWORD dst_unused:UNUSED_PAD src0_sel:DWORD src1_sel:BYTE_0
	v_lshrrev_b32_e32 v13, 19, v12
	v_and_or_b32 v13, v13, s33, v0
	v_alignbit_b32 v12, v13, v12, 31
	v_lshlrev_b32_e32 v46, 1, v12
	ds_read_u16 v43, v46
	s_waitcnt lgkmcnt(0)
	v_add_u16_e32 v12, 1, v43
	ds_write_b16 v46, v12
	v_lshlrev_b32_sdwa v12, s39, v4 dst_sel:DWORD dst_unused:UNUSED_PAD src0_sel:DWORD src1_sel:BYTE_1
	v_lshrrev_b32_e32 v13, 19, v12
	v_and_or_b32 v13, v13, s33, v0
	v_alignbit_b32 v12, v13, v12, 31
	v_lshlrev_b32_e32 v49, 1, v12
	ds_read_u16 v45, v49
	s_waitcnt lgkmcnt(0)
	v_add_u16_e32 v12, 1, v45
	ds_write_b16 v49, v12
	v_lshlrev_b32_sdwa v12, s39, v4 dst_sel:DWORD dst_unused:UNUSED_PAD src0_sel:DWORD src1_sel:BYTE_2
	v_lshrrev_b32_e32 v13, 19, v12
	v_and_or_b32 v13, v13, s33, v0
	v_alignbit_b32 v12, v13, v12, 31
	v_lshlrev_b32_e32 v51, 1, v12
	ds_read_u16 v47, v51
	s_waitcnt lgkmcnt(0)
	v_add_u16_e32 v12, 1, v47
	ds_write_b16 v51, v12
	v_lshlrev_b32_sdwa v12, s39, v4 dst_sel:DWORD dst_unused:UNUSED_PAD src0_sel:DWORD src1_sel:BYTE_3
	v_lshrrev_b32_e32 v13, 19, v12
	v_and_or_b32 v13, v13, s33, v0
	v_alignbit_b32 v12, v13, v12, 31
	v_lshlrev_b32_e32 v53, 1, v12
	ds_read_u16 v50, v53
	s_waitcnt lgkmcnt(0)
	v_add_u16_e32 v12, 1, v50
	ds_write_b16 v53, v12
	v_lshlrev_b32_sdwa v12, s39, v5 dst_sel:DWORD dst_unused:UNUSED_PAD src0_sel:DWORD src1_sel:BYTE_0
	v_lshrrev_b32_e32 v13, 19, v12
	v_and_or_b32 v13, v13, s33, v0
	v_alignbit_b32 v12, v13, v12, 31
	v_lshlrev_b32_e32 v56, 1, v12
	ds_read_u16 v52, v56
	s_waitcnt lgkmcnt(0)
	v_add_u16_e32 v12, 1, v52
	ds_write_b16 v56, v12
	v_lshlrev_b32_sdwa v12, s39, v5 dst_sel:DWORD dst_unused:UNUSED_PAD src0_sel:DWORD src1_sel:BYTE_1
	v_lshrrev_b32_e32 v13, 19, v12
	v_and_or_b32 v13, v13, s33, v0
	v_alignbit_b32 v12, v13, v12, 31
	v_lshlrev_b32_e32 v58, 1, v12
	ds_read_u16 v54, v58
	s_waitcnt lgkmcnt(0)
	v_add_u16_e32 v12, 1, v54
	ds_write_b16 v58, v12
	v_lshlrev_b32_sdwa v12, s39, v5 dst_sel:DWORD dst_unused:UNUSED_PAD src0_sel:DWORD src1_sel:BYTE_2
	v_lshrrev_b32_e32 v13, 19, v12
	v_and_or_b32 v13, v13, s33, v0
	v_alignbit_b32 v12, v13, v12, 31
	v_lshlrev_b32_e32 v60, 1, v12
	ds_read_u16 v55, v60
	s_waitcnt lgkmcnt(0)
	v_add_u16_e32 v12, 1, v55
	ds_write_b16 v60, v12
	v_lshlrev_b32_sdwa v12, s39, v5 dst_sel:DWORD dst_unused:UNUSED_PAD src0_sel:DWORD src1_sel:BYTE_3
	v_lshrrev_b32_e32 v13, 19, v12
	v_and_or_b32 v13, v13, s33, v0
	v_alignbit_b32 v12, v13, v12, 31
	v_lshlrev_b32_e32 v63, 1, v12
	ds_read_u16 v57, v63
	s_waitcnt lgkmcnt(0)
	v_add_u16_e32 v12, 1, v57
	ds_write_b16 v63, v12
	s_waitcnt vmcnt(0)
	v_lshlrev_b32_sdwa v12, s39, v6 dst_sel:DWORD dst_unused:UNUSED_PAD src0_sel:DWORD src1_sel:BYTE_0
	v_lshrrev_b32_e32 v13, 19, v12
	v_and_or_b32 v13, v13, s33, v0
	v_alignbit_b32 v12, v13, v12, 31
	v_lshlrev_b32_e32 v67, 1, v12
	ds_read_u16 v59, v67
	s_waitcnt lgkmcnt(0)
	v_add_u16_e32 v12, 1, v59
	ds_write_b16 v67, v12
	v_lshlrev_b32_sdwa v12, s39, v6 dst_sel:DWORD dst_unused:UNUSED_PAD src0_sel:DWORD src1_sel:BYTE_1
	v_lshrrev_b32_e32 v13, 19, v12
	v_and_or_b32 v13, v13, s33, v0
	v_alignbit_b32 v12, v13, v12, 31
	v_lshlrev_b32_e32 v69, 1, v12
	ds_read_u16 v61, v69
	s_waitcnt lgkmcnt(0)
	v_add_u16_e32 v12, 1, v61
	ds_write_b16 v69, v12
	v_lshlrev_b32_sdwa v12, s39, v6 dst_sel:DWORD dst_unused:UNUSED_PAD src0_sel:DWORD src1_sel:BYTE_2
	v_lshrrev_b32_e32 v13, 19, v12
	v_and_or_b32 v13, v13, s33, v0
	v_alignbit_b32 v12, v13, v12, 31
	v_lshlrev_b32_e32 v72, 1, v12
	ds_read_u16 v62, v72
	s_waitcnt lgkmcnt(0)
	v_add_u16_e32 v12, 1, v62
	ds_write_b16 v72, v12
	v_lshlrev_b32_sdwa v12, s39, v6 dst_sel:DWORD dst_unused:UNUSED_PAD src0_sel:DWORD src1_sel:BYTE_3
	v_lshrrev_b32_e32 v13, 19, v12
	v_and_or_b32 v13, v13, s33, v0
	v_alignbit_b32 v12, v13, v12, 31
	v_lshlrev_b32_e32 v74, 1, v12
	ds_read_u16 v64, v74
	s_waitcnt lgkmcnt(0)
	v_add_u16_e32 v12, 1, v64
	ds_write_b16 v74, v12
	v_lshlrev_b32_sdwa v12, s39, v7 dst_sel:DWORD dst_unused:UNUSED_PAD src0_sel:DWORD src1_sel:BYTE_0
	v_lshrrev_b32_e32 v13, 19, v12
	v_and_or_b32 v13, v13, s33, v0
	v_alignbit_b32 v12, v13, v12, 31
	v_lshlrev_b32_e32 v76, 1, v12
	ds_read_u16 v65, v76
	s_waitcnt lgkmcnt(0)
	v_add_u16_e32 v12, 1, v65
	ds_write_b16 v76, v12
	v_lshlrev_b32_sdwa v12, s39, v7 dst_sel:DWORD dst_unused:UNUSED_PAD src0_sel:DWORD src1_sel:BYTE_1
	v_lshrrev_b32_e32 v13, 19, v12
	v_and_or_b32 v13, v13, s33, v0
	v_alignbit_b32 v12, v13, v12, 31
	v_lshlrev_b32_e32 v79, 1, v12
	ds_read_u16 v66, v79
	s_waitcnt lgkmcnt(0)
	v_add_u16_e32 v12, 1, v66
	ds_write_b16 v79, v12
	v_lshlrev_b32_sdwa v12, s39, v7 dst_sel:DWORD dst_unused:UNUSED_PAD src0_sel:DWORD src1_sel:BYTE_2
	v_lshrrev_b32_e32 v13, 19, v12
	v_and_or_b32 v13, v13, s33, v0
	v_alignbit_b32 v12, v13, v12, 31
	v_lshlrev_b32_e32 v81, 1, v12
	ds_read_u16 v68, v81
	s_waitcnt lgkmcnt(0)
	v_add_u16_e32 v12, 1, v68
	ds_write_b16 v81, v12
	v_lshlrev_b32_sdwa v12, s39, v7 dst_sel:DWORD dst_unused:UNUSED_PAD src0_sel:DWORD src1_sel:BYTE_3
	v_lshrrev_b32_e32 v13, 19, v12
	v_and_or_b32 v13, v13, s33, v0
	v_alignbit_b32 v12, v13, v12, 31
	v_lshlrev_b32_e32 v83, 1, v12
	ds_read_u16 v70, v83
	s_waitcnt lgkmcnt(0)
	v_add_u16_e32 v12, 1, v70
	ds_write_b16 v83, v12
	;; [unrolled: 36-line block ×4, first 2 shown]
	s_waitcnt lgkmcnt(0)
	s_barrier
	ds_read2_b32 v[18:19], v10 offset1:1
	ds_read2_b32 v[16:17], v10 offset0:2 offset1:3
	ds_read2_b32 v[12:13], v10 offset0:4 offset1:5
	;; [unrolled: 1-line block ×3, first 2 shown]
	s_waitcnt lgkmcnt(3)
	v_add_u32_e32 v93, v19, v18
	s_waitcnt lgkmcnt(2)
	v_add3_u32 v93, v93, v16, v17
	s_waitcnt lgkmcnt(1)
	v_add3_u32 v93, v93, v12, v13
	;; [unrolled: 2-line block ×3, first 2 shown]
	s_nop 1
	v_mov_b32_dpp v93, v15 row_shr:1 row_mask:0xf bank_mask:0xf
	v_cndmask_b32_e64 v93, v93, 0, s[0:1]
	v_add_u32_e32 v15, v93, v15
	s_nop 1
	v_mov_b32_dpp v93, v15 row_shr:2 row_mask:0xf bank_mask:0xf
	v_cndmask_b32_e64 v93, 0, v93, s[2:3]
	v_add_u32_e32 v15, v15, v93
	;; [unrolled: 4-line block ×4, first 2 shown]
	s_nop 1
	v_mov_b32_dpp v93, v15 row_bcast:15 row_mask:0xf bank_mask:0xf
	v_cndmask_b32_e64 v93, v93, 0, s[8:9]
	v_add_u32_e32 v15, v15, v93
	s_nop 1
	v_mov_b32_dpp v93, v15 row_bcast:31 row_mask:0xf bank_mask:0xf
	v_cndmask_b32_e64 v93, 0, v93, s[10:11]
	v_add_u32_e32 v15, v15, v93
	s_and_saveexec_b64 s[36:37], s[12:13]
	s_cbranch_execz .LBB88_11
; %bb.10:                               ;   in Loop: Header=BB88_4 Depth=2
	ds_write_b32 v20, v15 offset:16384
.LBB88_11:                              ;   in Loop: Header=BB88_4 Depth=2
	s_or_b64 exec, exec, s[36:37]
	s_waitcnt lgkmcnt(0)
	s_barrier
	s_and_saveexec_b64 s[36:37], s[14:15]
	s_cbranch_execz .LBB88_13
; %bb.12:                               ;   in Loop: Header=BB88_4 Depth=2
	ds_read_b32 v93, v21 offset:16384
	s_waitcnt lgkmcnt(0)
	s_nop 0
	v_mov_b32_dpp v94, v93 row_shr:1 row_mask:0xf bank_mask:0xf
	v_cndmask_b32_e64 v94, v94, 0, s[20:21]
	v_add_u32_e32 v93, v94, v93
	s_nop 1
	v_mov_b32_dpp v94, v93 row_shr:2 row_mask:0xf bank_mask:0xf
	v_cndmask_b32_e64 v94, 0, v94, s[22:23]
	v_add_u32_e32 v93, v93, v94
	;; [unrolled: 4-line block ×3, first 2 shown]
	ds_write_b32 v21, v93 offset:16384
.LBB88_13:                              ;   in Loop: Header=BB88_4 Depth=2
	s_or_b64 exec, exec, s[36:37]
	v_mov_b32_e32 v93, 0
	s_waitcnt lgkmcnt(0)
	s_barrier
	s_and_saveexec_b64 s[36:37], s[16:17]
	s_cbranch_execz .LBB88_3
; %bb.14:                               ;   in Loop: Header=BB88_4 Depth=2
	ds_read_b32 v93, v20 offset:16380
	s_branch .LBB88_3
.LBB88_15:                              ;   in Loop: Header=BB88_4 Depth=2
	ds_write_b32 v25, v1
	s_or_b64 exec, exec, s[36:37]
	s_and_saveexec_b64 s[36:37], s[30:31]
	s_cbranch_execz .LBB88_6
.LBB88_16:                              ;   in Loop: Header=BB88_4 Depth=2
	ds_write_b32 v26, v1
	s_or_b64 exec, exec, s[36:37]
	s_and_saveexec_b64 s[36:37], s[30:31]
	s_cbranch_execz .LBB88_7
.LBB88_17:                              ;   in Loop: Header=BB88_4 Depth=2
	ds_write_b32 v27, v1
	s_or_b64 exec, exec, s[36:37]
	s_and_saveexec_b64 s[36:37], s[30:31]
	s_cbranch_execnz .LBB88_8
	s_branch .LBB88_9
.LBB88_18:
	ds_read_u16 v8, v92
	ds_read_u16 v9, v91
	;; [unrolled: 1-line block ×32, first 2 shown]
	s_lshl_b64 s[0:1], s[28:29], 2
	s_add_u32 s0, s26, s0
	s_waitcnt lgkmcnt(8)
	v_add_u32_sdwa v0, v0, v29 dst_sel:DWORD dst_unused:UNUSED_PAD src0_sel:DWORD src1_sel:WORD_0
	v_add_u32_sdwa v1, v1, v31 dst_sel:DWORD dst_unused:UNUSED_PAD src0_sel:DWORD src1_sel:WORD_0
	;; [unrolled: 1-line block ×5, first 2 shown]
	s_addc_u32 s1, s27, s1
	v_lshlrev_b32_e32 v8, 2, v10
	v_add_u32_sdwa v4, v4, v36 dst_sel:DWORD dst_unused:UNUSED_PAD src0_sel:DWORD src1_sel:WORD_0
	v_add_u32_sdwa v5, v5, v38 dst_sel:DWORD dst_unused:UNUSED_PAD src0_sel:DWORD src1_sel:WORD_0
	;; [unrolled: 1-line block ×4, first 2 shown]
	s_waitcnt lgkmcnt(0)
	v_add_u32_sdwa v12, v12, v43 dst_sel:DWORD dst_unused:UNUSED_PAD src0_sel:DWORD src1_sel:WORD_0
	v_add_u32_sdwa v13, v13, v45 dst_sel:DWORD dst_unused:UNUSED_PAD src0_sel:DWORD src1_sel:WORD_0
	;; [unrolled: 1-line block ×23, first 2 shown]
	global_store_dwordx4 v8, v[0:3], s[0:1]
	global_store_dwordx4 v8, v[4:7], s[0:1] offset:16
	global_store_dwordx4 v8, v[12:15], s[0:1] offset:32
	global_store_dwordx4 v8, v[16:19], s[0:1] offset:48
	global_store_dwordx4 v8, v[20:23], s[0:1] offset:64
	global_store_dwordx4 v8, v[24:27], s[0:1] offset:80
	global_store_dwordx4 v8, v[28:31], s[0:1] offset:96
	global_store_dwordx4 v8, v[32:35], s[0:1] offset:112
	s_endpgm
	.section	.rodata,"a",@progbits
	.p2align	6, 0x0
	.amdhsa_kernel _Z11rank_kernelIhLj4ELb0EL18RadixRankAlgorithm1ELj512ELj32ELj10EEvPKT_Pi
		.amdhsa_group_segment_fixed_size 16416
		.amdhsa_private_segment_fixed_size 0
		.amdhsa_kernarg_size 16
		.amdhsa_user_sgpr_count 6
		.amdhsa_user_sgpr_private_segment_buffer 1
		.amdhsa_user_sgpr_dispatch_ptr 0
		.amdhsa_user_sgpr_queue_ptr 0
		.amdhsa_user_sgpr_kernarg_segment_ptr 1
		.amdhsa_user_sgpr_dispatch_id 0
		.amdhsa_user_sgpr_flat_scratch_init 0
		.amdhsa_user_sgpr_kernarg_preload_length 0
		.amdhsa_user_sgpr_kernarg_preload_offset 0
		.amdhsa_user_sgpr_private_segment_size 0
		.amdhsa_uses_dynamic_stack 0
		.amdhsa_system_sgpr_private_segment_wavefront_offset 0
		.amdhsa_system_sgpr_workgroup_id_x 1
		.amdhsa_system_sgpr_workgroup_id_y 0
		.amdhsa_system_sgpr_workgroup_id_z 0
		.amdhsa_system_sgpr_workgroup_info 0
		.amdhsa_system_vgpr_workitem_id 0
		.amdhsa_next_free_vgpr 95
		.amdhsa_next_free_sgpr 40
		.amdhsa_accum_offset 96
		.amdhsa_reserve_vcc 1
		.amdhsa_reserve_flat_scratch 0
		.amdhsa_float_round_mode_32 0
		.amdhsa_float_round_mode_16_64 0
		.amdhsa_float_denorm_mode_32 3
		.amdhsa_float_denorm_mode_16_64 3
		.amdhsa_dx10_clamp 1
		.amdhsa_ieee_mode 1
		.amdhsa_fp16_overflow 0
		.amdhsa_tg_split 0
		.amdhsa_exception_fp_ieee_invalid_op 0
		.amdhsa_exception_fp_denorm_src 0
		.amdhsa_exception_fp_ieee_div_zero 0
		.amdhsa_exception_fp_ieee_overflow 0
		.amdhsa_exception_fp_ieee_underflow 0
		.amdhsa_exception_fp_ieee_inexact 0
		.amdhsa_exception_int_div_zero 0
	.end_amdhsa_kernel
	.section	.text._Z11rank_kernelIhLj4ELb0EL18RadixRankAlgorithm1ELj512ELj32ELj10EEvPKT_Pi,"axG",@progbits,_Z11rank_kernelIhLj4ELb0EL18RadixRankAlgorithm1ELj512ELj32ELj10EEvPKT_Pi,comdat
.Lfunc_end88:
	.size	_Z11rank_kernelIhLj4ELb0EL18RadixRankAlgorithm1ELj512ELj32ELj10EEvPKT_Pi, .Lfunc_end88-_Z11rank_kernelIhLj4ELb0EL18RadixRankAlgorithm1ELj512ELj32ELj10EEvPKT_Pi
                                        ; -- End function
	.section	.AMDGPU.csdata,"",@progbits
; Kernel info:
; codeLenInByte = 3404
; NumSgprs: 44
; NumVgprs: 95
; NumAgprs: 0
; TotalNumVgprs: 95
; ScratchSize: 0
; MemoryBound: 0
; FloatMode: 240
; IeeeMode: 1
; LDSByteSize: 16416 bytes/workgroup (compile time only)
; SGPRBlocks: 5
; VGPRBlocks: 11
; NumSGPRsForWavesPerEU: 44
; NumVGPRsForWavesPerEU: 95
; AccumOffset: 96
; Occupancy: 5
; WaveLimiterHint : 0
; COMPUTE_PGM_RSRC2:SCRATCH_EN: 0
; COMPUTE_PGM_RSRC2:USER_SGPR: 6
; COMPUTE_PGM_RSRC2:TRAP_HANDLER: 0
; COMPUTE_PGM_RSRC2:TGID_X_EN: 1
; COMPUTE_PGM_RSRC2:TGID_Y_EN: 0
; COMPUTE_PGM_RSRC2:TGID_Z_EN: 0
; COMPUTE_PGM_RSRC2:TIDIG_COMP_CNT: 0
; COMPUTE_PGM_RSRC3_GFX90A:ACCUM_OFFSET: 23
; COMPUTE_PGM_RSRC3_GFX90A:TG_SPLIT: 0
	.section	.text._Z11rank_kernelIhLj4ELb0EL18RadixRankAlgorithm2ELj512ELj32ELj10EEvPKT_Pi,"axG",@progbits,_Z11rank_kernelIhLj4ELb0EL18RadixRankAlgorithm2ELj512ELj32ELj10EEvPKT_Pi,comdat
	.protected	_Z11rank_kernelIhLj4ELb0EL18RadixRankAlgorithm2ELj512ELj32ELj10EEvPKT_Pi ; -- Begin function _Z11rank_kernelIhLj4ELb0EL18RadixRankAlgorithm2ELj512ELj32ELj10EEvPKT_Pi
	.globl	_Z11rank_kernelIhLj4ELb0EL18RadixRankAlgorithm2ELj512ELj32ELj10EEvPKT_Pi
	.p2align	8
	.type	_Z11rank_kernelIhLj4ELb0EL18RadixRankAlgorithm2ELj512ELj32ELj10EEvPKT_Pi,@function
_Z11rank_kernelIhLj4ELb0EL18RadixRankAlgorithm2ELj512ELj32ELj10EEvPKT_Pi: ; @_Z11rank_kernelIhLj4ELb0EL18RadixRankAlgorithm2ELj512ELj32ELj10EEvPKT_Pi
; %bb.0:
	s_load_dwordx4 s[28:31], s[4:5], 0x0
	s_load_dword s2, s[4:5], 0x1c
	s_lshl_b32 s34, s6, 14
	v_and_b32_e32 v18, 0x3ff, v0
	v_lshlrev_b32_e32 v10, 5, v18
	s_waitcnt lgkmcnt(0)
	s_add_u32 s0, s28, s34
	s_addc_u32 s1, s29, 0
	global_load_dwordx4 v[2:5], v10, s[0:1]
	global_load_dwordx4 v[6:9], v10, s[0:1] offset:16
	s_lshr_b32 s0, s2, 16
	v_bfe_u32 v1, v0, 10, 10
	v_bfe_u32 v0, v0, 20, 10
	s_and_b32 s1, s2, 0xffff
	v_mad_u32_u24 v0, v0, s0, v1
	v_mad_u64_u32 v[0:1], s[0:1], v0, s1, v[18:19]
	v_lshrrev_b32_e32 v14, 6, v0
	v_mbcnt_lo_u32_b32 v0, -1, 0
	v_mbcnt_hi_u32_b32 v0, -1, v0
	v_and_b32_e32 v1, 15, v0
	v_cmp_eq_u32_e64 s[0:1], 0, v1
	v_cmp_lt_u32_e64 s[2:3], 1, v1
	v_cmp_lt_u32_e64 s[4:5], 3, v1
	;; [unrolled: 1-line block ×3, first 2 shown]
	v_and_b32_e32 v1, 16, v0
	v_cmp_eq_u32_e64 s[8:9], 0, v1
	v_or_b32_e32 v1, 63, v18
	v_cmp_eq_u32_e64 s[12:13], v1, v18
	v_add_u32_e32 v1, -1, v0
	v_and_b32_e32 v11, 64, v0
	v_cmp_lt_i32_e32 vcc, v1, v11
	v_cndmask_b32_e32 v1, v1, v0, vcc
	v_lshlrev_b32_e32 v16, 2, v1
	v_lshrrev_b32_e32 v1, 4, v18
	s_mov_b32 s35, 0
	v_lshlrev_b32_e32 v15, 2, v18
	v_cmp_lt_u32_e64 s[10:11], 31, v0
	v_cmp_gt_u32_e64 s[14:15], 8, v18
	v_cmp_lt_u32_e64 s[16:17], 63, v18
	v_cmp_eq_u32_e64 s[18:19], 0, v0
	v_and_b32_e32 v18, 28, v1
	v_and_b32_e32 v0, 7, v0
	v_mov_b32_e32 v12, 0
	v_cmp_eq_u32_e64 s[20:21], 0, v0
	v_cmp_lt_u32_e64 s[22:23], 1, v0
	v_cmp_lt_u32_e64 s[24:25], 3, v0
	v_add_u32_e32 v19, -4, v18
	s_mov_b32 s33, s35
	s_branch .LBB89_2
.LBB89_1:                               ;   in Loop: Header=BB89_2 Depth=1
	s_add_i32 s33, s33, 1
	s_cmp_eq_u32 s33, 10
	s_cbranch_scc1 .LBB89_74
.LBB89_2:                               ; =>This Loop Header: Depth=1
                                        ;     Child Loop BB89_4 Depth 2
	s_mov_b64 s[28:29], -1
	s_mov_b32 s36, 28
	s_branch .LBB89_4
.LBB89_3:                               ;   in Loop: Header=BB89_4 Depth=2
	s_or_b64 exec, exec, s[26:27]
	s_waitcnt lgkmcnt(0)
	v_add_u32_e32 v0, v1, v0
	ds_bpermute_b32 v0, v16, v0
	s_xor_b64 s[26:27], s[28:29], -1
	s_mov_b32 s36, 24
	s_andn2_b64 vcc, exec, s[26:27]
	s_mov_b64 s[28:29], 0
	s_waitcnt lgkmcnt(0)
	v_cndmask_b32_e64 v0, v0, v1, s[18:19]
	ds_write_b32 v15, v0 offset:32
	s_waitcnt lgkmcnt(0)
	s_barrier
	s_cbranch_vccz .LBB89_1
.LBB89_4:                               ;   Parent Loop BB89_2 Depth=1
                                        ; =>  This Inner Loop Header: Depth=2
	s_waitcnt vmcnt(1)
	v_lshlrev_b32_sdwa v0, s36, v2 dst_sel:DWORD dst_unused:UNUSED_PAD src0_sel:DWORD src1_sel:BYTE_0
	v_bfe_u32 v13, v0, 28, 1
	v_add_co_u32_e32 v17, vcc, -1, v13
	v_addc_co_u32_e64 v20, s[26:27], 0, -1, vcc
	v_cmp_ne_u32_e32 vcc, 0, v13
	v_lshrrev_b32_e32 v1, 28, v0
	v_xor_b32_e32 v13, vcc_hi, v20
	v_and_b32_e32 v20, exec_hi, v13
	v_lshlrev_b32_e32 v13, 30, v1
	v_xor_b32_e32 v17, vcc_lo, v17
	v_cmp_gt_i64_e32 vcc, 0, v[12:13]
	v_not_b32_e32 v13, v13
	v_ashrrev_i32_e32 v13, 31, v13
	v_and_b32_e32 v17, exec_lo, v17
	v_xor_b32_e32 v21, vcc_hi, v13
	v_xor_b32_e32 v13, vcc_lo, v13
	v_and_b32_e32 v17, v17, v13
	v_lshlrev_b32_e32 v13, 29, v1
	v_mad_u32_u24 v11, v1, 9, v14
	v_not_b32_e32 v1, v13
	v_cmp_gt_i64_e32 vcc, 0, v[12:13]
	v_ashrrev_i32_e32 v1, 31, v1
	v_and_b32_e32 v20, v20, v21
	v_xor_b32_e32 v13, vcc_hi, v1
	v_and_b32_e32 v20, v20, v13
	v_and_b32_e32 v13, 0xf0000000, v0
	v_not_b32_e32 v0, v13
	v_xor_b32_e32 v1, vcc_lo, v1
	v_cmp_gt_i64_e32 vcc, 0, v[12:13]
	v_ashrrev_i32_e32 v0, 31, v0
	v_and_b32_e32 v17, v17, v1
	v_xor_b32_e32 v1, vcc_hi, v0
	v_xor_b32_e32 v0, vcc_lo, v0
	v_and_b32_e32 v0, v17, v0
	v_and_b32_e32 v1, v20, v1
	v_mbcnt_lo_u32_b32 v13, v0, 0
	v_mbcnt_hi_u32_b32 v17, v1, v13
	v_cmp_eq_u32_e32 vcc, 0, v17
	v_cmp_ne_u64_e64 s[26:27], 0, v[0:1]
	v_lshl_add_u32 v11, v11, 2, 32
	s_and_b64 s[38:39], vcc, s[26:27]
	ds_write_b32 v15, v12 offset:32
	s_waitcnt lgkmcnt(0)
	s_barrier
	s_waitcnt lgkmcnt(0)
	; wave barrier
	s_and_saveexec_b64 s[26:27], s[38:39]
	s_cbranch_execz .LBB89_6
; %bb.5:                                ;   in Loop: Header=BB89_4 Depth=2
	v_bcnt_u32_b32 v0, v0, 0
	v_bcnt_u32_b32 v0, v1, v0
	ds_write_b32 v11, v0
.LBB89_6:                               ;   in Loop: Header=BB89_4 Depth=2
	s_or_b64 exec, exec, s[26:27]
	v_lshlrev_b32_sdwa v0, s36, v2 dst_sel:DWORD dst_unused:UNUSED_PAD src0_sel:DWORD src1_sel:BYTE_1
	v_lshrrev_b32_e32 v1, 28, v0
	v_mul_u32_u24_e32 v13, 9, v1
	v_add_lshl_u32 v13, v13, v14, 2
	; wave barrier
	v_add_u32_e32 v21, 32, v13
	ds_read_b32 v20, v13 offset:32
	v_bfe_u32 v13, v0, 28, 1
	v_add_co_u32_e32 v22, vcc, -1, v13
	v_addc_co_u32_e64 v23, s[26:27], 0, -1, vcc
	v_cmp_ne_u32_e32 vcc, 0, v13
	v_xor_b32_e32 v13, vcc_hi, v23
	v_and_b32_e32 v23, exec_hi, v13
	v_lshlrev_b32_e32 v13, 30, v1
	v_xor_b32_e32 v22, vcc_lo, v22
	v_cmp_gt_i64_e32 vcc, 0, v[12:13]
	v_not_b32_e32 v13, v13
	v_ashrrev_i32_e32 v13, 31, v13
	v_and_b32_e32 v22, exec_lo, v22
	v_xor_b32_e32 v24, vcc_hi, v13
	v_xor_b32_e32 v13, vcc_lo, v13
	v_and_b32_e32 v22, v22, v13
	v_lshlrev_b32_e32 v13, 29, v1
	v_not_b32_e32 v1, v13
	v_cmp_gt_i64_e32 vcc, 0, v[12:13]
	v_ashrrev_i32_e32 v1, 31, v1
	v_and_b32_e32 v23, v23, v24
	v_xor_b32_e32 v13, vcc_hi, v1
	v_and_b32_e32 v23, v23, v13
	v_and_b32_e32 v13, 0xf0000000, v0
	v_not_b32_e32 v0, v13
	v_xor_b32_e32 v1, vcc_lo, v1
	v_cmp_gt_i64_e32 vcc, 0, v[12:13]
	v_ashrrev_i32_e32 v0, 31, v0
	v_and_b32_e32 v22, v22, v1
	v_xor_b32_e32 v1, vcc_hi, v0
	v_xor_b32_e32 v0, vcc_lo, v0
	v_and_b32_e32 v0, v22, v0
	v_and_b32_e32 v1, v23, v1
	v_mbcnt_lo_u32_b32 v13, v0, 0
	v_mbcnt_hi_u32_b32 v22, v1, v13
	v_cmp_eq_u32_e32 vcc, 0, v22
	v_cmp_ne_u64_e64 s[26:27], 0, v[0:1]
	s_and_b64 s[38:39], vcc, s[26:27]
	; wave barrier
	s_and_saveexec_b64 s[26:27], s[38:39]
	s_cbranch_execz .LBB89_8
; %bb.7:                                ;   in Loop: Header=BB89_4 Depth=2
	v_bcnt_u32_b32 v0, v0, 0
	v_bcnt_u32_b32 v0, v1, v0
	s_waitcnt lgkmcnt(0)
	v_add_u32_e32 v0, v20, v0
	ds_write_b32 v21, v0
.LBB89_8:                               ;   in Loop: Header=BB89_4 Depth=2
	s_or_b64 exec, exec, s[26:27]
	v_lshlrev_b32_sdwa v0, s36, v2 dst_sel:DWORD dst_unused:UNUSED_PAD src0_sel:DWORD src1_sel:BYTE_2
	v_lshrrev_b32_e32 v1, 28, v0
	v_mul_u32_u24_e32 v13, 9, v1
	v_add_lshl_u32 v13, v13, v14, 2
	; wave barrier
	v_add_u32_e32 v24, 32, v13
	ds_read_b32 v23, v13 offset:32
	v_bfe_u32 v13, v0, 28, 1
	v_add_co_u32_e32 v25, vcc, -1, v13
	v_addc_co_u32_e64 v26, s[26:27], 0, -1, vcc
	v_cmp_ne_u32_e32 vcc, 0, v13
	v_xor_b32_e32 v13, vcc_hi, v26
	v_and_b32_e32 v26, exec_hi, v13
	v_lshlrev_b32_e32 v13, 30, v1
	v_xor_b32_e32 v25, vcc_lo, v25
	v_cmp_gt_i64_e32 vcc, 0, v[12:13]
	v_not_b32_e32 v13, v13
	v_ashrrev_i32_e32 v13, 31, v13
	v_and_b32_e32 v25, exec_lo, v25
	v_xor_b32_e32 v27, vcc_hi, v13
	v_xor_b32_e32 v13, vcc_lo, v13
	v_and_b32_e32 v25, v25, v13
	v_lshlrev_b32_e32 v13, 29, v1
	v_not_b32_e32 v1, v13
	v_cmp_gt_i64_e32 vcc, 0, v[12:13]
	v_ashrrev_i32_e32 v1, 31, v1
	v_and_b32_e32 v26, v26, v27
	v_xor_b32_e32 v13, vcc_hi, v1
	v_and_b32_e32 v26, v26, v13
	v_and_b32_e32 v13, 0xf0000000, v0
	v_not_b32_e32 v0, v13
	v_xor_b32_e32 v1, vcc_lo, v1
	v_cmp_gt_i64_e32 vcc, 0, v[12:13]
	v_ashrrev_i32_e32 v0, 31, v0
	v_and_b32_e32 v25, v25, v1
	v_xor_b32_e32 v1, vcc_hi, v0
	v_xor_b32_e32 v0, vcc_lo, v0
	v_and_b32_e32 v0, v25, v0
	v_and_b32_e32 v1, v26, v1
	v_mbcnt_lo_u32_b32 v13, v0, 0
	v_mbcnt_hi_u32_b32 v25, v1, v13
	v_cmp_eq_u32_e32 vcc, 0, v25
	v_cmp_ne_u64_e64 s[26:27], 0, v[0:1]
	s_and_b64 s[38:39], vcc, s[26:27]
	; wave barrier
	s_and_saveexec_b64 s[26:27], s[38:39]
	s_cbranch_execz .LBB89_10
; %bb.9:                                ;   in Loop: Header=BB89_4 Depth=2
	v_bcnt_u32_b32 v0, v0, 0
	v_bcnt_u32_b32 v0, v1, v0
	s_waitcnt lgkmcnt(0)
	v_add_u32_e32 v0, v23, v0
	ds_write_b32 v24, v0
.LBB89_10:                              ;   in Loop: Header=BB89_4 Depth=2
	s_or_b64 exec, exec, s[26:27]
	v_lshlrev_b32_sdwa v0, s36, v2 dst_sel:DWORD dst_unused:UNUSED_PAD src0_sel:DWORD src1_sel:BYTE_3
	v_lshrrev_b32_e32 v1, 28, v0
	v_mul_u32_u24_e32 v13, 9, v1
	v_add_lshl_u32 v13, v13, v14, 2
	; wave barrier
	v_add_u32_e32 v27, 32, v13
	ds_read_b32 v26, v13 offset:32
	v_bfe_u32 v13, v0, 28, 1
	v_add_co_u32_e32 v28, vcc, -1, v13
	v_addc_co_u32_e64 v29, s[26:27], 0, -1, vcc
	v_cmp_ne_u32_e32 vcc, 0, v13
	v_xor_b32_e32 v13, vcc_hi, v29
	v_and_b32_e32 v29, exec_hi, v13
	v_lshlrev_b32_e32 v13, 30, v1
	v_xor_b32_e32 v28, vcc_lo, v28
	v_cmp_gt_i64_e32 vcc, 0, v[12:13]
	v_not_b32_e32 v13, v13
	v_ashrrev_i32_e32 v13, 31, v13
	v_and_b32_e32 v28, exec_lo, v28
	v_xor_b32_e32 v30, vcc_hi, v13
	v_xor_b32_e32 v13, vcc_lo, v13
	v_and_b32_e32 v28, v28, v13
	v_lshlrev_b32_e32 v13, 29, v1
	v_not_b32_e32 v1, v13
	v_cmp_gt_i64_e32 vcc, 0, v[12:13]
	v_ashrrev_i32_e32 v1, 31, v1
	v_and_b32_e32 v29, v29, v30
	v_xor_b32_e32 v13, vcc_hi, v1
	v_and_b32_e32 v29, v29, v13
	v_and_b32_e32 v13, 0xf0000000, v0
	v_not_b32_e32 v0, v13
	v_xor_b32_e32 v1, vcc_lo, v1
	v_cmp_gt_i64_e32 vcc, 0, v[12:13]
	v_ashrrev_i32_e32 v0, 31, v0
	v_and_b32_e32 v28, v28, v1
	v_xor_b32_e32 v1, vcc_hi, v0
	v_xor_b32_e32 v0, vcc_lo, v0
	v_and_b32_e32 v0, v28, v0
	v_and_b32_e32 v1, v29, v1
	v_mbcnt_lo_u32_b32 v13, v0, 0
	v_mbcnt_hi_u32_b32 v28, v1, v13
	v_cmp_eq_u32_e32 vcc, 0, v28
	v_cmp_ne_u64_e64 s[26:27], 0, v[0:1]
	s_and_b64 s[38:39], vcc, s[26:27]
	; wave barrier
	s_and_saveexec_b64 s[26:27], s[38:39]
	s_cbranch_execz .LBB89_12
; %bb.11:                               ;   in Loop: Header=BB89_4 Depth=2
	v_bcnt_u32_b32 v0, v0, 0
	v_bcnt_u32_b32 v0, v1, v0
	s_waitcnt lgkmcnt(0)
	v_add_u32_e32 v0, v26, v0
	ds_write_b32 v27, v0
.LBB89_12:                              ;   in Loop: Header=BB89_4 Depth=2
	s_or_b64 exec, exec, s[26:27]
	v_lshlrev_b32_sdwa v0, s36, v3 dst_sel:DWORD dst_unused:UNUSED_PAD src0_sel:DWORD src1_sel:BYTE_0
	v_lshrrev_b32_e32 v1, 28, v0
	v_mul_u32_u24_e32 v13, 9, v1
	v_add_lshl_u32 v13, v13, v14, 2
	; wave barrier
	v_add_u32_e32 v30, 32, v13
	ds_read_b32 v29, v13 offset:32
	v_bfe_u32 v13, v0, 28, 1
	v_add_co_u32_e32 v31, vcc, -1, v13
	v_addc_co_u32_e64 v32, s[26:27], 0, -1, vcc
	v_cmp_ne_u32_e32 vcc, 0, v13
	v_xor_b32_e32 v13, vcc_hi, v32
	v_and_b32_e32 v32, exec_hi, v13
	v_lshlrev_b32_e32 v13, 30, v1
	v_xor_b32_e32 v31, vcc_lo, v31
	v_cmp_gt_i64_e32 vcc, 0, v[12:13]
	v_not_b32_e32 v13, v13
	v_ashrrev_i32_e32 v13, 31, v13
	v_and_b32_e32 v31, exec_lo, v31
	v_xor_b32_e32 v33, vcc_hi, v13
	v_xor_b32_e32 v13, vcc_lo, v13
	v_and_b32_e32 v31, v31, v13
	v_lshlrev_b32_e32 v13, 29, v1
	v_not_b32_e32 v1, v13
	v_cmp_gt_i64_e32 vcc, 0, v[12:13]
	v_ashrrev_i32_e32 v1, 31, v1
	v_and_b32_e32 v32, v32, v33
	v_xor_b32_e32 v13, vcc_hi, v1
	v_and_b32_e32 v32, v32, v13
	v_and_b32_e32 v13, 0xf0000000, v0
	v_not_b32_e32 v0, v13
	v_xor_b32_e32 v1, vcc_lo, v1
	v_cmp_gt_i64_e32 vcc, 0, v[12:13]
	v_ashrrev_i32_e32 v0, 31, v0
	v_and_b32_e32 v31, v31, v1
	v_xor_b32_e32 v1, vcc_hi, v0
	v_xor_b32_e32 v0, vcc_lo, v0
	v_and_b32_e32 v0, v31, v0
	v_and_b32_e32 v1, v32, v1
	v_mbcnt_lo_u32_b32 v13, v0, 0
	v_mbcnt_hi_u32_b32 v31, v1, v13
	v_cmp_eq_u32_e32 vcc, 0, v31
	v_cmp_ne_u64_e64 s[26:27], 0, v[0:1]
	s_and_b64 s[38:39], vcc, s[26:27]
	; wave barrier
	s_and_saveexec_b64 s[26:27], s[38:39]
	s_cbranch_execz .LBB89_14
; %bb.13:                               ;   in Loop: Header=BB89_4 Depth=2
	v_bcnt_u32_b32 v0, v0, 0
	v_bcnt_u32_b32 v0, v1, v0
	s_waitcnt lgkmcnt(0)
	v_add_u32_e32 v0, v29, v0
	ds_write_b32 v30, v0
.LBB89_14:                              ;   in Loop: Header=BB89_4 Depth=2
	s_or_b64 exec, exec, s[26:27]
	v_lshlrev_b32_sdwa v0, s36, v3 dst_sel:DWORD dst_unused:UNUSED_PAD src0_sel:DWORD src1_sel:BYTE_1
	v_lshrrev_b32_e32 v1, 28, v0
	v_mul_u32_u24_e32 v13, 9, v1
	v_add_lshl_u32 v13, v13, v14, 2
	; wave barrier
	v_add_u32_e32 v33, 32, v13
	ds_read_b32 v32, v13 offset:32
	v_bfe_u32 v13, v0, 28, 1
	v_add_co_u32_e32 v34, vcc, -1, v13
	v_addc_co_u32_e64 v35, s[26:27], 0, -1, vcc
	v_cmp_ne_u32_e32 vcc, 0, v13
	v_xor_b32_e32 v13, vcc_hi, v35
	v_and_b32_e32 v35, exec_hi, v13
	v_lshlrev_b32_e32 v13, 30, v1
	v_xor_b32_e32 v34, vcc_lo, v34
	v_cmp_gt_i64_e32 vcc, 0, v[12:13]
	v_not_b32_e32 v13, v13
	v_ashrrev_i32_e32 v13, 31, v13
	v_and_b32_e32 v34, exec_lo, v34
	v_xor_b32_e32 v36, vcc_hi, v13
	v_xor_b32_e32 v13, vcc_lo, v13
	v_and_b32_e32 v34, v34, v13
	v_lshlrev_b32_e32 v13, 29, v1
	v_not_b32_e32 v1, v13
	v_cmp_gt_i64_e32 vcc, 0, v[12:13]
	v_ashrrev_i32_e32 v1, 31, v1
	v_and_b32_e32 v35, v35, v36
	v_xor_b32_e32 v13, vcc_hi, v1
	v_and_b32_e32 v35, v35, v13
	v_and_b32_e32 v13, 0xf0000000, v0
	v_not_b32_e32 v0, v13
	v_xor_b32_e32 v1, vcc_lo, v1
	v_cmp_gt_i64_e32 vcc, 0, v[12:13]
	v_ashrrev_i32_e32 v0, 31, v0
	v_and_b32_e32 v34, v34, v1
	v_xor_b32_e32 v1, vcc_hi, v0
	v_xor_b32_e32 v0, vcc_lo, v0
	v_and_b32_e32 v0, v34, v0
	v_and_b32_e32 v1, v35, v1
	v_mbcnt_lo_u32_b32 v13, v0, 0
	v_mbcnt_hi_u32_b32 v35, v1, v13
	v_cmp_eq_u32_e32 vcc, 0, v35
	v_cmp_ne_u64_e64 s[26:27], 0, v[0:1]
	s_and_b64 s[38:39], vcc, s[26:27]
	; wave barrier
	s_and_saveexec_b64 s[26:27], s[38:39]
	s_cbranch_execz .LBB89_16
; %bb.15:                               ;   in Loop: Header=BB89_4 Depth=2
	v_bcnt_u32_b32 v0, v0, 0
	v_bcnt_u32_b32 v0, v1, v0
	s_waitcnt lgkmcnt(0)
	v_add_u32_e32 v0, v32, v0
	ds_write_b32 v33, v0
.LBB89_16:                              ;   in Loop: Header=BB89_4 Depth=2
	s_or_b64 exec, exec, s[26:27]
	v_lshlrev_b32_sdwa v0, s36, v3 dst_sel:DWORD dst_unused:UNUSED_PAD src0_sel:DWORD src1_sel:BYTE_2
	v_lshrrev_b32_e32 v1, 28, v0
	v_mul_u32_u24_e32 v13, 9, v1
	v_add_lshl_u32 v13, v13, v14, 2
	; wave barrier
	v_add_u32_e32 v37, 32, v13
	ds_read_b32 v34, v13 offset:32
	v_bfe_u32 v13, v0, 28, 1
	v_add_co_u32_e32 v36, vcc, -1, v13
	v_addc_co_u32_e64 v38, s[26:27], 0, -1, vcc
	v_cmp_ne_u32_e32 vcc, 0, v13
	v_xor_b32_e32 v13, vcc_hi, v38
	v_and_b32_e32 v38, exec_hi, v13
	v_lshlrev_b32_e32 v13, 30, v1
	v_xor_b32_e32 v36, vcc_lo, v36
	v_cmp_gt_i64_e32 vcc, 0, v[12:13]
	v_not_b32_e32 v13, v13
	v_ashrrev_i32_e32 v13, 31, v13
	v_and_b32_e32 v36, exec_lo, v36
	v_xor_b32_e32 v39, vcc_hi, v13
	v_xor_b32_e32 v13, vcc_lo, v13
	v_and_b32_e32 v36, v36, v13
	v_lshlrev_b32_e32 v13, 29, v1
	v_not_b32_e32 v1, v13
	v_cmp_gt_i64_e32 vcc, 0, v[12:13]
	v_ashrrev_i32_e32 v1, 31, v1
	v_and_b32_e32 v38, v38, v39
	v_xor_b32_e32 v13, vcc_hi, v1
	v_and_b32_e32 v38, v38, v13
	v_and_b32_e32 v13, 0xf0000000, v0
	v_not_b32_e32 v0, v13
	v_xor_b32_e32 v1, vcc_lo, v1
	v_cmp_gt_i64_e32 vcc, 0, v[12:13]
	v_ashrrev_i32_e32 v0, 31, v0
	v_and_b32_e32 v36, v36, v1
	v_xor_b32_e32 v1, vcc_hi, v0
	v_xor_b32_e32 v0, vcc_lo, v0
	v_and_b32_e32 v0, v36, v0
	v_and_b32_e32 v1, v38, v1
	v_mbcnt_lo_u32_b32 v13, v0, 0
	v_mbcnt_hi_u32_b32 v36, v1, v13
	v_cmp_eq_u32_e32 vcc, 0, v36
	v_cmp_ne_u64_e64 s[26:27], 0, v[0:1]
	s_and_b64 s[38:39], vcc, s[26:27]
	; wave barrier
	s_and_saveexec_b64 s[26:27], s[38:39]
	s_cbranch_execz .LBB89_18
; %bb.17:                               ;   in Loop: Header=BB89_4 Depth=2
	v_bcnt_u32_b32 v0, v0, 0
	v_bcnt_u32_b32 v0, v1, v0
	s_waitcnt lgkmcnt(0)
	v_add_u32_e32 v0, v34, v0
	ds_write_b32 v37, v0
.LBB89_18:                              ;   in Loop: Header=BB89_4 Depth=2
	s_or_b64 exec, exec, s[26:27]
	v_lshlrev_b32_sdwa v0, s36, v3 dst_sel:DWORD dst_unused:UNUSED_PAD src0_sel:DWORD src1_sel:BYTE_3
	v_lshrrev_b32_e32 v1, 28, v0
	v_mul_u32_u24_e32 v13, 9, v1
	v_add_lshl_u32 v13, v13, v14, 2
	; wave barrier
	v_add_u32_e32 v40, 32, v13
	ds_read_b32 v38, v13 offset:32
	v_bfe_u32 v13, v0, 28, 1
	v_add_co_u32_e32 v39, vcc, -1, v13
	v_addc_co_u32_e64 v41, s[26:27], 0, -1, vcc
	v_cmp_ne_u32_e32 vcc, 0, v13
	v_xor_b32_e32 v13, vcc_hi, v41
	v_and_b32_e32 v41, exec_hi, v13
	v_lshlrev_b32_e32 v13, 30, v1
	v_xor_b32_e32 v39, vcc_lo, v39
	v_cmp_gt_i64_e32 vcc, 0, v[12:13]
	v_not_b32_e32 v13, v13
	v_ashrrev_i32_e32 v13, 31, v13
	v_and_b32_e32 v39, exec_lo, v39
	v_xor_b32_e32 v42, vcc_hi, v13
	v_xor_b32_e32 v13, vcc_lo, v13
	v_and_b32_e32 v39, v39, v13
	v_lshlrev_b32_e32 v13, 29, v1
	v_not_b32_e32 v1, v13
	v_cmp_gt_i64_e32 vcc, 0, v[12:13]
	v_ashrrev_i32_e32 v1, 31, v1
	v_and_b32_e32 v41, v41, v42
	v_xor_b32_e32 v13, vcc_hi, v1
	v_and_b32_e32 v41, v41, v13
	v_and_b32_e32 v13, 0xf0000000, v0
	v_not_b32_e32 v0, v13
	v_xor_b32_e32 v1, vcc_lo, v1
	v_cmp_gt_i64_e32 vcc, 0, v[12:13]
	v_ashrrev_i32_e32 v0, 31, v0
	v_and_b32_e32 v39, v39, v1
	v_xor_b32_e32 v1, vcc_hi, v0
	v_xor_b32_e32 v0, vcc_lo, v0
	v_and_b32_e32 v0, v39, v0
	v_and_b32_e32 v1, v41, v1
	v_mbcnt_lo_u32_b32 v13, v0, 0
	v_mbcnt_hi_u32_b32 v39, v1, v13
	v_cmp_eq_u32_e32 vcc, 0, v39
	v_cmp_ne_u64_e64 s[26:27], 0, v[0:1]
	s_and_b64 s[38:39], vcc, s[26:27]
	; wave barrier
	s_and_saveexec_b64 s[26:27], s[38:39]
	s_cbranch_execz .LBB89_20
; %bb.19:                               ;   in Loop: Header=BB89_4 Depth=2
	v_bcnt_u32_b32 v0, v0, 0
	v_bcnt_u32_b32 v0, v1, v0
	s_waitcnt lgkmcnt(0)
	v_add_u32_e32 v0, v38, v0
	ds_write_b32 v40, v0
.LBB89_20:                              ;   in Loop: Header=BB89_4 Depth=2
	s_or_b64 exec, exec, s[26:27]
	v_lshlrev_b32_sdwa v0, s36, v4 dst_sel:DWORD dst_unused:UNUSED_PAD src0_sel:DWORD src1_sel:BYTE_0
	v_lshrrev_b32_e32 v1, 28, v0
	v_mul_u32_u24_e32 v13, 9, v1
	v_add_lshl_u32 v13, v13, v14, 2
	; wave barrier
	v_add_u32_e32 v42, 32, v13
	ds_read_b32 v41, v13 offset:32
	v_bfe_u32 v13, v0, 28, 1
	v_add_co_u32_e32 v43, vcc, -1, v13
	v_addc_co_u32_e64 v44, s[26:27], 0, -1, vcc
	v_cmp_ne_u32_e32 vcc, 0, v13
	v_xor_b32_e32 v13, vcc_hi, v44
	v_and_b32_e32 v44, exec_hi, v13
	v_lshlrev_b32_e32 v13, 30, v1
	v_xor_b32_e32 v43, vcc_lo, v43
	v_cmp_gt_i64_e32 vcc, 0, v[12:13]
	v_not_b32_e32 v13, v13
	v_ashrrev_i32_e32 v13, 31, v13
	v_and_b32_e32 v43, exec_lo, v43
	v_xor_b32_e32 v45, vcc_hi, v13
	v_xor_b32_e32 v13, vcc_lo, v13
	v_and_b32_e32 v43, v43, v13
	v_lshlrev_b32_e32 v13, 29, v1
	v_not_b32_e32 v1, v13
	v_cmp_gt_i64_e32 vcc, 0, v[12:13]
	v_ashrrev_i32_e32 v1, 31, v1
	v_and_b32_e32 v44, v44, v45
	v_xor_b32_e32 v13, vcc_hi, v1
	v_and_b32_e32 v44, v44, v13
	v_and_b32_e32 v13, 0xf0000000, v0
	v_not_b32_e32 v0, v13
	v_xor_b32_e32 v1, vcc_lo, v1
	v_cmp_gt_i64_e32 vcc, 0, v[12:13]
	v_ashrrev_i32_e32 v0, 31, v0
	v_and_b32_e32 v43, v43, v1
	v_xor_b32_e32 v1, vcc_hi, v0
	v_xor_b32_e32 v0, vcc_lo, v0
	v_and_b32_e32 v0, v43, v0
	v_and_b32_e32 v1, v44, v1
	v_mbcnt_lo_u32_b32 v13, v0, 0
	v_mbcnt_hi_u32_b32 v43, v1, v13
	v_cmp_eq_u32_e32 vcc, 0, v43
	v_cmp_ne_u64_e64 s[26:27], 0, v[0:1]
	s_and_b64 s[38:39], vcc, s[26:27]
	; wave barrier
	s_and_saveexec_b64 s[26:27], s[38:39]
	s_cbranch_execz .LBB89_22
; %bb.21:                               ;   in Loop: Header=BB89_4 Depth=2
	v_bcnt_u32_b32 v0, v0, 0
	v_bcnt_u32_b32 v0, v1, v0
	s_waitcnt lgkmcnt(0)
	v_add_u32_e32 v0, v41, v0
	ds_write_b32 v42, v0
.LBB89_22:                              ;   in Loop: Header=BB89_4 Depth=2
	s_or_b64 exec, exec, s[26:27]
	v_lshlrev_b32_sdwa v0, s36, v4 dst_sel:DWORD dst_unused:UNUSED_PAD src0_sel:DWORD src1_sel:BYTE_1
	v_lshrrev_b32_e32 v1, 28, v0
	v_mul_u32_u24_e32 v13, 9, v1
	v_add_lshl_u32 v13, v13, v14, 2
	; wave barrier
	v_add_u32_e32 v45, 32, v13
	ds_read_b32 v44, v13 offset:32
	v_bfe_u32 v13, v0, 28, 1
	v_add_co_u32_e32 v46, vcc, -1, v13
	v_addc_co_u32_e64 v47, s[26:27], 0, -1, vcc
	v_cmp_ne_u32_e32 vcc, 0, v13
	v_xor_b32_e32 v13, vcc_hi, v47
	v_and_b32_e32 v47, exec_hi, v13
	v_lshlrev_b32_e32 v13, 30, v1
	v_xor_b32_e32 v46, vcc_lo, v46
	v_cmp_gt_i64_e32 vcc, 0, v[12:13]
	v_not_b32_e32 v13, v13
	v_ashrrev_i32_e32 v13, 31, v13
	v_and_b32_e32 v46, exec_lo, v46
	v_xor_b32_e32 v48, vcc_hi, v13
	v_xor_b32_e32 v13, vcc_lo, v13
	v_and_b32_e32 v46, v46, v13
	v_lshlrev_b32_e32 v13, 29, v1
	v_not_b32_e32 v1, v13
	v_cmp_gt_i64_e32 vcc, 0, v[12:13]
	v_ashrrev_i32_e32 v1, 31, v1
	v_and_b32_e32 v47, v47, v48
	v_xor_b32_e32 v13, vcc_hi, v1
	v_and_b32_e32 v47, v47, v13
	v_and_b32_e32 v13, 0xf0000000, v0
	v_not_b32_e32 v0, v13
	v_xor_b32_e32 v1, vcc_lo, v1
	v_cmp_gt_i64_e32 vcc, 0, v[12:13]
	v_ashrrev_i32_e32 v0, 31, v0
	v_and_b32_e32 v46, v46, v1
	v_xor_b32_e32 v1, vcc_hi, v0
	v_xor_b32_e32 v0, vcc_lo, v0
	v_and_b32_e32 v0, v46, v0
	v_and_b32_e32 v1, v47, v1
	v_mbcnt_lo_u32_b32 v13, v0, 0
	v_mbcnt_hi_u32_b32 v46, v1, v13
	v_cmp_eq_u32_e32 vcc, 0, v46
	v_cmp_ne_u64_e64 s[26:27], 0, v[0:1]
	s_and_b64 s[38:39], vcc, s[26:27]
	; wave barrier
	s_and_saveexec_b64 s[26:27], s[38:39]
	s_cbranch_execz .LBB89_24
; %bb.23:                               ;   in Loop: Header=BB89_4 Depth=2
	v_bcnt_u32_b32 v0, v0, 0
	v_bcnt_u32_b32 v0, v1, v0
	s_waitcnt lgkmcnt(0)
	v_add_u32_e32 v0, v44, v0
	ds_write_b32 v45, v0
.LBB89_24:                              ;   in Loop: Header=BB89_4 Depth=2
	s_or_b64 exec, exec, s[26:27]
	v_lshlrev_b32_sdwa v0, s36, v4 dst_sel:DWORD dst_unused:UNUSED_PAD src0_sel:DWORD src1_sel:BYTE_2
	v_lshrrev_b32_e32 v1, 28, v0
	v_mul_u32_u24_e32 v13, 9, v1
	v_add_lshl_u32 v13, v13, v14, 2
	; wave barrier
	v_add_u32_e32 v48, 32, v13
	ds_read_b32 v47, v13 offset:32
	v_bfe_u32 v13, v0, 28, 1
	v_add_co_u32_e32 v49, vcc, -1, v13
	v_addc_co_u32_e64 v50, s[26:27], 0, -1, vcc
	v_cmp_ne_u32_e32 vcc, 0, v13
	v_xor_b32_e32 v13, vcc_hi, v50
	v_and_b32_e32 v50, exec_hi, v13
	v_lshlrev_b32_e32 v13, 30, v1
	v_xor_b32_e32 v49, vcc_lo, v49
	v_cmp_gt_i64_e32 vcc, 0, v[12:13]
	v_not_b32_e32 v13, v13
	v_ashrrev_i32_e32 v13, 31, v13
	v_and_b32_e32 v49, exec_lo, v49
	v_xor_b32_e32 v51, vcc_hi, v13
	v_xor_b32_e32 v13, vcc_lo, v13
	v_and_b32_e32 v49, v49, v13
	v_lshlrev_b32_e32 v13, 29, v1
	v_not_b32_e32 v1, v13
	v_cmp_gt_i64_e32 vcc, 0, v[12:13]
	v_ashrrev_i32_e32 v1, 31, v1
	v_and_b32_e32 v50, v50, v51
	v_xor_b32_e32 v13, vcc_hi, v1
	v_and_b32_e32 v50, v50, v13
	v_and_b32_e32 v13, 0xf0000000, v0
	v_not_b32_e32 v0, v13
	v_xor_b32_e32 v1, vcc_lo, v1
	v_cmp_gt_i64_e32 vcc, 0, v[12:13]
	v_ashrrev_i32_e32 v0, 31, v0
	v_and_b32_e32 v49, v49, v1
	v_xor_b32_e32 v1, vcc_hi, v0
	v_xor_b32_e32 v0, vcc_lo, v0
	v_and_b32_e32 v0, v49, v0
	v_and_b32_e32 v1, v50, v1
	v_mbcnt_lo_u32_b32 v13, v0, 0
	v_mbcnt_hi_u32_b32 v49, v1, v13
	v_cmp_eq_u32_e32 vcc, 0, v49
	v_cmp_ne_u64_e64 s[26:27], 0, v[0:1]
	s_and_b64 s[38:39], vcc, s[26:27]
	; wave barrier
	s_and_saveexec_b64 s[26:27], s[38:39]
	s_cbranch_execz .LBB89_26
; %bb.25:                               ;   in Loop: Header=BB89_4 Depth=2
	v_bcnt_u32_b32 v0, v0, 0
	v_bcnt_u32_b32 v0, v1, v0
	s_waitcnt lgkmcnt(0)
	v_add_u32_e32 v0, v47, v0
	ds_write_b32 v48, v0
.LBB89_26:                              ;   in Loop: Header=BB89_4 Depth=2
	s_or_b64 exec, exec, s[26:27]
	v_lshlrev_b32_sdwa v0, s36, v4 dst_sel:DWORD dst_unused:UNUSED_PAD src0_sel:DWORD src1_sel:BYTE_3
	v_lshrrev_b32_e32 v1, 28, v0
	v_mul_u32_u24_e32 v13, 9, v1
	v_add_lshl_u32 v13, v13, v14, 2
	; wave barrier
	v_add_u32_e32 v51, 32, v13
	ds_read_b32 v50, v13 offset:32
	v_bfe_u32 v13, v0, 28, 1
	v_add_co_u32_e32 v52, vcc, -1, v13
	v_addc_co_u32_e64 v53, s[26:27], 0, -1, vcc
	v_cmp_ne_u32_e32 vcc, 0, v13
	v_xor_b32_e32 v13, vcc_hi, v53
	v_and_b32_e32 v53, exec_hi, v13
	v_lshlrev_b32_e32 v13, 30, v1
	v_xor_b32_e32 v52, vcc_lo, v52
	v_cmp_gt_i64_e32 vcc, 0, v[12:13]
	v_not_b32_e32 v13, v13
	v_ashrrev_i32_e32 v13, 31, v13
	v_and_b32_e32 v52, exec_lo, v52
	v_xor_b32_e32 v54, vcc_hi, v13
	v_xor_b32_e32 v13, vcc_lo, v13
	v_and_b32_e32 v52, v52, v13
	v_lshlrev_b32_e32 v13, 29, v1
	v_not_b32_e32 v1, v13
	v_cmp_gt_i64_e32 vcc, 0, v[12:13]
	v_ashrrev_i32_e32 v1, 31, v1
	v_and_b32_e32 v53, v53, v54
	v_xor_b32_e32 v13, vcc_hi, v1
	v_and_b32_e32 v53, v53, v13
	v_and_b32_e32 v13, 0xf0000000, v0
	v_not_b32_e32 v0, v13
	v_xor_b32_e32 v1, vcc_lo, v1
	v_cmp_gt_i64_e32 vcc, 0, v[12:13]
	v_ashrrev_i32_e32 v0, 31, v0
	v_and_b32_e32 v52, v52, v1
	v_xor_b32_e32 v1, vcc_hi, v0
	v_xor_b32_e32 v0, vcc_lo, v0
	v_and_b32_e32 v0, v52, v0
	v_and_b32_e32 v1, v53, v1
	v_mbcnt_lo_u32_b32 v13, v0, 0
	v_mbcnt_hi_u32_b32 v52, v1, v13
	v_cmp_eq_u32_e32 vcc, 0, v52
	v_cmp_ne_u64_e64 s[26:27], 0, v[0:1]
	s_and_b64 s[38:39], vcc, s[26:27]
	; wave barrier
	s_and_saveexec_b64 s[26:27], s[38:39]
	s_cbranch_execz .LBB89_28
; %bb.27:                               ;   in Loop: Header=BB89_4 Depth=2
	v_bcnt_u32_b32 v0, v0, 0
	v_bcnt_u32_b32 v0, v1, v0
	s_waitcnt lgkmcnt(0)
	v_add_u32_e32 v0, v50, v0
	ds_write_b32 v51, v0
.LBB89_28:                              ;   in Loop: Header=BB89_4 Depth=2
	s_or_b64 exec, exec, s[26:27]
	v_lshlrev_b32_sdwa v0, s36, v5 dst_sel:DWORD dst_unused:UNUSED_PAD src0_sel:DWORD src1_sel:BYTE_0
	v_lshrrev_b32_e32 v1, 28, v0
	v_mul_u32_u24_e32 v13, 9, v1
	v_add_lshl_u32 v13, v13, v14, 2
	; wave barrier
	v_add_u32_e32 v54, 32, v13
	ds_read_b32 v53, v13 offset:32
	v_bfe_u32 v13, v0, 28, 1
	v_add_co_u32_e32 v55, vcc, -1, v13
	v_addc_co_u32_e64 v56, s[26:27], 0, -1, vcc
	v_cmp_ne_u32_e32 vcc, 0, v13
	v_xor_b32_e32 v13, vcc_hi, v56
	v_and_b32_e32 v56, exec_hi, v13
	v_lshlrev_b32_e32 v13, 30, v1
	v_xor_b32_e32 v55, vcc_lo, v55
	v_cmp_gt_i64_e32 vcc, 0, v[12:13]
	v_not_b32_e32 v13, v13
	v_ashrrev_i32_e32 v13, 31, v13
	v_and_b32_e32 v55, exec_lo, v55
	v_xor_b32_e32 v57, vcc_hi, v13
	v_xor_b32_e32 v13, vcc_lo, v13
	v_and_b32_e32 v55, v55, v13
	v_lshlrev_b32_e32 v13, 29, v1
	v_not_b32_e32 v1, v13
	v_cmp_gt_i64_e32 vcc, 0, v[12:13]
	v_ashrrev_i32_e32 v1, 31, v1
	v_and_b32_e32 v56, v56, v57
	v_xor_b32_e32 v13, vcc_hi, v1
	v_and_b32_e32 v56, v56, v13
	v_and_b32_e32 v13, 0xf0000000, v0
	v_not_b32_e32 v0, v13
	v_xor_b32_e32 v1, vcc_lo, v1
	v_cmp_gt_i64_e32 vcc, 0, v[12:13]
	v_ashrrev_i32_e32 v0, 31, v0
	v_and_b32_e32 v55, v55, v1
	v_xor_b32_e32 v1, vcc_hi, v0
	v_xor_b32_e32 v0, vcc_lo, v0
	v_and_b32_e32 v0, v55, v0
	v_and_b32_e32 v1, v56, v1
	v_mbcnt_lo_u32_b32 v13, v0, 0
	v_mbcnt_hi_u32_b32 v55, v1, v13
	v_cmp_eq_u32_e32 vcc, 0, v55
	v_cmp_ne_u64_e64 s[26:27], 0, v[0:1]
	s_and_b64 s[38:39], vcc, s[26:27]
	; wave barrier
	s_and_saveexec_b64 s[26:27], s[38:39]
	s_cbranch_execz .LBB89_30
; %bb.29:                               ;   in Loop: Header=BB89_4 Depth=2
	v_bcnt_u32_b32 v0, v0, 0
	v_bcnt_u32_b32 v0, v1, v0
	s_waitcnt lgkmcnt(0)
	v_add_u32_e32 v0, v53, v0
	ds_write_b32 v54, v0
.LBB89_30:                              ;   in Loop: Header=BB89_4 Depth=2
	s_or_b64 exec, exec, s[26:27]
	v_lshlrev_b32_sdwa v0, s36, v5 dst_sel:DWORD dst_unused:UNUSED_PAD src0_sel:DWORD src1_sel:BYTE_1
	v_lshrrev_b32_e32 v1, 28, v0
	v_mul_u32_u24_e32 v13, 9, v1
	v_add_lshl_u32 v13, v13, v14, 2
	; wave barrier
	v_add_u32_e32 v57, 32, v13
	ds_read_b32 v56, v13 offset:32
	v_bfe_u32 v13, v0, 28, 1
	v_add_co_u32_e32 v58, vcc, -1, v13
	v_addc_co_u32_e64 v59, s[26:27], 0, -1, vcc
	v_cmp_ne_u32_e32 vcc, 0, v13
	v_xor_b32_e32 v13, vcc_hi, v59
	v_and_b32_e32 v59, exec_hi, v13
	v_lshlrev_b32_e32 v13, 30, v1
	v_xor_b32_e32 v58, vcc_lo, v58
	v_cmp_gt_i64_e32 vcc, 0, v[12:13]
	v_not_b32_e32 v13, v13
	v_ashrrev_i32_e32 v13, 31, v13
	v_and_b32_e32 v58, exec_lo, v58
	v_xor_b32_e32 v60, vcc_hi, v13
	v_xor_b32_e32 v13, vcc_lo, v13
	v_and_b32_e32 v58, v58, v13
	v_lshlrev_b32_e32 v13, 29, v1
	v_not_b32_e32 v1, v13
	v_cmp_gt_i64_e32 vcc, 0, v[12:13]
	v_ashrrev_i32_e32 v1, 31, v1
	v_and_b32_e32 v59, v59, v60
	v_xor_b32_e32 v13, vcc_hi, v1
	v_and_b32_e32 v59, v59, v13
	v_and_b32_e32 v13, 0xf0000000, v0
	v_not_b32_e32 v0, v13
	v_xor_b32_e32 v1, vcc_lo, v1
	v_cmp_gt_i64_e32 vcc, 0, v[12:13]
	v_ashrrev_i32_e32 v0, 31, v0
	v_and_b32_e32 v58, v58, v1
	v_xor_b32_e32 v1, vcc_hi, v0
	v_xor_b32_e32 v0, vcc_lo, v0
	v_and_b32_e32 v0, v58, v0
	v_and_b32_e32 v1, v59, v1
	v_mbcnt_lo_u32_b32 v13, v0, 0
	v_mbcnt_hi_u32_b32 v58, v1, v13
	v_cmp_eq_u32_e32 vcc, 0, v58
	v_cmp_ne_u64_e64 s[26:27], 0, v[0:1]
	s_and_b64 s[38:39], vcc, s[26:27]
	; wave barrier
	s_and_saveexec_b64 s[26:27], s[38:39]
	s_cbranch_execz .LBB89_32
; %bb.31:                               ;   in Loop: Header=BB89_4 Depth=2
	v_bcnt_u32_b32 v0, v0, 0
	v_bcnt_u32_b32 v0, v1, v0
	s_waitcnt lgkmcnt(0)
	v_add_u32_e32 v0, v56, v0
	ds_write_b32 v57, v0
.LBB89_32:                              ;   in Loop: Header=BB89_4 Depth=2
	s_or_b64 exec, exec, s[26:27]
	v_lshlrev_b32_sdwa v0, s36, v5 dst_sel:DWORD dst_unused:UNUSED_PAD src0_sel:DWORD src1_sel:BYTE_2
	v_lshrrev_b32_e32 v1, 28, v0
	v_mul_u32_u24_e32 v13, 9, v1
	v_add_lshl_u32 v13, v13, v14, 2
	; wave barrier
	v_add_u32_e32 v60, 32, v13
	ds_read_b32 v59, v13 offset:32
	v_bfe_u32 v13, v0, 28, 1
	v_add_co_u32_e32 v61, vcc, -1, v13
	v_addc_co_u32_e64 v62, s[26:27], 0, -1, vcc
	v_cmp_ne_u32_e32 vcc, 0, v13
	v_xor_b32_e32 v13, vcc_hi, v62
	v_and_b32_e32 v62, exec_hi, v13
	v_lshlrev_b32_e32 v13, 30, v1
	v_xor_b32_e32 v61, vcc_lo, v61
	v_cmp_gt_i64_e32 vcc, 0, v[12:13]
	v_not_b32_e32 v13, v13
	v_ashrrev_i32_e32 v13, 31, v13
	v_and_b32_e32 v61, exec_lo, v61
	v_xor_b32_e32 v63, vcc_hi, v13
	v_xor_b32_e32 v13, vcc_lo, v13
	v_and_b32_e32 v61, v61, v13
	v_lshlrev_b32_e32 v13, 29, v1
	v_not_b32_e32 v1, v13
	v_cmp_gt_i64_e32 vcc, 0, v[12:13]
	v_ashrrev_i32_e32 v1, 31, v1
	v_and_b32_e32 v62, v62, v63
	v_xor_b32_e32 v13, vcc_hi, v1
	v_and_b32_e32 v62, v62, v13
	v_and_b32_e32 v13, 0xf0000000, v0
	v_not_b32_e32 v0, v13
	v_xor_b32_e32 v1, vcc_lo, v1
	v_cmp_gt_i64_e32 vcc, 0, v[12:13]
	v_ashrrev_i32_e32 v0, 31, v0
	v_and_b32_e32 v61, v61, v1
	v_xor_b32_e32 v1, vcc_hi, v0
	v_xor_b32_e32 v0, vcc_lo, v0
	v_and_b32_e32 v0, v61, v0
	v_and_b32_e32 v1, v62, v1
	v_mbcnt_lo_u32_b32 v13, v0, 0
	v_mbcnt_hi_u32_b32 v61, v1, v13
	v_cmp_eq_u32_e32 vcc, 0, v61
	v_cmp_ne_u64_e64 s[26:27], 0, v[0:1]
	s_and_b64 s[38:39], vcc, s[26:27]
	; wave barrier
	s_and_saveexec_b64 s[26:27], s[38:39]
	s_cbranch_execz .LBB89_34
; %bb.33:                               ;   in Loop: Header=BB89_4 Depth=2
	v_bcnt_u32_b32 v0, v0, 0
	v_bcnt_u32_b32 v0, v1, v0
	s_waitcnt lgkmcnt(0)
	v_add_u32_e32 v0, v59, v0
	ds_write_b32 v60, v0
.LBB89_34:                              ;   in Loop: Header=BB89_4 Depth=2
	s_or_b64 exec, exec, s[26:27]
	v_lshlrev_b32_sdwa v0, s36, v5 dst_sel:DWORD dst_unused:UNUSED_PAD src0_sel:DWORD src1_sel:BYTE_3
	v_lshrrev_b32_e32 v1, 28, v0
	v_mul_u32_u24_e32 v13, 9, v1
	v_add_lshl_u32 v13, v13, v14, 2
	; wave barrier
	v_add_u32_e32 v63, 32, v13
	ds_read_b32 v62, v13 offset:32
	v_bfe_u32 v13, v0, 28, 1
	v_add_co_u32_e32 v64, vcc, -1, v13
	v_addc_co_u32_e64 v65, s[26:27], 0, -1, vcc
	v_cmp_ne_u32_e32 vcc, 0, v13
	v_xor_b32_e32 v13, vcc_hi, v65
	v_and_b32_e32 v65, exec_hi, v13
	v_lshlrev_b32_e32 v13, 30, v1
	v_xor_b32_e32 v64, vcc_lo, v64
	v_cmp_gt_i64_e32 vcc, 0, v[12:13]
	v_not_b32_e32 v13, v13
	v_ashrrev_i32_e32 v13, 31, v13
	v_and_b32_e32 v64, exec_lo, v64
	v_xor_b32_e32 v66, vcc_hi, v13
	v_xor_b32_e32 v13, vcc_lo, v13
	v_and_b32_e32 v64, v64, v13
	v_lshlrev_b32_e32 v13, 29, v1
	v_not_b32_e32 v1, v13
	v_cmp_gt_i64_e32 vcc, 0, v[12:13]
	v_ashrrev_i32_e32 v1, 31, v1
	v_and_b32_e32 v65, v65, v66
	v_xor_b32_e32 v13, vcc_hi, v1
	v_and_b32_e32 v65, v65, v13
	v_and_b32_e32 v13, 0xf0000000, v0
	v_not_b32_e32 v0, v13
	v_xor_b32_e32 v1, vcc_lo, v1
	v_cmp_gt_i64_e32 vcc, 0, v[12:13]
	v_ashrrev_i32_e32 v0, 31, v0
	v_and_b32_e32 v64, v64, v1
	v_xor_b32_e32 v1, vcc_hi, v0
	v_xor_b32_e32 v0, vcc_lo, v0
	v_and_b32_e32 v0, v64, v0
	v_and_b32_e32 v1, v65, v1
	v_mbcnt_lo_u32_b32 v13, v0, 0
	v_mbcnt_hi_u32_b32 v64, v1, v13
	v_cmp_eq_u32_e32 vcc, 0, v64
	v_cmp_ne_u64_e64 s[26:27], 0, v[0:1]
	s_and_b64 s[38:39], vcc, s[26:27]
	; wave barrier
	s_and_saveexec_b64 s[26:27], s[38:39]
	s_cbranch_execz .LBB89_36
; %bb.35:                               ;   in Loop: Header=BB89_4 Depth=2
	v_bcnt_u32_b32 v0, v0, 0
	v_bcnt_u32_b32 v0, v1, v0
	s_waitcnt lgkmcnt(0)
	v_add_u32_e32 v0, v62, v0
	ds_write_b32 v63, v0
.LBB89_36:                              ;   in Loop: Header=BB89_4 Depth=2
	s_or_b64 exec, exec, s[26:27]
	s_waitcnt vmcnt(0)
	v_lshlrev_b32_sdwa v0, s36, v6 dst_sel:DWORD dst_unused:UNUSED_PAD src0_sel:DWORD src1_sel:BYTE_0
	v_lshrrev_b32_e32 v1, 28, v0
	v_mul_u32_u24_e32 v13, 9, v1
	v_add_lshl_u32 v13, v13, v14, 2
	; wave barrier
	v_add_u32_e32 v66, 32, v13
	ds_read_b32 v65, v13 offset:32
	v_bfe_u32 v13, v0, 28, 1
	v_add_co_u32_e32 v67, vcc, -1, v13
	v_addc_co_u32_e64 v68, s[26:27], 0, -1, vcc
	v_cmp_ne_u32_e32 vcc, 0, v13
	v_xor_b32_e32 v13, vcc_hi, v68
	v_and_b32_e32 v68, exec_hi, v13
	v_lshlrev_b32_e32 v13, 30, v1
	v_xor_b32_e32 v67, vcc_lo, v67
	v_cmp_gt_i64_e32 vcc, 0, v[12:13]
	v_not_b32_e32 v13, v13
	v_ashrrev_i32_e32 v13, 31, v13
	v_and_b32_e32 v67, exec_lo, v67
	v_xor_b32_e32 v69, vcc_hi, v13
	v_xor_b32_e32 v13, vcc_lo, v13
	v_and_b32_e32 v67, v67, v13
	v_lshlrev_b32_e32 v13, 29, v1
	v_not_b32_e32 v1, v13
	v_cmp_gt_i64_e32 vcc, 0, v[12:13]
	v_ashrrev_i32_e32 v1, 31, v1
	v_and_b32_e32 v68, v68, v69
	v_xor_b32_e32 v13, vcc_hi, v1
	v_and_b32_e32 v68, v68, v13
	v_and_b32_e32 v13, 0xf0000000, v0
	v_not_b32_e32 v0, v13
	v_xor_b32_e32 v1, vcc_lo, v1
	v_cmp_gt_i64_e32 vcc, 0, v[12:13]
	v_ashrrev_i32_e32 v0, 31, v0
	v_and_b32_e32 v67, v67, v1
	v_xor_b32_e32 v1, vcc_hi, v0
	v_xor_b32_e32 v0, vcc_lo, v0
	v_and_b32_e32 v0, v67, v0
	v_and_b32_e32 v1, v68, v1
	v_mbcnt_lo_u32_b32 v13, v0, 0
	v_mbcnt_hi_u32_b32 v67, v1, v13
	v_cmp_eq_u32_e32 vcc, 0, v67
	v_cmp_ne_u64_e64 s[26:27], 0, v[0:1]
	s_and_b64 s[38:39], vcc, s[26:27]
	; wave barrier
	s_and_saveexec_b64 s[26:27], s[38:39]
	s_cbranch_execz .LBB89_38
; %bb.37:                               ;   in Loop: Header=BB89_4 Depth=2
	v_bcnt_u32_b32 v0, v0, 0
	v_bcnt_u32_b32 v0, v1, v0
	s_waitcnt lgkmcnt(0)
	v_add_u32_e32 v0, v65, v0
	ds_write_b32 v66, v0
.LBB89_38:                              ;   in Loop: Header=BB89_4 Depth=2
	s_or_b64 exec, exec, s[26:27]
	v_lshlrev_b32_sdwa v0, s36, v6 dst_sel:DWORD dst_unused:UNUSED_PAD src0_sel:DWORD src1_sel:BYTE_1
	v_lshrrev_b32_e32 v1, 28, v0
	v_mul_u32_u24_e32 v13, 9, v1
	v_add_lshl_u32 v13, v13, v14, 2
	; wave barrier
	v_add_u32_e32 v69, 32, v13
	ds_read_b32 v68, v13 offset:32
	v_bfe_u32 v13, v0, 28, 1
	v_add_co_u32_e32 v70, vcc, -1, v13
	v_addc_co_u32_e64 v71, s[26:27], 0, -1, vcc
	v_cmp_ne_u32_e32 vcc, 0, v13
	v_xor_b32_e32 v13, vcc_hi, v71
	v_and_b32_e32 v71, exec_hi, v13
	v_lshlrev_b32_e32 v13, 30, v1
	v_xor_b32_e32 v70, vcc_lo, v70
	v_cmp_gt_i64_e32 vcc, 0, v[12:13]
	v_not_b32_e32 v13, v13
	v_ashrrev_i32_e32 v13, 31, v13
	v_and_b32_e32 v70, exec_lo, v70
	v_xor_b32_e32 v72, vcc_hi, v13
	v_xor_b32_e32 v13, vcc_lo, v13
	v_and_b32_e32 v70, v70, v13
	v_lshlrev_b32_e32 v13, 29, v1
	v_not_b32_e32 v1, v13
	v_cmp_gt_i64_e32 vcc, 0, v[12:13]
	v_ashrrev_i32_e32 v1, 31, v1
	v_and_b32_e32 v71, v71, v72
	v_xor_b32_e32 v13, vcc_hi, v1
	v_and_b32_e32 v71, v71, v13
	v_and_b32_e32 v13, 0xf0000000, v0
	v_not_b32_e32 v0, v13
	v_xor_b32_e32 v1, vcc_lo, v1
	v_cmp_gt_i64_e32 vcc, 0, v[12:13]
	v_ashrrev_i32_e32 v0, 31, v0
	v_and_b32_e32 v70, v70, v1
	v_xor_b32_e32 v1, vcc_hi, v0
	v_xor_b32_e32 v0, vcc_lo, v0
	v_and_b32_e32 v0, v70, v0
	v_and_b32_e32 v1, v71, v1
	v_mbcnt_lo_u32_b32 v13, v0, 0
	v_mbcnt_hi_u32_b32 v70, v1, v13
	v_cmp_eq_u32_e32 vcc, 0, v70
	v_cmp_ne_u64_e64 s[26:27], 0, v[0:1]
	s_and_b64 s[38:39], vcc, s[26:27]
	; wave barrier
	s_and_saveexec_b64 s[26:27], s[38:39]
	s_cbranch_execz .LBB89_40
; %bb.39:                               ;   in Loop: Header=BB89_4 Depth=2
	v_bcnt_u32_b32 v0, v0, 0
	v_bcnt_u32_b32 v0, v1, v0
	s_waitcnt lgkmcnt(0)
	v_add_u32_e32 v0, v68, v0
	ds_write_b32 v69, v0
.LBB89_40:                              ;   in Loop: Header=BB89_4 Depth=2
	s_or_b64 exec, exec, s[26:27]
	v_lshlrev_b32_sdwa v0, s36, v6 dst_sel:DWORD dst_unused:UNUSED_PAD src0_sel:DWORD src1_sel:BYTE_2
	v_lshrrev_b32_e32 v1, 28, v0
	v_mul_u32_u24_e32 v13, 9, v1
	v_add_lshl_u32 v13, v13, v14, 2
	; wave barrier
	v_add_u32_e32 v72, 32, v13
	ds_read_b32 v71, v13 offset:32
	v_bfe_u32 v13, v0, 28, 1
	v_add_co_u32_e32 v73, vcc, -1, v13
	v_addc_co_u32_e64 v74, s[26:27], 0, -1, vcc
	v_cmp_ne_u32_e32 vcc, 0, v13
	v_xor_b32_e32 v13, vcc_hi, v74
	v_and_b32_e32 v74, exec_hi, v13
	v_lshlrev_b32_e32 v13, 30, v1
	v_xor_b32_e32 v73, vcc_lo, v73
	v_cmp_gt_i64_e32 vcc, 0, v[12:13]
	v_not_b32_e32 v13, v13
	v_ashrrev_i32_e32 v13, 31, v13
	v_and_b32_e32 v73, exec_lo, v73
	v_xor_b32_e32 v75, vcc_hi, v13
	v_xor_b32_e32 v13, vcc_lo, v13
	v_and_b32_e32 v73, v73, v13
	v_lshlrev_b32_e32 v13, 29, v1
	v_not_b32_e32 v1, v13
	v_cmp_gt_i64_e32 vcc, 0, v[12:13]
	v_ashrrev_i32_e32 v1, 31, v1
	v_and_b32_e32 v74, v74, v75
	v_xor_b32_e32 v13, vcc_hi, v1
	v_and_b32_e32 v74, v74, v13
	v_and_b32_e32 v13, 0xf0000000, v0
	v_not_b32_e32 v0, v13
	v_xor_b32_e32 v1, vcc_lo, v1
	v_cmp_gt_i64_e32 vcc, 0, v[12:13]
	v_ashrrev_i32_e32 v0, 31, v0
	v_and_b32_e32 v73, v73, v1
	v_xor_b32_e32 v1, vcc_hi, v0
	v_xor_b32_e32 v0, vcc_lo, v0
	v_and_b32_e32 v0, v73, v0
	v_and_b32_e32 v1, v74, v1
	v_mbcnt_lo_u32_b32 v13, v0, 0
	v_mbcnt_hi_u32_b32 v73, v1, v13
	v_cmp_eq_u32_e32 vcc, 0, v73
	v_cmp_ne_u64_e64 s[26:27], 0, v[0:1]
	s_and_b64 s[38:39], vcc, s[26:27]
	; wave barrier
	s_and_saveexec_b64 s[26:27], s[38:39]
	s_cbranch_execz .LBB89_42
; %bb.41:                               ;   in Loop: Header=BB89_4 Depth=2
	v_bcnt_u32_b32 v0, v0, 0
	v_bcnt_u32_b32 v0, v1, v0
	s_waitcnt lgkmcnt(0)
	v_add_u32_e32 v0, v71, v0
	ds_write_b32 v72, v0
.LBB89_42:                              ;   in Loop: Header=BB89_4 Depth=2
	s_or_b64 exec, exec, s[26:27]
	v_lshlrev_b32_sdwa v0, s36, v6 dst_sel:DWORD dst_unused:UNUSED_PAD src0_sel:DWORD src1_sel:BYTE_3
	v_lshrrev_b32_e32 v1, 28, v0
	v_mul_u32_u24_e32 v13, 9, v1
	v_add_lshl_u32 v13, v13, v14, 2
	; wave barrier
	v_add_u32_e32 v75, 32, v13
	ds_read_b32 v74, v13 offset:32
	v_bfe_u32 v13, v0, 28, 1
	v_add_co_u32_e32 v76, vcc, -1, v13
	v_addc_co_u32_e64 v77, s[26:27], 0, -1, vcc
	v_cmp_ne_u32_e32 vcc, 0, v13
	v_xor_b32_e32 v13, vcc_hi, v77
	v_and_b32_e32 v77, exec_hi, v13
	v_lshlrev_b32_e32 v13, 30, v1
	v_xor_b32_e32 v76, vcc_lo, v76
	v_cmp_gt_i64_e32 vcc, 0, v[12:13]
	v_not_b32_e32 v13, v13
	v_ashrrev_i32_e32 v13, 31, v13
	v_and_b32_e32 v76, exec_lo, v76
	v_xor_b32_e32 v78, vcc_hi, v13
	v_xor_b32_e32 v13, vcc_lo, v13
	v_and_b32_e32 v76, v76, v13
	v_lshlrev_b32_e32 v13, 29, v1
	v_not_b32_e32 v1, v13
	v_cmp_gt_i64_e32 vcc, 0, v[12:13]
	v_ashrrev_i32_e32 v1, 31, v1
	v_and_b32_e32 v77, v77, v78
	v_xor_b32_e32 v13, vcc_hi, v1
	v_and_b32_e32 v77, v77, v13
	v_and_b32_e32 v13, 0xf0000000, v0
	v_not_b32_e32 v0, v13
	v_xor_b32_e32 v1, vcc_lo, v1
	v_cmp_gt_i64_e32 vcc, 0, v[12:13]
	v_ashrrev_i32_e32 v0, 31, v0
	v_and_b32_e32 v76, v76, v1
	v_xor_b32_e32 v1, vcc_hi, v0
	v_xor_b32_e32 v0, vcc_lo, v0
	v_and_b32_e32 v0, v76, v0
	v_and_b32_e32 v1, v77, v1
	v_mbcnt_lo_u32_b32 v13, v0, 0
	v_mbcnt_hi_u32_b32 v76, v1, v13
	v_cmp_eq_u32_e32 vcc, 0, v76
	v_cmp_ne_u64_e64 s[26:27], 0, v[0:1]
	s_and_b64 s[38:39], vcc, s[26:27]
	; wave barrier
	s_and_saveexec_b64 s[26:27], s[38:39]
	s_cbranch_execz .LBB89_44
; %bb.43:                               ;   in Loop: Header=BB89_4 Depth=2
	v_bcnt_u32_b32 v0, v0, 0
	v_bcnt_u32_b32 v0, v1, v0
	s_waitcnt lgkmcnt(0)
	v_add_u32_e32 v0, v74, v0
	ds_write_b32 v75, v0
.LBB89_44:                              ;   in Loop: Header=BB89_4 Depth=2
	s_or_b64 exec, exec, s[26:27]
	v_lshlrev_b32_sdwa v0, s36, v7 dst_sel:DWORD dst_unused:UNUSED_PAD src0_sel:DWORD src1_sel:BYTE_0
	v_lshrrev_b32_e32 v1, 28, v0
	v_mul_u32_u24_e32 v13, 9, v1
	v_add_lshl_u32 v13, v13, v14, 2
	; wave barrier
	v_add_u32_e32 v78, 32, v13
	ds_read_b32 v77, v13 offset:32
	v_bfe_u32 v13, v0, 28, 1
	v_add_co_u32_e32 v79, vcc, -1, v13
	v_addc_co_u32_e64 v80, s[26:27], 0, -1, vcc
	v_cmp_ne_u32_e32 vcc, 0, v13
	v_xor_b32_e32 v13, vcc_hi, v80
	v_and_b32_e32 v80, exec_hi, v13
	v_lshlrev_b32_e32 v13, 30, v1
	v_xor_b32_e32 v79, vcc_lo, v79
	v_cmp_gt_i64_e32 vcc, 0, v[12:13]
	v_not_b32_e32 v13, v13
	v_ashrrev_i32_e32 v13, 31, v13
	v_and_b32_e32 v79, exec_lo, v79
	v_xor_b32_e32 v81, vcc_hi, v13
	v_xor_b32_e32 v13, vcc_lo, v13
	v_and_b32_e32 v79, v79, v13
	v_lshlrev_b32_e32 v13, 29, v1
	v_not_b32_e32 v1, v13
	v_cmp_gt_i64_e32 vcc, 0, v[12:13]
	v_ashrrev_i32_e32 v1, 31, v1
	v_and_b32_e32 v80, v80, v81
	v_xor_b32_e32 v13, vcc_hi, v1
	v_and_b32_e32 v80, v80, v13
	v_and_b32_e32 v13, 0xf0000000, v0
	v_not_b32_e32 v0, v13
	v_xor_b32_e32 v1, vcc_lo, v1
	v_cmp_gt_i64_e32 vcc, 0, v[12:13]
	v_ashrrev_i32_e32 v0, 31, v0
	v_and_b32_e32 v79, v79, v1
	v_xor_b32_e32 v1, vcc_hi, v0
	v_xor_b32_e32 v0, vcc_lo, v0
	v_and_b32_e32 v0, v79, v0
	v_and_b32_e32 v1, v80, v1
	v_mbcnt_lo_u32_b32 v13, v0, 0
	v_mbcnt_hi_u32_b32 v79, v1, v13
	v_cmp_eq_u32_e32 vcc, 0, v79
	v_cmp_ne_u64_e64 s[26:27], 0, v[0:1]
	s_and_b64 s[38:39], vcc, s[26:27]
	; wave barrier
	s_and_saveexec_b64 s[26:27], s[38:39]
	s_cbranch_execz .LBB89_46
; %bb.45:                               ;   in Loop: Header=BB89_4 Depth=2
	v_bcnt_u32_b32 v0, v0, 0
	v_bcnt_u32_b32 v0, v1, v0
	s_waitcnt lgkmcnt(0)
	v_add_u32_e32 v0, v77, v0
	ds_write_b32 v78, v0
.LBB89_46:                              ;   in Loop: Header=BB89_4 Depth=2
	s_or_b64 exec, exec, s[26:27]
	v_lshlrev_b32_sdwa v0, s36, v7 dst_sel:DWORD dst_unused:UNUSED_PAD src0_sel:DWORD src1_sel:BYTE_1
	v_lshrrev_b32_e32 v1, 28, v0
	v_mul_u32_u24_e32 v13, 9, v1
	v_add_lshl_u32 v13, v13, v14, 2
	; wave barrier
	v_add_u32_e32 v81, 32, v13
	ds_read_b32 v80, v13 offset:32
	v_bfe_u32 v13, v0, 28, 1
	v_add_co_u32_e32 v82, vcc, -1, v13
	v_addc_co_u32_e64 v83, s[26:27], 0, -1, vcc
	v_cmp_ne_u32_e32 vcc, 0, v13
	v_xor_b32_e32 v13, vcc_hi, v83
	v_and_b32_e32 v83, exec_hi, v13
	v_lshlrev_b32_e32 v13, 30, v1
	v_xor_b32_e32 v82, vcc_lo, v82
	v_cmp_gt_i64_e32 vcc, 0, v[12:13]
	v_not_b32_e32 v13, v13
	v_ashrrev_i32_e32 v13, 31, v13
	v_and_b32_e32 v82, exec_lo, v82
	v_xor_b32_e32 v84, vcc_hi, v13
	v_xor_b32_e32 v13, vcc_lo, v13
	v_and_b32_e32 v82, v82, v13
	v_lshlrev_b32_e32 v13, 29, v1
	v_not_b32_e32 v1, v13
	v_cmp_gt_i64_e32 vcc, 0, v[12:13]
	v_ashrrev_i32_e32 v1, 31, v1
	v_and_b32_e32 v83, v83, v84
	v_xor_b32_e32 v13, vcc_hi, v1
	v_and_b32_e32 v83, v83, v13
	v_and_b32_e32 v13, 0xf0000000, v0
	v_not_b32_e32 v0, v13
	v_xor_b32_e32 v1, vcc_lo, v1
	v_cmp_gt_i64_e32 vcc, 0, v[12:13]
	v_ashrrev_i32_e32 v0, 31, v0
	v_and_b32_e32 v82, v82, v1
	v_xor_b32_e32 v1, vcc_hi, v0
	v_xor_b32_e32 v0, vcc_lo, v0
	v_and_b32_e32 v0, v82, v0
	v_and_b32_e32 v1, v83, v1
	v_mbcnt_lo_u32_b32 v13, v0, 0
	v_mbcnt_hi_u32_b32 v82, v1, v13
	v_cmp_eq_u32_e32 vcc, 0, v82
	v_cmp_ne_u64_e64 s[26:27], 0, v[0:1]
	s_and_b64 s[38:39], vcc, s[26:27]
	; wave barrier
	s_and_saveexec_b64 s[26:27], s[38:39]
	s_cbranch_execz .LBB89_48
; %bb.47:                               ;   in Loop: Header=BB89_4 Depth=2
	v_bcnt_u32_b32 v0, v0, 0
	v_bcnt_u32_b32 v0, v1, v0
	s_waitcnt lgkmcnt(0)
	v_add_u32_e32 v0, v80, v0
	ds_write_b32 v81, v0
.LBB89_48:                              ;   in Loop: Header=BB89_4 Depth=2
	s_or_b64 exec, exec, s[26:27]
	v_lshlrev_b32_sdwa v0, s36, v7 dst_sel:DWORD dst_unused:UNUSED_PAD src0_sel:DWORD src1_sel:BYTE_2
	v_lshrrev_b32_e32 v1, 28, v0
	v_mul_u32_u24_e32 v13, 9, v1
	v_add_lshl_u32 v13, v13, v14, 2
	; wave barrier
	v_add_u32_e32 v84, 32, v13
	ds_read_b32 v83, v13 offset:32
	v_bfe_u32 v13, v0, 28, 1
	v_add_co_u32_e32 v85, vcc, -1, v13
	v_addc_co_u32_e64 v86, s[26:27], 0, -1, vcc
	v_cmp_ne_u32_e32 vcc, 0, v13
	v_xor_b32_e32 v13, vcc_hi, v86
	v_and_b32_e32 v86, exec_hi, v13
	v_lshlrev_b32_e32 v13, 30, v1
	v_xor_b32_e32 v85, vcc_lo, v85
	v_cmp_gt_i64_e32 vcc, 0, v[12:13]
	v_not_b32_e32 v13, v13
	v_ashrrev_i32_e32 v13, 31, v13
	v_and_b32_e32 v85, exec_lo, v85
	v_xor_b32_e32 v87, vcc_hi, v13
	v_xor_b32_e32 v13, vcc_lo, v13
	v_and_b32_e32 v85, v85, v13
	v_lshlrev_b32_e32 v13, 29, v1
	v_not_b32_e32 v1, v13
	v_cmp_gt_i64_e32 vcc, 0, v[12:13]
	v_ashrrev_i32_e32 v1, 31, v1
	v_and_b32_e32 v86, v86, v87
	v_xor_b32_e32 v13, vcc_hi, v1
	v_and_b32_e32 v86, v86, v13
	v_and_b32_e32 v13, 0xf0000000, v0
	v_not_b32_e32 v0, v13
	v_xor_b32_e32 v1, vcc_lo, v1
	v_cmp_gt_i64_e32 vcc, 0, v[12:13]
	v_ashrrev_i32_e32 v0, 31, v0
	v_and_b32_e32 v85, v85, v1
	v_xor_b32_e32 v1, vcc_hi, v0
	v_xor_b32_e32 v0, vcc_lo, v0
	v_and_b32_e32 v0, v85, v0
	v_and_b32_e32 v1, v86, v1
	v_mbcnt_lo_u32_b32 v13, v0, 0
	v_mbcnt_hi_u32_b32 v85, v1, v13
	v_cmp_eq_u32_e32 vcc, 0, v85
	v_cmp_ne_u64_e64 s[26:27], 0, v[0:1]
	s_and_b64 s[38:39], vcc, s[26:27]
	; wave barrier
	s_and_saveexec_b64 s[26:27], s[38:39]
	s_cbranch_execz .LBB89_50
; %bb.49:                               ;   in Loop: Header=BB89_4 Depth=2
	v_bcnt_u32_b32 v0, v0, 0
	v_bcnt_u32_b32 v0, v1, v0
	s_waitcnt lgkmcnt(0)
	v_add_u32_e32 v0, v83, v0
	ds_write_b32 v84, v0
.LBB89_50:                              ;   in Loop: Header=BB89_4 Depth=2
	s_or_b64 exec, exec, s[26:27]
	v_lshlrev_b32_sdwa v0, s36, v7 dst_sel:DWORD dst_unused:UNUSED_PAD src0_sel:DWORD src1_sel:BYTE_3
	v_lshrrev_b32_e32 v1, 28, v0
	v_mul_u32_u24_e32 v13, 9, v1
	v_add_lshl_u32 v13, v13, v14, 2
	; wave barrier
	v_add_u32_e32 v87, 32, v13
	ds_read_b32 v86, v13 offset:32
	v_bfe_u32 v13, v0, 28, 1
	v_add_co_u32_e32 v88, vcc, -1, v13
	v_addc_co_u32_e64 v89, s[26:27], 0, -1, vcc
	v_cmp_ne_u32_e32 vcc, 0, v13
	v_xor_b32_e32 v13, vcc_hi, v89
	v_and_b32_e32 v89, exec_hi, v13
	v_lshlrev_b32_e32 v13, 30, v1
	v_xor_b32_e32 v88, vcc_lo, v88
	v_cmp_gt_i64_e32 vcc, 0, v[12:13]
	v_not_b32_e32 v13, v13
	v_ashrrev_i32_e32 v13, 31, v13
	v_and_b32_e32 v88, exec_lo, v88
	v_xor_b32_e32 v90, vcc_hi, v13
	v_xor_b32_e32 v13, vcc_lo, v13
	v_and_b32_e32 v88, v88, v13
	v_lshlrev_b32_e32 v13, 29, v1
	v_not_b32_e32 v1, v13
	v_cmp_gt_i64_e32 vcc, 0, v[12:13]
	v_ashrrev_i32_e32 v1, 31, v1
	v_and_b32_e32 v89, v89, v90
	v_xor_b32_e32 v13, vcc_hi, v1
	v_and_b32_e32 v89, v89, v13
	v_and_b32_e32 v13, 0xf0000000, v0
	v_not_b32_e32 v0, v13
	v_xor_b32_e32 v1, vcc_lo, v1
	v_cmp_gt_i64_e32 vcc, 0, v[12:13]
	v_ashrrev_i32_e32 v0, 31, v0
	v_and_b32_e32 v88, v88, v1
	v_xor_b32_e32 v1, vcc_hi, v0
	v_xor_b32_e32 v0, vcc_lo, v0
	v_and_b32_e32 v0, v88, v0
	v_and_b32_e32 v1, v89, v1
	v_mbcnt_lo_u32_b32 v13, v0, 0
	v_mbcnt_hi_u32_b32 v88, v1, v13
	v_cmp_eq_u32_e32 vcc, 0, v88
	v_cmp_ne_u64_e64 s[26:27], 0, v[0:1]
	s_and_b64 s[38:39], vcc, s[26:27]
	; wave barrier
	s_and_saveexec_b64 s[26:27], s[38:39]
	s_cbranch_execz .LBB89_52
; %bb.51:                               ;   in Loop: Header=BB89_4 Depth=2
	v_bcnt_u32_b32 v0, v0, 0
	v_bcnt_u32_b32 v0, v1, v0
	s_waitcnt lgkmcnt(0)
	v_add_u32_e32 v0, v86, v0
	ds_write_b32 v87, v0
.LBB89_52:                              ;   in Loop: Header=BB89_4 Depth=2
	s_or_b64 exec, exec, s[26:27]
	v_lshlrev_b32_sdwa v0, s36, v8 dst_sel:DWORD dst_unused:UNUSED_PAD src0_sel:DWORD src1_sel:BYTE_0
	v_lshrrev_b32_e32 v1, 28, v0
	v_mul_u32_u24_e32 v13, 9, v1
	v_add_lshl_u32 v13, v13, v14, 2
	; wave barrier
	v_add_u32_e32 v90, 32, v13
	ds_read_b32 v89, v13 offset:32
	v_bfe_u32 v13, v0, 28, 1
	v_add_co_u32_e32 v91, vcc, -1, v13
	v_addc_co_u32_e64 v92, s[26:27], 0, -1, vcc
	v_cmp_ne_u32_e32 vcc, 0, v13
	v_xor_b32_e32 v13, vcc_hi, v92
	v_and_b32_e32 v92, exec_hi, v13
	v_lshlrev_b32_e32 v13, 30, v1
	v_xor_b32_e32 v91, vcc_lo, v91
	v_cmp_gt_i64_e32 vcc, 0, v[12:13]
	v_not_b32_e32 v13, v13
	v_ashrrev_i32_e32 v13, 31, v13
	v_and_b32_e32 v91, exec_lo, v91
	v_xor_b32_e32 v93, vcc_hi, v13
	v_xor_b32_e32 v13, vcc_lo, v13
	v_and_b32_e32 v91, v91, v13
	v_lshlrev_b32_e32 v13, 29, v1
	v_not_b32_e32 v1, v13
	v_cmp_gt_i64_e32 vcc, 0, v[12:13]
	v_ashrrev_i32_e32 v1, 31, v1
	v_and_b32_e32 v92, v92, v93
	v_xor_b32_e32 v13, vcc_hi, v1
	v_and_b32_e32 v92, v92, v13
	v_and_b32_e32 v13, 0xf0000000, v0
	v_not_b32_e32 v0, v13
	v_xor_b32_e32 v1, vcc_lo, v1
	v_cmp_gt_i64_e32 vcc, 0, v[12:13]
	v_ashrrev_i32_e32 v0, 31, v0
	v_and_b32_e32 v91, v91, v1
	v_xor_b32_e32 v1, vcc_hi, v0
	v_xor_b32_e32 v0, vcc_lo, v0
	v_and_b32_e32 v0, v91, v0
	v_and_b32_e32 v1, v92, v1
	v_mbcnt_lo_u32_b32 v13, v0, 0
	v_mbcnt_hi_u32_b32 v91, v1, v13
	v_cmp_eq_u32_e32 vcc, 0, v91
	v_cmp_ne_u64_e64 s[26:27], 0, v[0:1]
	s_and_b64 s[38:39], vcc, s[26:27]
	; wave barrier
	s_and_saveexec_b64 s[26:27], s[38:39]
	s_cbranch_execz .LBB89_54
; %bb.53:                               ;   in Loop: Header=BB89_4 Depth=2
	v_bcnt_u32_b32 v0, v0, 0
	v_bcnt_u32_b32 v0, v1, v0
	s_waitcnt lgkmcnt(0)
	v_add_u32_e32 v0, v89, v0
	ds_write_b32 v90, v0
.LBB89_54:                              ;   in Loop: Header=BB89_4 Depth=2
	s_or_b64 exec, exec, s[26:27]
	v_lshlrev_b32_sdwa v0, s36, v8 dst_sel:DWORD dst_unused:UNUSED_PAD src0_sel:DWORD src1_sel:BYTE_1
	v_lshrrev_b32_e32 v1, 28, v0
	v_mul_u32_u24_e32 v13, 9, v1
	v_add_lshl_u32 v13, v13, v14, 2
	; wave barrier
	v_add_u32_e32 v93, 32, v13
	ds_read_b32 v92, v13 offset:32
	v_bfe_u32 v13, v0, 28, 1
	v_add_co_u32_e32 v94, vcc, -1, v13
	v_addc_co_u32_e64 v95, s[26:27], 0, -1, vcc
	v_cmp_ne_u32_e32 vcc, 0, v13
	v_xor_b32_e32 v13, vcc_hi, v95
	v_and_b32_e32 v95, exec_hi, v13
	v_lshlrev_b32_e32 v13, 30, v1
	v_xor_b32_e32 v94, vcc_lo, v94
	v_cmp_gt_i64_e32 vcc, 0, v[12:13]
	v_not_b32_e32 v13, v13
	v_ashrrev_i32_e32 v13, 31, v13
	v_and_b32_e32 v94, exec_lo, v94
	v_xor_b32_e32 v96, vcc_hi, v13
	v_xor_b32_e32 v13, vcc_lo, v13
	v_and_b32_e32 v94, v94, v13
	v_lshlrev_b32_e32 v13, 29, v1
	v_not_b32_e32 v1, v13
	v_cmp_gt_i64_e32 vcc, 0, v[12:13]
	v_ashrrev_i32_e32 v1, 31, v1
	v_and_b32_e32 v95, v95, v96
	v_xor_b32_e32 v13, vcc_hi, v1
	v_and_b32_e32 v95, v95, v13
	v_and_b32_e32 v13, 0xf0000000, v0
	v_not_b32_e32 v0, v13
	v_xor_b32_e32 v1, vcc_lo, v1
	v_cmp_gt_i64_e32 vcc, 0, v[12:13]
	v_ashrrev_i32_e32 v0, 31, v0
	v_and_b32_e32 v94, v94, v1
	v_xor_b32_e32 v1, vcc_hi, v0
	v_xor_b32_e32 v0, vcc_lo, v0
	v_and_b32_e32 v0, v94, v0
	v_and_b32_e32 v1, v95, v1
	v_mbcnt_lo_u32_b32 v13, v0, 0
	v_mbcnt_hi_u32_b32 v94, v1, v13
	v_cmp_eq_u32_e32 vcc, 0, v94
	v_cmp_ne_u64_e64 s[26:27], 0, v[0:1]
	s_and_b64 s[38:39], vcc, s[26:27]
	; wave barrier
	s_and_saveexec_b64 s[26:27], s[38:39]
	s_cbranch_execz .LBB89_56
; %bb.55:                               ;   in Loop: Header=BB89_4 Depth=2
	v_bcnt_u32_b32 v0, v0, 0
	v_bcnt_u32_b32 v0, v1, v0
	s_waitcnt lgkmcnt(0)
	v_add_u32_e32 v0, v92, v0
	ds_write_b32 v93, v0
.LBB89_56:                              ;   in Loop: Header=BB89_4 Depth=2
	s_or_b64 exec, exec, s[26:27]
	v_lshlrev_b32_sdwa v0, s36, v8 dst_sel:DWORD dst_unused:UNUSED_PAD src0_sel:DWORD src1_sel:BYTE_2
	v_lshrrev_b32_e32 v1, 28, v0
	v_mul_u32_u24_e32 v13, 9, v1
	v_add_lshl_u32 v13, v13, v14, 2
	; wave barrier
	v_add_u32_e32 v96, 32, v13
	ds_read_b32 v95, v13 offset:32
	v_bfe_u32 v13, v0, 28, 1
	v_add_co_u32_e32 v97, vcc, -1, v13
	v_addc_co_u32_e64 v98, s[26:27], 0, -1, vcc
	v_cmp_ne_u32_e32 vcc, 0, v13
	v_xor_b32_e32 v13, vcc_hi, v98
	v_and_b32_e32 v98, exec_hi, v13
	v_lshlrev_b32_e32 v13, 30, v1
	v_xor_b32_e32 v97, vcc_lo, v97
	v_cmp_gt_i64_e32 vcc, 0, v[12:13]
	v_not_b32_e32 v13, v13
	v_ashrrev_i32_e32 v13, 31, v13
	v_and_b32_e32 v97, exec_lo, v97
	v_xor_b32_e32 v99, vcc_hi, v13
	v_xor_b32_e32 v13, vcc_lo, v13
	v_and_b32_e32 v97, v97, v13
	v_lshlrev_b32_e32 v13, 29, v1
	v_not_b32_e32 v1, v13
	v_cmp_gt_i64_e32 vcc, 0, v[12:13]
	v_ashrrev_i32_e32 v1, 31, v1
	v_and_b32_e32 v98, v98, v99
	v_xor_b32_e32 v13, vcc_hi, v1
	v_and_b32_e32 v98, v98, v13
	v_and_b32_e32 v13, 0xf0000000, v0
	v_not_b32_e32 v0, v13
	v_xor_b32_e32 v1, vcc_lo, v1
	v_cmp_gt_i64_e32 vcc, 0, v[12:13]
	v_ashrrev_i32_e32 v0, 31, v0
	v_and_b32_e32 v97, v97, v1
	v_xor_b32_e32 v1, vcc_hi, v0
	v_xor_b32_e32 v0, vcc_lo, v0
	v_and_b32_e32 v0, v97, v0
	v_and_b32_e32 v1, v98, v1
	v_mbcnt_lo_u32_b32 v13, v0, 0
	v_mbcnt_hi_u32_b32 v97, v1, v13
	v_cmp_eq_u32_e32 vcc, 0, v97
	v_cmp_ne_u64_e64 s[26:27], 0, v[0:1]
	s_and_b64 s[38:39], vcc, s[26:27]
	; wave barrier
	s_and_saveexec_b64 s[26:27], s[38:39]
	s_cbranch_execz .LBB89_58
; %bb.57:                               ;   in Loop: Header=BB89_4 Depth=2
	v_bcnt_u32_b32 v0, v0, 0
	v_bcnt_u32_b32 v0, v1, v0
	s_waitcnt lgkmcnt(0)
	v_add_u32_e32 v0, v95, v0
	ds_write_b32 v96, v0
.LBB89_58:                              ;   in Loop: Header=BB89_4 Depth=2
	s_or_b64 exec, exec, s[26:27]
	v_lshlrev_b32_sdwa v0, s36, v8 dst_sel:DWORD dst_unused:UNUSED_PAD src0_sel:DWORD src1_sel:BYTE_3
	v_lshrrev_b32_e32 v1, 28, v0
	v_mul_u32_u24_e32 v13, 9, v1
	v_add_lshl_u32 v13, v13, v14, 2
	; wave barrier
	v_add_u32_e32 v99, 32, v13
	ds_read_b32 v98, v13 offset:32
	v_bfe_u32 v13, v0, 28, 1
	v_add_co_u32_e32 v100, vcc, -1, v13
	v_addc_co_u32_e64 v101, s[26:27], 0, -1, vcc
	v_cmp_ne_u32_e32 vcc, 0, v13
	v_xor_b32_e32 v13, vcc_hi, v101
	v_and_b32_e32 v101, exec_hi, v13
	v_lshlrev_b32_e32 v13, 30, v1
	v_xor_b32_e32 v100, vcc_lo, v100
	v_cmp_gt_i64_e32 vcc, 0, v[12:13]
	v_not_b32_e32 v13, v13
	v_ashrrev_i32_e32 v13, 31, v13
	v_and_b32_e32 v100, exec_lo, v100
	v_xor_b32_e32 v102, vcc_hi, v13
	v_xor_b32_e32 v13, vcc_lo, v13
	v_and_b32_e32 v100, v100, v13
	v_lshlrev_b32_e32 v13, 29, v1
	v_not_b32_e32 v1, v13
	v_cmp_gt_i64_e32 vcc, 0, v[12:13]
	v_ashrrev_i32_e32 v1, 31, v1
	v_and_b32_e32 v101, v101, v102
	v_xor_b32_e32 v13, vcc_hi, v1
	v_and_b32_e32 v101, v101, v13
	v_and_b32_e32 v13, 0xf0000000, v0
	v_not_b32_e32 v0, v13
	v_xor_b32_e32 v1, vcc_lo, v1
	v_cmp_gt_i64_e32 vcc, 0, v[12:13]
	v_ashrrev_i32_e32 v0, 31, v0
	v_and_b32_e32 v100, v100, v1
	v_xor_b32_e32 v1, vcc_hi, v0
	v_xor_b32_e32 v0, vcc_lo, v0
	v_and_b32_e32 v0, v100, v0
	v_and_b32_e32 v1, v101, v1
	v_mbcnt_lo_u32_b32 v13, v0, 0
	v_mbcnt_hi_u32_b32 v100, v1, v13
	v_cmp_eq_u32_e32 vcc, 0, v100
	v_cmp_ne_u64_e64 s[26:27], 0, v[0:1]
	s_and_b64 s[38:39], vcc, s[26:27]
	; wave barrier
	s_and_saveexec_b64 s[26:27], s[38:39]
	s_cbranch_execz .LBB89_60
; %bb.59:                               ;   in Loop: Header=BB89_4 Depth=2
	v_bcnt_u32_b32 v0, v0, 0
	v_bcnt_u32_b32 v0, v1, v0
	s_waitcnt lgkmcnt(0)
	v_add_u32_e32 v0, v98, v0
	ds_write_b32 v99, v0
.LBB89_60:                              ;   in Loop: Header=BB89_4 Depth=2
	s_or_b64 exec, exec, s[26:27]
	v_lshlrev_b32_sdwa v0, s36, v9 dst_sel:DWORD dst_unused:UNUSED_PAD src0_sel:DWORD src1_sel:BYTE_0
	v_lshrrev_b32_e32 v1, 28, v0
	v_mul_u32_u24_e32 v13, 9, v1
	v_add_lshl_u32 v13, v13, v14, 2
	; wave barrier
	v_add_u32_e32 v103, 32, v13
	ds_read_b32 v101, v13 offset:32
	v_bfe_u32 v13, v0, 28, 1
	v_add_co_u32_e32 v102, vcc, -1, v13
	v_addc_co_u32_e64 v104, s[26:27], 0, -1, vcc
	v_cmp_ne_u32_e32 vcc, 0, v13
	v_xor_b32_e32 v13, vcc_hi, v104
	v_and_b32_e32 v104, exec_hi, v13
	v_lshlrev_b32_e32 v13, 30, v1
	v_xor_b32_e32 v102, vcc_lo, v102
	v_cmp_gt_i64_e32 vcc, 0, v[12:13]
	v_not_b32_e32 v13, v13
	v_ashrrev_i32_e32 v13, 31, v13
	v_and_b32_e32 v102, exec_lo, v102
	v_xor_b32_e32 v105, vcc_hi, v13
	v_xor_b32_e32 v13, vcc_lo, v13
	v_and_b32_e32 v102, v102, v13
	v_lshlrev_b32_e32 v13, 29, v1
	v_not_b32_e32 v1, v13
	v_cmp_gt_i64_e32 vcc, 0, v[12:13]
	v_ashrrev_i32_e32 v1, 31, v1
	v_and_b32_e32 v104, v104, v105
	v_xor_b32_e32 v13, vcc_hi, v1
	v_and_b32_e32 v104, v104, v13
	v_and_b32_e32 v13, 0xf0000000, v0
	v_not_b32_e32 v0, v13
	v_xor_b32_e32 v1, vcc_lo, v1
	v_cmp_gt_i64_e32 vcc, 0, v[12:13]
	v_ashrrev_i32_e32 v0, 31, v0
	v_and_b32_e32 v102, v102, v1
	v_xor_b32_e32 v1, vcc_hi, v0
	v_xor_b32_e32 v0, vcc_lo, v0
	v_and_b32_e32 v0, v102, v0
	v_and_b32_e32 v1, v104, v1
	v_mbcnt_lo_u32_b32 v13, v0, 0
	v_mbcnt_hi_u32_b32 v102, v1, v13
	v_cmp_eq_u32_e32 vcc, 0, v102
	v_cmp_ne_u64_e64 s[26:27], 0, v[0:1]
	s_and_b64 s[38:39], vcc, s[26:27]
	; wave barrier
	s_and_saveexec_b64 s[26:27], s[38:39]
	s_cbranch_execz .LBB89_62
; %bb.61:                               ;   in Loop: Header=BB89_4 Depth=2
	v_bcnt_u32_b32 v0, v0, 0
	v_bcnt_u32_b32 v0, v1, v0
	s_waitcnt lgkmcnt(0)
	v_add_u32_e32 v0, v101, v0
	ds_write_b32 v103, v0
.LBB89_62:                              ;   in Loop: Header=BB89_4 Depth=2
	s_or_b64 exec, exec, s[26:27]
	v_lshlrev_b32_sdwa v0, s36, v9 dst_sel:DWORD dst_unused:UNUSED_PAD src0_sel:DWORD src1_sel:BYTE_1
	v_lshrrev_b32_e32 v1, 28, v0
	v_mul_u32_u24_e32 v13, 9, v1
	v_add_lshl_u32 v13, v13, v14, 2
	; wave barrier
	v_add_u32_e32 v106, 32, v13
	ds_read_b32 v104, v13 offset:32
	v_bfe_u32 v13, v0, 28, 1
	v_add_co_u32_e32 v105, vcc, -1, v13
	v_addc_co_u32_e64 v107, s[26:27], 0, -1, vcc
	v_cmp_ne_u32_e32 vcc, 0, v13
	v_xor_b32_e32 v13, vcc_hi, v107
	v_and_b32_e32 v107, exec_hi, v13
	v_lshlrev_b32_e32 v13, 30, v1
	v_xor_b32_e32 v105, vcc_lo, v105
	v_cmp_gt_i64_e32 vcc, 0, v[12:13]
	v_not_b32_e32 v13, v13
	v_ashrrev_i32_e32 v13, 31, v13
	v_and_b32_e32 v105, exec_lo, v105
	v_xor_b32_e32 v108, vcc_hi, v13
	v_xor_b32_e32 v13, vcc_lo, v13
	v_and_b32_e32 v105, v105, v13
	v_lshlrev_b32_e32 v13, 29, v1
	v_not_b32_e32 v1, v13
	v_cmp_gt_i64_e32 vcc, 0, v[12:13]
	v_ashrrev_i32_e32 v1, 31, v1
	v_and_b32_e32 v107, v107, v108
	v_xor_b32_e32 v13, vcc_hi, v1
	v_and_b32_e32 v107, v107, v13
	v_and_b32_e32 v13, 0xf0000000, v0
	v_not_b32_e32 v0, v13
	v_xor_b32_e32 v1, vcc_lo, v1
	v_cmp_gt_i64_e32 vcc, 0, v[12:13]
	v_ashrrev_i32_e32 v0, 31, v0
	v_and_b32_e32 v105, v105, v1
	v_xor_b32_e32 v1, vcc_hi, v0
	v_xor_b32_e32 v0, vcc_lo, v0
	v_and_b32_e32 v0, v105, v0
	v_and_b32_e32 v1, v107, v1
	v_mbcnt_lo_u32_b32 v13, v0, 0
	v_mbcnt_hi_u32_b32 v105, v1, v13
	v_cmp_eq_u32_e32 vcc, 0, v105
	v_cmp_ne_u64_e64 s[26:27], 0, v[0:1]
	s_and_b64 s[38:39], vcc, s[26:27]
	; wave barrier
	s_and_saveexec_b64 s[26:27], s[38:39]
	s_cbranch_execz .LBB89_64
; %bb.63:                               ;   in Loop: Header=BB89_4 Depth=2
	v_bcnt_u32_b32 v0, v0, 0
	v_bcnt_u32_b32 v0, v1, v0
	s_waitcnt lgkmcnt(0)
	v_add_u32_e32 v0, v104, v0
	ds_write_b32 v106, v0
.LBB89_64:                              ;   in Loop: Header=BB89_4 Depth=2
	s_or_b64 exec, exec, s[26:27]
	v_lshlrev_b32_sdwa v0, s36, v9 dst_sel:DWORD dst_unused:UNUSED_PAD src0_sel:DWORD src1_sel:BYTE_2
	v_lshrrev_b32_e32 v1, 28, v0
	v_mul_u32_u24_e32 v13, 9, v1
	v_add_lshl_u32 v13, v13, v14, 2
	; wave barrier
	v_add_u32_e32 v109, 32, v13
	ds_read_b32 v107, v13 offset:32
	v_bfe_u32 v13, v0, 28, 1
	v_add_co_u32_e32 v108, vcc, -1, v13
	v_addc_co_u32_e64 v110, s[26:27], 0, -1, vcc
	v_cmp_ne_u32_e32 vcc, 0, v13
	v_xor_b32_e32 v13, vcc_hi, v110
	v_and_b32_e32 v110, exec_hi, v13
	v_lshlrev_b32_e32 v13, 30, v1
	v_xor_b32_e32 v108, vcc_lo, v108
	v_cmp_gt_i64_e32 vcc, 0, v[12:13]
	v_not_b32_e32 v13, v13
	v_ashrrev_i32_e32 v13, 31, v13
	v_and_b32_e32 v108, exec_lo, v108
	v_xor_b32_e32 v111, vcc_hi, v13
	v_xor_b32_e32 v13, vcc_lo, v13
	v_and_b32_e32 v108, v108, v13
	v_lshlrev_b32_e32 v13, 29, v1
	v_not_b32_e32 v1, v13
	v_cmp_gt_i64_e32 vcc, 0, v[12:13]
	v_ashrrev_i32_e32 v1, 31, v1
	v_and_b32_e32 v110, v110, v111
	v_xor_b32_e32 v13, vcc_hi, v1
	v_and_b32_e32 v110, v110, v13
	v_and_b32_e32 v13, 0xf0000000, v0
	v_not_b32_e32 v0, v13
	v_xor_b32_e32 v1, vcc_lo, v1
	v_cmp_gt_i64_e32 vcc, 0, v[12:13]
	v_ashrrev_i32_e32 v0, 31, v0
	v_and_b32_e32 v108, v108, v1
	v_xor_b32_e32 v1, vcc_hi, v0
	v_xor_b32_e32 v0, vcc_lo, v0
	v_and_b32_e32 v0, v108, v0
	v_and_b32_e32 v1, v110, v1
	v_mbcnt_lo_u32_b32 v13, v0, 0
	v_mbcnt_hi_u32_b32 v108, v1, v13
	v_cmp_eq_u32_e32 vcc, 0, v108
	v_cmp_ne_u64_e64 s[26:27], 0, v[0:1]
	s_and_b64 s[38:39], vcc, s[26:27]
	; wave barrier
	s_and_saveexec_b64 s[26:27], s[38:39]
	s_cbranch_execz .LBB89_66
; %bb.65:                               ;   in Loop: Header=BB89_4 Depth=2
	v_bcnt_u32_b32 v0, v0, 0
	v_bcnt_u32_b32 v0, v1, v0
	s_waitcnt lgkmcnt(0)
	v_add_u32_e32 v0, v107, v0
	ds_write_b32 v109, v0
.LBB89_66:                              ;   in Loop: Header=BB89_4 Depth=2
	s_or_b64 exec, exec, s[26:27]
	v_lshlrev_b32_sdwa v0, s36, v9 dst_sel:DWORD dst_unused:UNUSED_PAD src0_sel:DWORD src1_sel:BYTE_3
	v_lshrrev_b32_e32 v1, 28, v0
	v_mul_u32_u24_e32 v13, 9, v1
	v_add_lshl_u32 v13, v13, v14, 2
	; wave barrier
	v_add_u32_e32 v111, 32, v13
	ds_read_b32 v110, v13 offset:32
	v_bfe_u32 v13, v0, 28, 1
	v_add_co_u32_e32 v112, vcc, -1, v13
	v_addc_co_u32_e64 v113, s[26:27], 0, -1, vcc
	v_cmp_ne_u32_e32 vcc, 0, v13
	v_xor_b32_e32 v13, vcc_hi, v113
	v_and_b32_e32 v113, exec_hi, v13
	v_lshlrev_b32_e32 v13, 30, v1
	v_xor_b32_e32 v112, vcc_lo, v112
	v_cmp_gt_i64_e32 vcc, 0, v[12:13]
	v_not_b32_e32 v13, v13
	v_ashrrev_i32_e32 v13, 31, v13
	v_and_b32_e32 v112, exec_lo, v112
	v_xor_b32_e32 v114, vcc_hi, v13
	v_xor_b32_e32 v13, vcc_lo, v13
	v_and_b32_e32 v112, v112, v13
	v_lshlrev_b32_e32 v13, 29, v1
	v_not_b32_e32 v1, v13
	v_cmp_gt_i64_e32 vcc, 0, v[12:13]
	v_ashrrev_i32_e32 v1, 31, v1
	v_and_b32_e32 v113, v113, v114
	v_xor_b32_e32 v13, vcc_hi, v1
	v_and_b32_e32 v113, v113, v13
	v_and_b32_e32 v13, 0xf0000000, v0
	v_not_b32_e32 v0, v13
	v_xor_b32_e32 v1, vcc_lo, v1
	v_cmp_gt_i64_e32 vcc, 0, v[12:13]
	v_ashrrev_i32_e32 v0, 31, v0
	v_and_b32_e32 v112, v112, v1
	v_xor_b32_e32 v1, vcc_hi, v0
	v_xor_b32_e32 v0, vcc_lo, v0
	v_and_b32_e32 v0, v112, v0
	v_and_b32_e32 v1, v113, v1
	v_mbcnt_lo_u32_b32 v13, v0, 0
	v_mbcnt_hi_u32_b32 v13, v1, v13
	v_cmp_eq_u32_e32 vcc, 0, v13
	v_cmp_ne_u64_e64 s[26:27], 0, v[0:1]
	s_and_b64 s[36:37], vcc, s[26:27]
	; wave barrier
	s_and_saveexec_b64 s[26:27], s[36:37]
	s_cbranch_execz .LBB89_68
; %bb.67:                               ;   in Loop: Header=BB89_4 Depth=2
	v_bcnt_u32_b32 v0, v0, 0
	v_bcnt_u32_b32 v0, v1, v0
	s_waitcnt lgkmcnt(0)
	v_add_u32_e32 v0, v110, v0
	ds_write_b32 v111, v0
.LBB89_68:                              ;   in Loop: Header=BB89_4 Depth=2
	s_or_b64 exec, exec, s[26:27]
	; wave barrier
	s_waitcnt lgkmcnt(0)
	s_barrier
	ds_read_b32 v0, v15 offset:32
	s_waitcnt lgkmcnt(0)
	s_nop 0
	v_mov_b32_dpp v1, v0 row_shr:1 row_mask:0xf bank_mask:0xf
	v_cndmask_b32_e64 v1, v1, 0, s[0:1]
	v_add_u32_e32 v0, v1, v0
	s_nop 1
	v_mov_b32_dpp v1, v0 row_shr:2 row_mask:0xf bank_mask:0xf
	v_cndmask_b32_e64 v1, 0, v1, s[2:3]
	v_add_u32_e32 v0, v0, v1
	;; [unrolled: 4-line block ×4, first 2 shown]
	s_nop 1
	v_mov_b32_dpp v1, v0 row_bcast:15 row_mask:0xf bank_mask:0xf
	v_cndmask_b32_e64 v1, v1, 0, s[8:9]
	v_add_u32_e32 v0, v0, v1
	s_nop 1
	v_mov_b32_dpp v1, v0 row_bcast:31 row_mask:0xf bank_mask:0xf
	v_cndmask_b32_e64 v1, 0, v1, s[10:11]
	v_add_u32_e32 v0, v0, v1
	s_and_saveexec_b64 s[26:27], s[12:13]
	s_xor_b64 s[26:27], exec, s[26:27]
	s_cbranch_execz .LBB89_70
; %bb.69:                               ;   in Loop: Header=BB89_4 Depth=2
	ds_write_b32 v18, v0
.LBB89_70:                              ;   in Loop: Header=BB89_4 Depth=2
	s_or_b64 exec, exec, s[26:27]
	s_waitcnt lgkmcnt(0)
	s_barrier
	s_and_saveexec_b64 s[26:27], s[14:15]
	s_cbranch_execz .LBB89_72
; %bb.71:                               ;   in Loop: Header=BB89_4 Depth=2
	ds_read_b32 v1, v15
	s_waitcnt lgkmcnt(0)
	s_nop 0
	v_mov_b32_dpp v112, v1 row_shr:1 row_mask:0xf bank_mask:0xf
	v_cndmask_b32_e64 v112, v112, 0, s[20:21]
	v_add_u32_e32 v1, v112, v1
	s_nop 1
	v_mov_b32_dpp v112, v1 row_shr:2 row_mask:0xf bank_mask:0xf
	v_cndmask_b32_e64 v112, 0, v112, s[22:23]
	v_add_u32_e32 v1, v1, v112
	;; [unrolled: 4-line block ×3, first 2 shown]
	ds_write_b32 v15, v1
.LBB89_72:                              ;   in Loop: Header=BB89_4 Depth=2
	s_or_b64 exec, exec, s[26:27]
	v_mov_b32_e32 v1, 0
	s_waitcnt lgkmcnt(0)
	s_barrier
	s_and_saveexec_b64 s[26:27], s[16:17]
	s_cbranch_execz .LBB89_3
; %bb.73:                               ;   in Loop: Header=BB89_4 Depth=2
	ds_read_b32 v1, v19
	s_branch .LBB89_3
.LBB89_74:
	ds_read_b32 v0, v21
	ds_read_b32 v4, v37
	;; [unrolled: 1-line block ×8, first 2 shown]
	s_lshl_b64 s[0:1], s[34:35], 2
	s_add_u32 s0, s30, s0
	s_waitcnt lgkmcnt(7)
	v_add3_u32 v1, v22, v20, v0
	s_waitcnt lgkmcnt(3)
	v_add3_u32 v3, v28, v26, v2
	s_waitcnt lgkmcnt(2)
	v_add3_u32 v2, v25, v23, v7
	s_waitcnt lgkmcnt(1)
	v_add_u32_e32 v0, v8, v17
	v_lshlrev_b32_e32 v7, 2, v10
	s_addc_u32 s1, s31, s1
	global_store_dwordx4 v7, v[0:3], s[0:1]
	s_nop 0
	v_add3_u32 v1, v35, v32, v5
	v_add3_u32 v0, v31, v29, v6
	ds_read_b32 v5, v63
	ds_read_b32 v6, v60
	;; [unrolled: 1-line block ×8, first 2 shown]
	s_waitcnt lgkmcnt(8)
	v_add3_u32 v3, v39, v38, v9
	v_add3_u32 v2, v36, v34, v4
	global_store_dwordx4 v7, v[0:3], s[0:1] offset:16
	s_waitcnt lgkmcnt(1)
	v_add3_u32 v1, v46, v44, v14
	s_waitcnt lgkmcnt(0)
	v_add3_u32 v0, v43, v41, v15
	v_add3_u32 v3, v52, v50, v11
	;; [unrolled: 1-line block ×3, first 2 shown]
	global_store_dwordx4 v7, v[0:3], s[0:1] offset:32
	s_nop 0
	v_add3_u32 v1, v58, v56, v8
	v_add3_u32 v0, v55, v53, v10
	ds_read_b32 v4, v111
	ds_read_b32 v8, v109
	;; [unrolled: 1-line block ×16, first 2 shown]
	v_add3_u32 v3, v64, v62, v5
	v_add3_u32 v2, v61, v59, v6
	global_store_dwordx4 v7, v[0:3], s[0:1] offset:48
	s_waitcnt lgkmcnt(1)
	v_add3_u32 v1, v70, v68, v22
	s_waitcnt lgkmcnt(0)
	v_add3_u32 v0, v67, v65, v23
	v_add3_u32 v3, v76, v74, v20
	v_add3_u32 v2, v73, v71, v21
	global_store_dwordx4 v7, v[0:3], s[0:1] offset:64
	s_nop 0
	v_add3_u32 v1, v82, v80, v18
	v_add3_u32 v0, v79, v77, v19
	v_add3_u32 v3, v88, v86, v16
	v_add3_u32 v2, v85, v83, v17
	global_store_dwordx4 v7, v[0:3], s[0:1] offset:80
	s_nop 0
	v_add3_u32 v1, v94, v92, v14
	;; [unrolled: 6-line block ×3, first 2 shown]
	v_add3_u32 v0, v102, v101, v10
	v_add3_u32 v3, v13, v110, v4
	;; [unrolled: 1-line block ×3, first 2 shown]
	global_store_dwordx4 v7, v[0:3], s[0:1] offset:112
	s_endpgm
	.section	.rodata,"a",@progbits
	.p2align	6, 0x0
	.amdhsa_kernel _Z11rank_kernelIhLj4ELb0EL18RadixRankAlgorithm2ELj512ELj32ELj10EEvPKT_Pi
		.amdhsa_group_segment_fixed_size 2080
		.amdhsa_private_segment_fixed_size 0
		.amdhsa_kernarg_size 272
		.amdhsa_user_sgpr_count 6
		.amdhsa_user_sgpr_private_segment_buffer 1
		.amdhsa_user_sgpr_dispatch_ptr 0
		.amdhsa_user_sgpr_queue_ptr 0
		.amdhsa_user_sgpr_kernarg_segment_ptr 1
		.amdhsa_user_sgpr_dispatch_id 0
		.amdhsa_user_sgpr_flat_scratch_init 0
		.amdhsa_user_sgpr_kernarg_preload_length 0
		.amdhsa_user_sgpr_kernarg_preload_offset 0
		.amdhsa_user_sgpr_private_segment_size 0
		.amdhsa_uses_dynamic_stack 0
		.amdhsa_system_sgpr_private_segment_wavefront_offset 0
		.amdhsa_system_sgpr_workgroup_id_x 1
		.amdhsa_system_sgpr_workgroup_id_y 0
		.amdhsa_system_sgpr_workgroup_id_z 0
		.amdhsa_system_sgpr_workgroup_info 0
		.amdhsa_system_vgpr_workitem_id 2
		.amdhsa_next_free_vgpr 115
		.amdhsa_next_free_sgpr 40
		.amdhsa_accum_offset 116
		.amdhsa_reserve_vcc 1
		.amdhsa_reserve_flat_scratch 0
		.amdhsa_float_round_mode_32 0
		.amdhsa_float_round_mode_16_64 0
		.amdhsa_float_denorm_mode_32 3
		.amdhsa_float_denorm_mode_16_64 3
		.amdhsa_dx10_clamp 1
		.amdhsa_ieee_mode 1
		.amdhsa_fp16_overflow 0
		.amdhsa_tg_split 0
		.amdhsa_exception_fp_ieee_invalid_op 0
		.amdhsa_exception_fp_denorm_src 0
		.amdhsa_exception_fp_ieee_div_zero 0
		.amdhsa_exception_fp_ieee_overflow 0
		.amdhsa_exception_fp_ieee_underflow 0
		.amdhsa_exception_fp_ieee_inexact 0
		.amdhsa_exception_int_div_zero 0
	.end_amdhsa_kernel
	.section	.text._Z11rank_kernelIhLj4ELb0EL18RadixRankAlgorithm2ELj512ELj32ELj10EEvPKT_Pi,"axG",@progbits,_Z11rank_kernelIhLj4ELb0EL18RadixRankAlgorithm2ELj512ELj32ELj10EEvPKT_Pi,comdat
.Lfunc_end89:
	.size	_Z11rank_kernelIhLj4ELb0EL18RadixRankAlgorithm2ELj512ELj32ELj10EEvPKT_Pi, .Lfunc_end89-_Z11rank_kernelIhLj4ELb0EL18RadixRankAlgorithm2ELj512ELj32ELj10EEvPKT_Pi
                                        ; -- End function
	.section	.AMDGPU.csdata,"",@progbits
; Kernel info:
; codeLenInByte = 9444
; NumSgprs: 44
; NumVgprs: 115
; NumAgprs: 0
; TotalNumVgprs: 115
; ScratchSize: 0
; MemoryBound: 0
; FloatMode: 240
; IeeeMode: 1
; LDSByteSize: 2080 bytes/workgroup (compile time only)
; SGPRBlocks: 5
; VGPRBlocks: 14
; NumSGPRsForWavesPerEU: 44
; NumVGPRsForWavesPerEU: 115
; AccumOffset: 116
; Occupancy: 4
; WaveLimiterHint : 0
; COMPUTE_PGM_RSRC2:SCRATCH_EN: 0
; COMPUTE_PGM_RSRC2:USER_SGPR: 6
; COMPUTE_PGM_RSRC2:TRAP_HANDLER: 0
; COMPUTE_PGM_RSRC2:TGID_X_EN: 1
; COMPUTE_PGM_RSRC2:TGID_Y_EN: 0
; COMPUTE_PGM_RSRC2:TGID_Z_EN: 0
; COMPUTE_PGM_RSRC2:TIDIG_COMP_CNT: 2
; COMPUTE_PGM_RSRC3_GFX90A:ACCUM_OFFSET: 28
; COMPUTE_PGM_RSRC3_GFX90A:TG_SPLIT: 0
	.section	.text._Z11rank_kernelIxLj4ELb0EL18RadixRankAlgorithm0ELj128ELj1ELj10EEvPKT_Pi,"axG",@progbits,_Z11rank_kernelIxLj4ELb0EL18RadixRankAlgorithm0ELj128ELj1ELj10EEvPKT_Pi,comdat
	.protected	_Z11rank_kernelIxLj4ELb0EL18RadixRankAlgorithm0ELj128ELj1ELj10EEvPKT_Pi ; -- Begin function _Z11rank_kernelIxLj4ELb0EL18RadixRankAlgorithm0ELj128ELj1ELj10EEvPKT_Pi
	.globl	_Z11rank_kernelIxLj4ELb0EL18RadixRankAlgorithm0ELj128ELj1ELj10EEvPKT_Pi
	.p2align	8
	.type	_Z11rank_kernelIxLj4ELb0EL18RadixRankAlgorithm0ELj128ELj1ELj10EEvPKT_Pi,@function
_Z11rank_kernelIxLj4ELb0EL18RadixRankAlgorithm0ELj128ELj1ELj10EEvPKT_Pi: ; @_Z11rank_kernelIxLj4ELb0EL18RadixRankAlgorithm0ELj128ELj1ELj10EEvPKT_Pi
; %bb.0:
	s_load_dwordx4 s[20:23], s[4:5], 0x0
	s_lshl_b32 s24, s6, 7
	s_mov_b32 s25, 0
	s_lshl_b64 s[0:1], s[24:25], 3
	v_lshlrev_b32_e32 v1, 3, v0
	s_waitcnt lgkmcnt(0)
	s_add_u32 s0, s20, s0
	s_addc_u32 s1, s21, s1
	global_load_dwordx2 v[2:3], v1, s[0:1]
	v_mbcnt_lo_u32_b32 v1, -1, 0
	v_mbcnt_hi_u32_b32 v4, -1, v1
	v_or_b32_e32 v5, 63, v0
	v_cmp_eq_u32_e64 s[4:5], v5, v0
	v_add_u32_e32 v5, -1, v4
	v_and_b32_e32 v12, 64, v4
	v_cmp_lt_i32_e64 s[18:19], v5, v12
	v_lshrrev_b32_e32 v9, 4, v0
	v_and_b32_e32 v10, 15, v4
	v_and_b32_e32 v11, 16, v4
	v_cmp_lt_u32_e64 s[2:3], 31, v4
	v_cmp_eq_u32_e64 s[6:7], 0, v4
	v_and_b32_e32 v13, 1, v4
	v_cndmask_b32_e64 v4, v5, v4, s[18:19]
	v_mov_b32_e32 v6, 0
	s_movk_i32 s30, 0x380
	v_lshlrev_b32_e32 v7, 5, v0
	v_cmp_gt_u32_e32 vcc, 2, v0
	v_cmp_lt_u32_e64 s[0:1], 63, v0
	v_lshlrev_b32_e32 v8, 2, v0
	v_or_b32_e32 v1, 0x80, v0
	v_and_b32_e32 v9, 4, v9
	v_cmp_eq_u32_e64 s[8:9], 0, v10
	v_cmp_lt_u32_e64 s[10:11], 1, v10
	v_cmp_lt_u32_e64 s[12:13], 3, v10
	;; [unrolled: 1-line block ×3, first 2 shown]
	v_cmp_eq_u32_e64 s[16:17], 0, v11
	v_cmp_eq_u32_e64 s[18:19], 0, v13
	v_lshlrev_b32_e32 v10, 2, v4
	s_mov_b32 s31, s25
	s_waitcnt vmcnt(0)
	v_xor_b32_e32 v3, 0x80000000, v3
	s_branch .LBB90_2
.LBB90_1:                               ;   in Loop: Header=BB90_2 Depth=1
	s_add_i32 s31, s31, 1
	s_cmp_eq_u32 s31, 10
	s_cbranch_scc1 .LBB90_16
.LBB90_2:                               ; =>This Loop Header: Depth=1
                                        ;     Child Loop BB90_4 Depth 2
                                        ;       Child Loop BB90_6 Depth 3
	s_mov_b32 s33, 0
	s_branch .LBB90_4
.LBB90_3:                               ;   in Loop: Header=BB90_4 Depth=2
	s_or_b64 exec, exec, s[20:21]
	s_waitcnt lgkmcnt(0)
	v_add_u32_e32 v11, v12, v11
	ds_bpermute_b32 v11, v10, v11
	ds_read_b32 v14, v6 offset:4100
	s_add_i32 s20, s33, 4
	s_cmp_lt_u32 s33, 60
	s_mov_b32 s33, s20
	s_waitcnt lgkmcnt(1)
	v_cndmask_b32_e64 v11, v11, v12, s[6:7]
	ds_read2_b32 v[12:13], v7 offset1:1
	s_waitcnt lgkmcnt(1)
	v_lshl_add_u32 v11, v14, 16, v11
	ds_read2_b32 v[14:15], v7 offset0:2 offset1:3
	ds_read2_b32 v[16:17], v7 offset0:4 offset1:5
	ds_read_b32 v18, v7 offset:24
	s_waitcnt lgkmcnt(3)
	v_add_u32_e32 v12, v11, v12
	ds_write2_b32 v7, v11, v12 offset1:1
	v_add_u32_e32 v11, v13, v12
	s_waitcnt lgkmcnt(3)
	v_add_u32_e32 v12, v14, v11
	ds_write2_b32 v7, v11, v12 offset0:2 offset1:3
	v_add_u32_e32 v11, v15, v12
	s_waitcnt lgkmcnt(3)
	v_add_u32_e32 v12, v16, v11
	ds_write2_b32 v7, v11, v12 offset0:4 offset1:5
	;; [unrolled: 4-line block ×3, first 2 shown]
	s_waitcnt lgkmcnt(0)
	s_barrier
	s_cbranch_scc0 .LBB90_1
.LBB90_4:                               ;   Parent Loop BB90_2 Depth=1
                                        ; =>  This Loop Header: Depth=2
                                        ;       Child Loop BB90_6 Depth 3
	s_mov_b32 s34, 0
	s_mov_b64 s[20:21], 0
	v_pk_mov_b32 v[4:5], v[0:1], v[0:1] op_sel:[0,1]
	s_branch .LBB90_6
.LBB90_5:                               ;   in Loop: Header=BB90_6 Depth=3
	s_or_b64 exec, exec, s[28:29]
	s_add_i32 s34, s34, 2
	v_cmp_eq_u32_e64 s[26:27], 8, s34
	v_add_u32_e32 v5, 0x100, v5
	s_or_b64 s[20:21], s[26:27], s[20:21]
	v_add_u32_e32 v4, 0x100, v4
	s_andn2_b64 exec, exec, s[20:21]
	s_cbranch_execz .LBB90_10
.LBB90_6:                               ;   Parent Loop BB90_2 Depth=1
                                        ;     Parent Loop BB90_4 Depth=2
                                        ; =>    This Inner Loop Header: Depth=3
	s_or_b32 s26, s34, 1
	v_cmp_le_u32_e64 s[26:27], s26, 7
	v_cmp_le_u32_e64 s[36:37], s34, 7
	s_and_saveexec_b64 s[28:29], s[36:37]
	s_cbranch_execz .LBB90_8
; %bb.7:                                ;   in Loop: Header=BB90_6 Depth=3
	v_lshlrev_b32_e32 v11, 2, v4
	ds_write_b32 v11, v6
.LBB90_8:                               ;   in Loop: Header=BB90_6 Depth=3
	s_or_b64 exec, exec, s[28:29]
	s_and_saveexec_b64 s[28:29], s[26:27]
	s_cbranch_execz .LBB90_5
; %bb.9:                                ;   in Loop: Header=BB90_6 Depth=3
	v_lshlrev_b32_e32 v11, 2, v5
	ds_write_b32 v11, v6
	s_branch .LBB90_5
.LBB90_10:                              ;   in Loop: Header=BB90_4 Depth=2
	s_or_b64 exec, exec, s[20:21]
	s_sub_i32 s20, 60, s33
	v_lshlrev_b64 v[4:5], s20, v[2:3]
	v_lshrrev_b32_e32 v4, 21, v5
	v_lshrrev_b32_e32 v5, 30, v5
	v_and_or_b32 v4, v4, s30, v0
	v_and_b32_e32 v5, 2, v5
	v_lshl_or_b32 v5, v4, 2, v5
	ds_read_u16 v4, v5
	s_waitcnt lgkmcnt(0)
	v_add_u16_e32 v11, 1, v4
	ds_write_b16 v5, v11
	s_waitcnt lgkmcnt(0)
	s_barrier
	ds_read2_b32 v[12:13], v7 offset1:1
	ds_read2_b32 v[14:15], v7 offset0:2 offset1:3
	ds_read2_b32 v[16:17], v7 offset0:4 offset1:5
	;; [unrolled: 1-line block ×3, first 2 shown]
	s_waitcnt lgkmcnt(3)
	v_add_u32_e32 v11, v13, v12
	s_waitcnt lgkmcnt(2)
	v_add3_u32 v11, v11, v14, v15
	s_waitcnt lgkmcnt(1)
	v_add3_u32 v11, v11, v16, v17
	;; [unrolled: 2-line block ×3, first 2 shown]
	s_nop 1
	v_mov_b32_dpp v12, v11 row_shr:1 row_mask:0xf bank_mask:0xf
	v_cndmask_b32_e64 v12, v12, 0, s[8:9]
	v_add_u32_e32 v11, v12, v11
	s_nop 1
	v_mov_b32_dpp v12, v11 row_shr:2 row_mask:0xf bank_mask:0xf
	v_cndmask_b32_e64 v12, 0, v12, s[10:11]
	v_add_u32_e32 v11, v11, v12
	;; [unrolled: 4-line block ×4, first 2 shown]
	s_nop 1
	v_mov_b32_dpp v12, v11 row_bcast:15 row_mask:0xf bank_mask:0xf
	v_cndmask_b32_e64 v12, v12, 0, s[16:17]
	v_add_u32_e32 v11, v11, v12
	s_nop 1
	v_mov_b32_dpp v12, v11 row_bcast:31 row_mask:0xf bank_mask:0xf
	v_cndmask_b32_e64 v12, 0, v12, s[2:3]
	v_add_u32_e32 v11, v11, v12
	s_and_saveexec_b64 s[20:21], s[4:5]
	s_cbranch_execz .LBB90_12
; %bb.11:                               ;   in Loop: Header=BB90_4 Depth=2
	ds_write_b32 v9, v11 offset:4096
.LBB90_12:                              ;   in Loop: Header=BB90_4 Depth=2
	s_or_b64 exec, exec, s[20:21]
	s_waitcnt lgkmcnt(0)
	s_barrier
	s_and_saveexec_b64 s[20:21], vcc
	s_cbranch_execz .LBB90_14
; %bb.13:                               ;   in Loop: Header=BB90_4 Depth=2
	ds_read_b32 v12, v8 offset:4096
	s_waitcnt lgkmcnt(0)
	s_nop 0
	v_mov_b32_dpp v13, v12 row_shr:1 row_mask:0xf bank_mask:0xf
	v_cndmask_b32_e64 v13, v13, 0, s[18:19]
	v_add_u32_e32 v12, v13, v12
	ds_write_b32 v8, v12 offset:4096
.LBB90_14:                              ;   in Loop: Header=BB90_4 Depth=2
	s_or_b64 exec, exec, s[20:21]
	v_mov_b32_e32 v12, 0
	s_waitcnt lgkmcnt(0)
	s_barrier
	s_and_saveexec_b64 s[20:21], s[0:1]
	s_cbranch_execz .LBB90_3
; %bb.15:                               ;   in Loop: Header=BB90_4 Depth=2
	ds_read_b32 v12, v9 offset:4092
	s_branch .LBB90_3
.LBB90_16:
	ds_read_u16 v1, v5
	s_lshl_b64 s[0:1], s[24:25], 2
	s_add_u32 s0, s22, s0
	s_addc_u32 s1, s23, s1
	v_lshlrev_b32_e32 v0, 2, v0
	s_waitcnt lgkmcnt(0)
	v_add_u32_sdwa v1, v1, v4 dst_sel:DWORD dst_unused:UNUSED_PAD src0_sel:DWORD src1_sel:WORD_0
	global_store_dword v0, v1, s[0:1]
	s_endpgm
	.section	.rodata,"a",@progbits
	.p2align	6, 0x0
	.amdhsa_kernel _Z11rank_kernelIxLj4ELb0EL18RadixRankAlgorithm0ELj128ELj1ELj10EEvPKT_Pi
		.amdhsa_group_segment_fixed_size 4104
		.amdhsa_private_segment_fixed_size 0
		.amdhsa_kernarg_size 16
		.amdhsa_user_sgpr_count 6
		.amdhsa_user_sgpr_private_segment_buffer 1
		.amdhsa_user_sgpr_dispatch_ptr 0
		.amdhsa_user_sgpr_queue_ptr 0
		.amdhsa_user_sgpr_kernarg_segment_ptr 1
		.amdhsa_user_sgpr_dispatch_id 0
		.amdhsa_user_sgpr_flat_scratch_init 0
		.amdhsa_user_sgpr_kernarg_preload_length 0
		.amdhsa_user_sgpr_kernarg_preload_offset 0
		.amdhsa_user_sgpr_private_segment_size 0
		.amdhsa_uses_dynamic_stack 0
		.amdhsa_system_sgpr_private_segment_wavefront_offset 0
		.amdhsa_system_sgpr_workgroup_id_x 1
		.amdhsa_system_sgpr_workgroup_id_y 0
		.amdhsa_system_sgpr_workgroup_id_z 0
		.amdhsa_system_sgpr_workgroup_info 0
		.amdhsa_system_vgpr_workitem_id 0
		.amdhsa_next_free_vgpr 20
		.amdhsa_next_free_sgpr 38
		.amdhsa_accum_offset 20
		.amdhsa_reserve_vcc 1
		.amdhsa_reserve_flat_scratch 0
		.amdhsa_float_round_mode_32 0
		.amdhsa_float_round_mode_16_64 0
		.amdhsa_float_denorm_mode_32 3
		.amdhsa_float_denorm_mode_16_64 3
		.amdhsa_dx10_clamp 1
		.amdhsa_ieee_mode 1
		.amdhsa_fp16_overflow 0
		.amdhsa_tg_split 0
		.amdhsa_exception_fp_ieee_invalid_op 0
		.amdhsa_exception_fp_denorm_src 0
		.amdhsa_exception_fp_ieee_div_zero 0
		.amdhsa_exception_fp_ieee_overflow 0
		.amdhsa_exception_fp_ieee_underflow 0
		.amdhsa_exception_fp_ieee_inexact 0
		.amdhsa_exception_int_div_zero 0
	.end_amdhsa_kernel
	.section	.text._Z11rank_kernelIxLj4ELb0EL18RadixRankAlgorithm0ELj128ELj1ELj10EEvPKT_Pi,"axG",@progbits,_Z11rank_kernelIxLj4ELb0EL18RadixRankAlgorithm0ELj128ELj1ELj10EEvPKT_Pi,comdat
.Lfunc_end90:
	.size	_Z11rank_kernelIxLj4ELb0EL18RadixRankAlgorithm0ELj128ELj1ELj10EEvPKT_Pi, .Lfunc_end90-_Z11rank_kernelIxLj4ELb0EL18RadixRankAlgorithm0ELj128ELj1ELj10EEvPKT_Pi
                                        ; -- End function
	.section	.AMDGPU.csdata,"",@progbits
; Kernel info:
; codeLenInByte = 1036
; NumSgprs: 42
; NumVgprs: 20
; NumAgprs: 0
; TotalNumVgprs: 20
; ScratchSize: 0
; MemoryBound: 0
; FloatMode: 240
; IeeeMode: 1
; LDSByteSize: 4104 bytes/workgroup (compile time only)
; SGPRBlocks: 5
; VGPRBlocks: 2
; NumSGPRsForWavesPerEU: 42
; NumVGPRsForWavesPerEU: 20
; AccumOffset: 20
; Occupancy: 8
; WaveLimiterHint : 0
; COMPUTE_PGM_RSRC2:SCRATCH_EN: 0
; COMPUTE_PGM_RSRC2:USER_SGPR: 6
; COMPUTE_PGM_RSRC2:TRAP_HANDLER: 0
; COMPUTE_PGM_RSRC2:TGID_X_EN: 1
; COMPUTE_PGM_RSRC2:TGID_Y_EN: 0
; COMPUTE_PGM_RSRC2:TGID_Z_EN: 0
; COMPUTE_PGM_RSRC2:TIDIG_COMP_CNT: 0
; COMPUTE_PGM_RSRC3_GFX90A:ACCUM_OFFSET: 4
; COMPUTE_PGM_RSRC3_GFX90A:TG_SPLIT: 0
	.section	.text._Z11rank_kernelIxLj4ELb0EL18RadixRankAlgorithm1ELj128ELj1ELj10EEvPKT_Pi,"axG",@progbits,_Z11rank_kernelIxLj4ELb0EL18RadixRankAlgorithm1ELj128ELj1ELj10EEvPKT_Pi,comdat
	.protected	_Z11rank_kernelIxLj4ELb0EL18RadixRankAlgorithm1ELj128ELj1ELj10EEvPKT_Pi ; -- Begin function _Z11rank_kernelIxLj4ELb0EL18RadixRankAlgorithm1ELj128ELj1ELj10EEvPKT_Pi
	.globl	_Z11rank_kernelIxLj4ELb0EL18RadixRankAlgorithm1ELj128ELj1ELj10EEvPKT_Pi
	.p2align	8
	.type	_Z11rank_kernelIxLj4ELb0EL18RadixRankAlgorithm1ELj128ELj1ELj10EEvPKT_Pi,@function
_Z11rank_kernelIxLj4ELb0EL18RadixRankAlgorithm1ELj128ELj1ELj10EEvPKT_Pi: ; @_Z11rank_kernelIxLj4ELb0EL18RadixRankAlgorithm1ELj128ELj1ELj10EEvPKT_Pi
; %bb.0:
	s_load_dwordx4 s[20:23], s[4:5], 0x0
	s_lshl_b32 s24, s6, 7
	s_mov_b32 s25, 0
	s_lshl_b64 s[0:1], s[24:25], 3
	v_lshlrev_b32_e32 v1, 3, v0
	s_waitcnt lgkmcnt(0)
	s_add_u32 s0, s20, s0
	s_addc_u32 s1, s21, s1
	global_load_dwordx2 v[2:3], v1, s[0:1]
	v_mbcnt_lo_u32_b32 v1, -1, 0
	v_mbcnt_hi_u32_b32 v4, -1, v1
	v_or_b32_e32 v5, 63, v0
	v_cmp_eq_u32_e64 s[4:5], v5, v0
	v_add_u32_e32 v5, -1, v4
	v_and_b32_e32 v9, 64, v4
	v_lshrrev_b32_e32 v6, 4, v0
	v_cmp_lt_i32_e64 s[18:19], v5, v9
	v_and_b32_e32 v7, 15, v4
	v_and_b32_e32 v8, 16, v4
	v_cmp_lt_u32_e64 s[2:3], 31, v4
	v_cmp_eq_u32_e64 s[6:7], 0, v4
	v_and_b32_e32 v15, 4, v6
	v_and_b32_e32 v6, 1, v4
	v_cndmask_b32_e64 v4, v5, v4, s[18:19]
	v_mov_b32_e32 v12, 0
	s_movk_i32 s30, 0x380
	v_lshlrev_b32_e32 v13, 5, v0
	v_cmp_gt_u32_e32 vcc, 2, v0
	v_cmp_lt_u32_e64 s[0:1], 63, v0
	v_lshlrev_b32_e32 v14, 2, v0
	v_or_b32_e32 v1, 0x80, v0
	v_cmp_eq_u32_e64 s[8:9], 0, v7
	v_cmp_lt_u32_e64 s[10:11], 1, v7
	v_cmp_lt_u32_e64 s[12:13], 3, v7
	;; [unrolled: 1-line block ×3, first 2 shown]
	v_cmp_eq_u32_e64 s[16:17], 0, v8
	v_cmp_eq_u32_e64 s[18:19], 0, v6
	v_lshlrev_b32_e32 v16, 2, v4
	s_mov_b32 s31, s25
	s_waitcnt vmcnt(0)
	v_xor_b32_e32 v3, 0x80000000, v3
	s_branch .LBB91_2
.LBB91_1:                               ;   in Loop: Header=BB91_2 Depth=1
	s_add_i32 s31, s31, 1
	s_cmp_eq_u32 s31, 10
	s_cbranch_scc1 .LBB91_16
.LBB91_2:                               ; =>This Loop Header: Depth=1
                                        ;     Child Loop BB91_4 Depth 2
                                        ;       Child Loop BB91_6 Depth 3
	s_mov_b32 s33, 0
	s_branch .LBB91_4
.LBB91_3:                               ;   in Loop: Header=BB91_4 Depth=2
	s_or_b64 exec, exec, s[20:21]
	s_waitcnt lgkmcnt(0)
	v_add_u32_e32 v5, v19, v5
	ds_bpermute_b32 v5, v16, v5
	ds_read_b32 v20, v12 offset:4100
	s_add_i32 s20, s33, 4
	s_cmp_lt_u32 s33, 60
	s_mov_b32 s33, s20
	s_waitcnt lgkmcnt(1)
	v_cndmask_b32_e64 v5, v5, v19, s[6:7]
	s_waitcnt lgkmcnt(0)
	v_lshl_add_u32 v5, v20, 16, v5
	v_add_u32_e32 v10, v5, v10
	v_add_u32_e32 v11, v10, v11
	ds_write2_b32 v13, v5, v10 offset1:1
	v_add_u32_e32 v5, v11, v8
	v_add_u32_e32 v8, v5, v9
	ds_write2_b32 v13, v11, v5 offset0:2 offset1:3
	v_add_u32_e32 v5, v8, v6
	v_add_u32_e32 v6, v5, v7
	;; [unrolled: 1-line block ×3, first 2 shown]
	ds_write2_b32 v13, v8, v5 offset0:4 offset1:5
	ds_write2_b32 v13, v6, v4 offset0:6 offset1:7
	s_waitcnt lgkmcnt(0)
	s_barrier
	s_cbranch_scc0 .LBB91_1
.LBB91_4:                               ;   Parent Loop BB91_2 Depth=1
                                        ; =>  This Loop Header: Depth=2
                                        ;       Child Loop BB91_6 Depth 3
	s_mov_b32 s34, 0
	s_mov_b64 s[20:21], 0
	v_pk_mov_b32 v[4:5], v[0:1], v[0:1] op_sel:[0,1]
	s_branch .LBB91_6
.LBB91_5:                               ;   in Loop: Header=BB91_6 Depth=3
	s_or_b64 exec, exec, s[28:29]
	s_add_i32 s34, s34, 2
	v_cmp_eq_u32_e64 s[26:27], 8, s34
	v_add_u32_e32 v5, 0x100, v5
	s_or_b64 s[20:21], s[26:27], s[20:21]
	v_add_u32_e32 v4, 0x100, v4
	s_andn2_b64 exec, exec, s[20:21]
	s_cbranch_execz .LBB91_10
.LBB91_6:                               ;   Parent Loop BB91_2 Depth=1
                                        ;     Parent Loop BB91_4 Depth=2
                                        ; =>    This Inner Loop Header: Depth=3
	s_or_b32 s26, s34, 1
	v_cmp_le_u32_e64 s[26:27], s26, 7
	v_cmp_le_u32_e64 s[36:37], s34, 7
	s_and_saveexec_b64 s[28:29], s[36:37]
	s_cbranch_execz .LBB91_8
; %bb.7:                                ;   in Loop: Header=BB91_6 Depth=3
	v_lshlrev_b32_e32 v6, 2, v4
	ds_write_b32 v6, v12
.LBB91_8:                               ;   in Loop: Header=BB91_6 Depth=3
	s_or_b64 exec, exec, s[28:29]
	s_and_saveexec_b64 s[28:29], s[26:27]
	s_cbranch_execz .LBB91_5
; %bb.9:                                ;   in Loop: Header=BB91_6 Depth=3
	v_lshlrev_b32_e32 v6, 2, v5
	ds_write_b32 v6, v12
	s_branch .LBB91_5
.LBB91_10:                              ;   in Loop: Header=BB91_4 Depth=2
	s_or_b64 exec, exec, s[20:21]
	s_sub_i32 s20, 60, s33
	v_lshlrev_b64 v[4:5], s20, v[2:3]
	v_lshrrev_b32_e32 v4, 21, v5
	v_lshrrev_b32_e32 v5, 30, v5
	v_and_or_b32 v4, v4, s30, v0
	v_and_b32_e32 v5, 2, v5
	v_lshl_or_b32 v18, v4, 2, v5
	ds_read_u16 v17, v18
	s_waitcnt lgkmcnt(0)
	v_add_u16_e32 v4, 1, v17
	ds_write_b16 v18, v4
	s_waitcnt lgkmcnt(0)
	s_barrier
	ds_read2_b32 v[10:11], v13 offset1:1
	ds_read2_b32 v[8:9], v13 offset0:2 offset1:3
	ds_read2_b32 v[6:7], v13 offset0:4 offset1:5
	;; [unrolled: 1-line block ×3, first 2 shown]
	s_waitcnt lgkmcnt(3)
	v_add_u32_e32 v19, v11, v10
	s_waitcnt lgkmcnt(2)
	v_add3_u32 v19, v19, v8, v9
	s_waitcnt lgkmcnt(1)
	v_add3_u32 v19, v19, v6, v7
	;; [unrolled: 2-line block ×3, first 2 shown]
	s_nop 1
	v_mov_b32_dpp v19, v5 row_shr:1 row_mask:0xf bank_mask:0xf
	v_cndmask_b32_e64 v19, v19, 0, s[8:9]
	v_add_u32_e32 v5, v19, v5
	s_nop 1
	v_mov_b32_dpp v19, v5 row_shr:2 row_mask:0xf bank_mask:0xf
	v_cndmask_b32_e64 v19, 0, v19, s[10:11]
	v_add_u32_e32 v5, v5, v19
	;; [unrolled: 4-line block ×4, first 2 shown]
	s_nop 1
	v_mov_b32_dpp v19, v5 row_bcast:15 row_mask:0xf bank_mask:0xf
	v_cndmask_b32_e64 v19, v19, 0, s[16:17]
	v_add_u32_e32 v5, v5, v19
	s_nop 1
	v_mov_b32_dpp v19, v5 row_bcast:31 row_mask:0xf bank_mask:0xf
	v_cndmask_b32_e64 v19, 0, v19, s[2:3]
	v_add_u32_e32 v5, v5, v19
	s_and_saveexec_b64 s[20:21], s[4:5]
	s_cbranch_execz .LBB91_12
; %bb.11:                               ;   in Loop: Header=BB91_4 Depth=2
	ds_write_b32 v15, v5 offset:4096
.LBB91_12:                              ;   in Loop: Header=BB91_4 Depth=2
	s_or_b64 exec, exec, s[20:21]
	s_waitcnt lgkmcnt(0)
	s_barrier
	s_and_saveexec_b64 s[20:21], vcc
	s_cbranch_execz .LBB91_14
; %bb.13:                               ;   in Loop: Header=BB91_4 Depth=2
	ds_read_b32 v19, v14 offset:4096
	s_waitcnt lgkmcnt(0)
	s_nop 0
	v_mov_b32_dpp v20, v19 row_shr:1 row_mask:0xf bank_mask:0xf
	v_cndmask_b32_e64 v20, v20, 0, s[18:19]
	v_add_u32_e32 v19, v20, v19
	ds_write_b32 v14, v19 offset:4096
.LBB91_14:                              ;   in Loop: Header=BB91_4 Depth=2
	s_or_b64 exec, exec, s[20:21]
	v_mov_b32_e32 v19, 0
	s_waitcnt lgkmcnt(0)
	s_barrier
	s_and_saveexec_b64 s[20:21], s[0:1]
	s_cbranch_execz .LBB91_3
; %bb.15:                               ;   in Loop: Header=BB91_4 Depth=2
	ds_read_b32 v19, v15 offset:4092
	s_branch .LBB91_3
.LBB91_16:
	ds_read_u16 v1, v18
	s_lshl_b64 s[0:1], s[24:25], 2
	s_add_u32 s0, s22, s0
	s_addc_u32 s1, s23, s1
	v_lshlrev_b32_e32 v0, 2, v0
	s_waitcnt lgkmcnt(0)
	v_add_u32_sdwa v1, v1, v17 dst_sel:DWORD dst_unused:UNUSED_PAD src0_sel:DWORD src1_sel:WORD_0
	global_store_dword v0, v1, s[0:1]
	s_endpgm
	.section	.rodata,"a",@progbits
	.p2align	6, 0x0
	.amdhsa_kernel _Z11rank_kernelIxLj4ELb0EL18RadixRankAlgorithm1ELj128ELj1ELj10EEvPKT_Pi
		.amdhsa_group_segment_fixed_size 4104
		.amdhsa_private_segment_fixed_size 0
		.amdhsa_kernarg_size 16
		.amdhsa_user_sgpr_count 6
		.amdhsa_user_sgpr_private_segment_buffer 1
		.amdhsa_user_sgpr_dispatch_ptr 0
		.amdhsa_user_sgpr_queue_ptr 0
		.amdhsa_user_sgpr_kernarg_segment_ptr 1
		.amdhsa_user_sgpr_dispatch_id 0
		.amdhsa_user_sgpr_flat_scratch_init 0
		.amdhsa_user_sgpr_kernarg_preload_length 0
		.amdhsa_user_sgpr_kernarg_preload_offset 0
		.amdhsa_user_sgpr_private_segment_size 0
		.amdhsa_uses_dynamic_stack 0
		.amdhsa_system_sgpr_private_segment_wavefront_offset 0
		.amdhsa_system_sgpr_workgroup_id_x 1
		.amdhsa_system_sgpr_workgroup_id_y 0
		.amdhsa_system_sgpr_workgroup_id_z 0
		.amdhsa_system_sgpr_workgroup_info 0
		.amdhsa_system_vgpr_workitem_id 0
		.amdhsa_next_free_vgpr 21
		.amdhsa_next_free_sgpr 38
		.amdhsa_accum_offset 24
		.amdhsa_reserve_vcc 1
		.amdhsa_reserve_flat_scratch 0
		.amdhsa_float_round_mode_32 0
		.amdhsa_float_round_mode_16_64 0
		.amdhsa_float_denorm_mode_32 3
		.amdhsa_float_denorm_mode_16_64 3
		.amdhsa_dx10_clamp 1
		.amdhsa_ieee_mode 1
		.amdhsa_fp16_overflow 0
		.amdhsa_tg_split 0
		.amdhsa_exception_fp_ieee_invalid_op 0
		.amdhsa_exception_fp_denorm_src 0
		.amdhsa_exception_fp_ieee_div_zero 0
		.amdhsa_exception_fp_ieee_overflow 0
		.amdhsa_exception_fp_ieee_underflow 0
		.amdhsa_exception_fp_ieee_inexact 0
		.amdhsa_exception_int_div_zero 0
	.end_amdhsa_kernel
	.section	.text._Z11rank_kernelIxLj4ELb0EL18RadixRankAlgorithm1ELj128ELj1ELj10EEvPKT_Pi,"axG",@progbits,_Z11rank_kernelIxLj4ELb0EL18RadixRankAlgorithm1ELj128ELj1ELj10EEvPKT_Pi,comdat
.Lfunc_end91:
	.size	_Z11rank_kernelIxLj4ELb0EL18RadixRankAlgorithm1ELj128ELj1ELj10EEvPKT_Pi, .Lfunc_end91-_Z11rank_kernelIxLj4ELb0EL18RadixRankAlgorithm1ELj128ELj1ELj10EEvPKT_Pi
                                        ; -- End function
	.section	.AMDGPU.csdata,"",@progbits
; Kernel info:
; codeLenInByte = 988
; NumSgprs: 42
; NumVgprs: 21
; NumAgprs: 0
; TotalNumVgprs: 21
; ScratchSize: 0
; MemoryBound: 0
; FloatMode: 240
; IeeeMode: 1
; LDSByteSize: 4104 bytes/workgroup (compile time only)
; SGPRBlocks: 5
; VGPRBlocks: 2
; NumSGPRsForWavesPerEU: 42
; NumVGPRsForWavesPerEU: 21
; AccumOffset: 24
; Occupancy: 8
; WaveLimiterHint : 0
; COMPUTE_PGM_RSRC2:SCRATCH_EN: 0
; COMPUTE_PGM_RSRC2:USER_SGPR: 6
; COMPUTE_PGM_RSRC2:TRAP_HANDLER: 0
; COMPUTE_PGM_RSRC2:TGID_X_EN: 1
; COMPUTE_PGM_RSRC2:TGID_Y_EN: 0
; COMPUTE_PGM_RSRC2:TGID_Z_EN: 0
; COMPUTE_PGM_RSRC2:TIDIG_COMP_CNT: 0
; COMPUTE_PGM_RSRC3_GFX90A:ACCUM_OFFSET: 5
; COMPUTE_PGM_RSRC3_GFX90A:TG_SPLIT: 0
	.section	.text._Z11rank_kernelIxLj4ELb0EL18RadixRankAlgorithm2ELj128ELj1ELj10EEvPKT_Pi,"axG",@progbits,_Z11rank_kernelIxLj4ELb0EL18RadixRankAlgorithm2ELj128ELj1ELj10EEvPKT_Pi,comdat
	.protected	_Z11rank_kernelIxLj4ELb0EL18RadixRankAlgorithm2ELj128ELj1ELj10EEvPKT_Pi ; -- Begin function _Z11rank_kernelIxLj4ELb0EL18RadixRankAlgorithm2ELj128ELj1ELj10EEvPKT_Pi
	.globl	_Z11rank_kernelIxLj4ELb0EL18RadixRankAlgorithm2ELj128ELj1ELj10EEvPKT_Pi
	.p2align	8
	.type	_Z11rank_kernelIxLj4ELb0EL18RadixRankAlgorithm2ELj128ELj1ELj10EEvPKT_Pi,@function
_Z11rank_kernelIxLj4ELb0EL18RadixRankAlgorithm2ELj128ELj1ELj10EEvPKT_Pi: ; @_Z11rank_kernelIxLj4ELb0EL18RadixRankAlgorithm2ELj128ELj1ELj10EEvPKT_Pi
; %bb.0:
	s_load_dwordx4 s[24:27], s[4:5], 0x0
	s_load_dword s20, s[4:5], 0x1c
	s_lshl_b32 s28, s6, 7
	s_mov_b32 s29, 0
	s_lshl_b64 s[0:1], s[28:29], 3
	s_waitcnt lgkmcnt(0)
	s_add_u32 s0, s24, s0
	v_and_b32_e32 v2, 0x3ff, v0
	s_addc_u32 s1, s25, s1
	v_lshlrev_b32_e32 v1, 3, v2
	global_load_dwordx2 v[4:5], v1, s[0:1]
	v_mbcnt_lo_u32_b32 v1, -1, 0
	v_mbcnt_hi_u32_b32 v1, -1, v1
	v_add_u32_e32 v11, -1, v1
	v_and_b32_e32 v12, 64, v1
	v_bfe_u32 v7, v0, 10, 10
	v_bfe_u32 v0, v0, 20, 10
	v_cmp_lt_i32_e64 s[18:19], v11, v12
	s_lshr_b32 s21, s20, 16
	v_lshlrev_b32_e32 v3, 2, v2
	v_and_b32_e32 v8, 15, v1
	v_and_b32_e32 v9, 16, v1
	v_cmp_lt_u32_e32 vcc, 31, v1
	v_cmp_eq_u32_e64 s[4:5], 0, v1
	v_lshrrev_b32_e32 v13, 4, v2
	v_and_b32_e32 v14, 1, v1
	v_cndmask_b32_e64 v1, v11, v1, s[18:19]
	s_and_b32 s20, s20, 0xffff
	v_mad_u32_u24 v0, v0, s21, v7
	v_or_b32_e32 v10, 63, v2
	v_cmp_eq_u32_e64 s[6:7], 0, v8
	v_cmp_lt_u32_e64 s[8:9], 1, v8
	v_cmp_lt_u32_e64 s[10:11], 3, v8
	;; [unrolled: 1-line block ×3, first 2 shown]
	v_cmp_eq_u32_e64 s[14:15], 0, v9
	v_and_b32_e32 v8, 4, v13
	v_lshlrev_b32_e32 v9, 2, v1
	v_mad_u64_u32 v[0:1], s[20:21], v0, s20, v[2:3]
	v_mov_b32_e32 v6, 0
	v_cmp_gt_u32_e64 s[0:1], 2, v2
	v_cmp_lt_u32_e64 s[2:3], 63, v2
	v_cmp_eq_u32_e64 s[16:17], v10, v2
	v_cmp_eq_u32_e64 s[18:19], 0, v14
	v_add_u32_e32 v10, -4, v8
	v_lshrrev_b32_e32 v11, 6, v0
	s_mov_b32 s30, s29
	s_waitcnt vmcnt(0)
	v_xor_b32_e32 v5, 0x80000000, v5
	s_branch .LBB92_2
.LBB92_1:                               ;   in Loop: Header=BB92_2 Depth=1
	s_add_i32 s30, s30, 1
	s_cmp_eq_u32 s30, 10
	s_cbranch_scc1 .LBB92_12
.LBB92_2:                               ; =>This Loop Header: Depth=1
                                        ;     Child Loop BB92_4 Depth 2
	s_mov_b64 s[24:25], 60
	s_mov_b32 s31, -4
	s_branch .LBB92_4
.LBB92_3:                               ;   in Loop: Header=BB92_4 Depth=2
	s_or_b64 exec, exec, s[20:21]
	s_waitcnt lgkmcnt(0)
	v_add_u32_e32 v0, v1, v0
	ds_bpermute_b32 v0, v9, v0
	s_add_i32 s31, s31, 4
	s_add_u32 s24, s24, -4
	s_addc_u32 s25, s25, -1
	s_cmp_lt_u32 s31, 60
	s_waitcnt lgkmcnt(0)
	v_cndmask_b32_e64 v0, v0, v1, s[4:5]
	ds_write_b32 v3, v0 offset:8
	s_waitcnt lgkmcnt(0)
	s_barrier
	s_cbranch_scc0 .LBB92_1
.LBB92_4:                               ;   Parent Loop BB92_2 Depth=1
                                        ; =>  This Inner Loop Header: Depth=2
	v_lshlrev_b64 v[0:1], s24, v[4:5]
	v_lshrrev_b32_e32 v13, 28, v1
	v_mad_u32_u24 v7, v13, 3, v11
	v_lshl_add_u32 v12, v7, 2, 8
	v_bfe_u32 v7, v1, 28, 1
	v_add_co_u32_e64 v14, s[20:21], -1, v7
	v_addc_co_u32_e64 v15, s[20:21], 0, -1, s[20:21]
	v_cmp_ne_u32_e64 s[20:21], 0, v7
	v_xor_b32_e32 v7, s21, v15
	v_and_b32_e32 v15, exec_hi, v7
	v_lshlrev_b32_e32 v7, 30, v13
	v_xor_b32_e32 v14, s20, v14
	v_cmp_gt_i64_e64 s[20:21], 0, v[6:7]
	v_not_b32_e32 v7, v7
	v_ashrrev_i32_e32 v7, 31, v7
	v_and_b32_e32 v14, exec_lo, v14
	v_xor_b32_e32 v16, s21, v7
	v_xor_b32_e32 v7, s20, v7
	v_and_b32_e32 v14, v14, v7
	v_lshlrev_b32_e32 v7, 29, v13
	v_cmp_gt_i64_e64 s[20:21], 0, v[6:7]
	v_not_b32_e32 v7, v7
	v_ashrrev_i32_e32 v7, 31, v7
	v_xor_b32_e32 v13, s21, v7
	v_xor_b32_e32 v7, s20, v7
	v_cmp_gt_i64_e64 s[20:21], 0, v[0:1]
	v_not_b32_e32 v0, v1
	v_ashrrev_i32_e32 v0, 31, v0
	v_and_b32_e32 v15, v15, v16
	v_and_b32_e32 v7, v14, v7
	v_xor_b32_e32 v1, s21, v0
	v_xor_b32_e32 v0, s20, v0
	v_and_b32_e32 v13, v15, v13
	v_and_b32_e32 v0, v7, v0
	;; [unrolled: 1-line block ×3, first 2 shown]
	v_mbcnt_lo_u32_b32 v7, v0, 0
	v_mbcnt_hi_u32_b32 v7, v1, v7
	v_cmp_eq_u32_e64 s[20:21], 0, v7
	v_cmp_ne_u64_e64 s[22:23], 0, v[0:1]
	s_and_b64 s[22:23], s[22:23], s[20:21]
	ds_write_b32 v3, v6 offset:8
	s_waitcnt lgkmcnt(0)
	s_barrier
	s_waitcnt lgkmcnt(0)
	; wave barrier
	s_and_saveexec_b64 s[20:21], s[22:23]
	s_cbranch_execz .LBB92_6
; %bb.5:                                ;   in Loop: Header=BB92_4 Depth=2
	v_bcnt_u32_b32 v0, v0, 0
	v_bcnt_u32_b32 v0, v1, v0
	ds_write_b32 v12, v0
.LBB92_6:                               ;   in Loop: Header=BB92_4 Depth=2
	s_or_b64 exec, exec, s[20:21]
	; wave barrier
	s_waitcnt lgkmcnt(0)
	s_barrier
	ds_read_b32 v0, v3 offset:8
	s_waitcnt lgkmcnt(0)
	s_nop 0
	v_mov_b32_dpp v1, v0 row_shr:1 row_mask:0xf bank_mask:0xf
	v_cndmask_b32_e64 v1, v1, 0, s[6:7]
	v_add_u32_e32 v0, v1, v0
	s_nop 1
	v_mov_b32_dpp v1, v0 row_shr:2 row_mask:0xf bank_mask:0xf
	v_cndmask_b32_e64 v1, 0, v1, s[8:9]
	v_add_u32_e32 v0, v0, v1
	;; [unrolled: 4-line block ×4, first 2 shown]
	s_nop 1
	v_mov_b32_dpp v1, v0 row_bcast:15 row_mask:0xf bank_mask:0xf
	v_cndmask_b32_e64 v1, v1, 0, s[14:15]
	v_add_u32_e32 v0, v0, v1
	s_nop 1
	v_mov_b32_dpp v1, v0 row_bcast:31 row_mask:0xf bank_mask:0xf
	v_cndmask_b32_e32 v1, 0, v1, vcc
	v_add_u32_e32 v0, v0, v1
	s_and_saveexec_b64 s[20:21], s[16:17]
	s_cbranch_execz .LBB92_8
; %bb.7:                                ;   in Loop: Header=BB92_4 Depth=2
	ds_write_b32 v8, v0
.LBB92_8:                               ;   in Loop: Header=BB92_4 Depth=2
	s_or_b64 exec, exec, s[20:21]
	s_waitcnt lgkmcnt(0)
	s_barrier
	s_and_saveexec_b64 s[20:21], s[0:1]
	s_cbranch_execz .LBB92_10
; %bb.9:                                ;   in Loop: Header=BB92_4 Depth=2
	ds_read_b32 v1, v3
	s_waitcnt lgkmcnt(0)
	s_nop 0
	v_mov_b32_dpp v13, v1 row_shr:1 row_mask:0xf bank_mask:0xf
	v_cndmask_b32_e64 v13, v13, 0, s[18:19]
	v_add_u32_e32 v1, v13, v1
	ds_write_b32 v3, v1
.LBB92_10:                              ;   in Loop: Header=BB92_4 Depth=2
	s_or_b64 exec, exec, s[20:21]
	v_mov_b32_e32 v1, 0
	s_waitcnt lgkmcnt(0)
	s_barrier
	s_and_saveexec_b64 s[20:21], s[2:3]
	s_cbranch_execz .LBB92_3
; %bb.11:                               ;   in Loop: Header=BB92_4 Depth=2
	ds_read_b32 v1, v10
	s_branch .LBB92_3
.LBB92_12:
	ds_read_b32 v0, v12
	s_lshl_b64 s[0:1], s[28:29], 2
	s_add_u32 s0, s26, s0
	s_addc_u32 s1, s27, s1
	v_lshlrev_b32_e32 v1, 2, v2
	s_waitcnt lgkmcnt(0)
	v_add_u32_e32 v0, v0, v7
	global_store_dword v1, v0, s[0:1]
	s_endpgm
	.section	.rodata,"a",@progbits
	.p2align	6, 0x0
	.amdhsa_kernel _Z11rank_kernelIxLj4ELb0EL18RadixRankAlgorithm2ELj128ELj1ELj10EEvPKT_Pi
		.amdhsa_group_segment_fixed_size 520
		.amdhsa_private_segment_fixed_size 0
		.amdhsa_kernarg_size 272
		.amdhsa_user_sgpr_count 6
		.amdhsa_user_sgpr_private_segment_buffer 1
		.amdhsa_user_sgpr_dispatch_ptr 0
		.amdhsa_user_sgpr_queue_ptr 0
		.amdhsa_user_sgpr_kernarg_segment_ptr 1
		.amdhsa_user_sgpr_dispatch_id 0
		.amdhsa_user_sgpr_flat_scratch_init 0
		.amdhsa_user_sgpr_kernarg_preload_length 0
		.amdhsa_user_sgpr_kernarg_preload_offset 0
		.amdhsa_user_sgpr_private_segment_size 0
		.amdhsa_uses_dynamic_stack 0
		.amdhsa_system_sgpr_private_segment_wavefront_offset 0
		.amdhsa_system_sgpr_workgroup_id_x 1
		.amdhsa_system_sgpr_workgroup_id_y 0
		.amdhsa_system_sgpr_workgroup_id_z 0
		.amdhsa_system_sgpr_workgroup_info 0
		.amdhsa_system_vgpr_workitem_id 2
		.amdhsa_next_free_vgpr 17
		.amdhsa_next_free_sgpr 32
		.amdhsa_accum_offset 20
		.amdhsa_reserve_vcc 1
		.amdhsa_reserve_flat_scratch 0
		.amdhsa_float_round_mode_32 0
		.amdhsa_float_round_mode_16_64 0
		.amdhsa_float_denorm_mode_32 3
		.amdhsa_float_denorm_mode_16_64 3
		.amdhsa_dx10_clamp 1
		.amdhsa_ieee_mode 1
		.amdhsa_fp16_overflow 0
		.amdhsa_tg_split 0
		.amdhsa_exception_fp_ieee_invalid_op 0
		.amdhsa_exception_fp_denorm_src 0
		.amdhsa_exception_fp_ieee_div_zero 0
		.amdhsa_exception_fp_ieee_overflow 0
		.amdhsa_exception_fp_ieee_underflow 0
		.amdhsa_exception_fp_ieee_inexact 0
		.amdhsa_exception_int_div_zero 0
	.end_amdhsa_kernel
	.section	.text._Z11rank_kernelIxLj4ELb0EL18RadixRankAlgorithm2ELj128ELj1ELj10EEvPKT_Pi,"axG",@progbits,_Z11rank_kernelIxLj4ELb0EL18RadixRankAlgorithm2ELj128ELj1ELj10EEvPKT_Pi,comdat
.Lfunc_end92:
	.size	_Z11rank_kernelIxLj4ELb0EL18RadixRankAlgorithm2ELj128ELj1ELj10EEvPKT_Pi, .Lfunc_end92-_Z11rank_kernelIxLj4ELb0EL18RadixRankAlgorithm2ELj128ELj1ELj10EEvPKT_Pi
                                        ; -- End function
	.section	.AMDGPU.csdata,"",@progbits
; Kernel info:
; codeLenInByte = 976
; NumSgprs: 36
; NumVgprs: 17
; NumAgprs: 0
; TotalNumVgprs: 17
; ScratchSize: 0
; MemoryBound: 0
; FloatMode: 240
; IeeeMode: 1
; LDSByteSize: 520 bytes/workgroup (compile time only)
; SGPRBlocks: 4
; VGPRBlocks: 2
; NumSGPRsForWavesPerEU: 36
; NumVGPRsForWavesPerEU: 17
; AccumOffset: 20
; Occupancy: 8
; WaveLimiterHint : 0
; COMPUTE_PGM_RSRC2:SCRATCH_EN: 0
; COMPUTE_PGM_RSRC2:USER_SGPR: 6
; COMPUTE_PGM_RSRC2:TRAP_HANDLER: 0
; COMPUTE_PGM_RSRC2:TGID_X_EN: 1
; COMPUTE_PGM_RSRC2:TGID_Y_EN: 0
; COMPUTE_PGM_RSRC2:TGID_Z_EN: 0
; COMPUTE_PGM_RSRC2:TIDIG_COMP_CNT: 2
; COMPUTE_PGM_RSRC3_GFX90A:ACCUM_OFFSET: 4
; COMPUTE_PGM_RSRC3_GFX90A:TG_SPLIT: 0
	.section	.text._Z11rank_kernelIxLj4ELb0EL18RadixRankAlgorithm0ELj128ELj4ELj10EEvPKT_Pi,"axG",@progbits,_Z11rank_kernelIxLj4ELb0EL18RadixRankAlgorithm0ELj128ELj4ELj10EEvPKT_Pi,comdat
	.protected	_Z11rank_kernelIxLj4ELb0EL18RadixRankAlgorithm0ELj128ELj4ELj10EEvPKT_Pi ; -- Begin function _Z11rank_kernelIxLj4ELb0EL18RadixRankAlgorithm0ELj128ELj4ELj10EEvPKT_Pi
	.globl	_Z11rank_kernelIxLj4ELb0EL18RadixRankAlgorithm0ELj128ELj4ELj10EEvPKT_Pi
	.p2align	8
	.type	_Z11rank_kernelIxLj4ELb0EL18RadixRankAlgorithm0ELj128ELj4ELj10EEvPKT_Pi,@function
_Z11rank_kernelIxLj4ELb0EL18RadixRankAlgorithm0ELj128ELj4ELj10EEvPKT_Pi: ; @_Z11rank_kernelIxLj4ELb0EL18RadixRankAlgorithm0ELj128ELj4ELj10EEvPKT_Pi
; %bb.0:
	s_load_dwordx4 s[20:23], s[4:5], 0x0
	s_lshl_b32 s24, s6, 9
	s_mov_b32 s25, 0
	s_lshl_b64 s[0:1], s[24:25], 3
	v_lshlrev_b32_e32 v11, 5, v0
	s_waitcnt lgkmcnt(0)
	s_add_u32 s0, s20, s0
	s_addc_u32 s1, s21, s1
	global_load_dwordx4 v[2:5], v11, s[0:1]
	global_load_dwordx4 v[6:9], v11, s[0:1] offset:16
	v_mbcnt_lo_u32_b32 v1, -1, 0
	v_mbcnt_hi_u32_b32 v12, -1, v1
	v_or_b32_e32 v13, 63, v0
	v_cmp_eq_u32_e64 s[4:5], v13, v0
	v_add_u32_e32 v13, -1, v12
	v_and_b32_e32 v18, 64, v12
	v_cmp_lt_i32_e64 s[18:19], v13, v18
	v_lshrrev_b32_e32 v15, 4, v0
	v_and_b32_e32 v16, 15, v12
	v_and_b32_e32 v17, 16, v12
	v_cmp_lt_u32_e64 s[2:3], 31, v12
	v_cmp_eq_u32_e64 s[6:7], 0, v12
	v_and_b32_e32 v19, 1, v12
	v_cndmask_b32_e64 v12, v13, v12, s[18:19]
	v_mov_b32_e32 v14, 0
	s_movk_i32 s30, 0x380
	v_lshlrev_b32_e32 v10, 2, v0
	v_cmp_gt_u32_e32 vcc, 2, v0
	v_cmp_lt_u32_e64 s[0:1], 63, v0
	v_or_b32_e32 v1, 0x80, v0
	v_and_b32_e32 v15, 4, v15
	v_cmp_eq_u32_e64 s[8:9], 0, v16
	v_cmp_lt_u32_e64 s[10:11], 1, v16
	v_cmp_lt_u32_e64 s[12:13], 3, v16
	;; [unrolled: 1-line block ×3, first 2 shown]
	v_cmp_eq_u32_e64 s[16:17], 0, v17
	v_cmp_eq_u32_e64 s[18:19], 0, v19
	v_lshlrev_b32_e32 v16, 2, v12
	s_mov_b32 s31, s25
	s_waitcnt vmcnt(1)
	v_xor_b32_e32 v3, 0x80000000, v3
	v_xor_b32_e32 v5, 0x80000000, v5
	s_waitcnt vmcnt(0)
	v_xor_b32_e32 v7, 0x80000000, v7
	v_xor_b32_e32 v9, 0x80000000, v9
	s_branch .LBB93_2
.LBB93_1:                               ;   in Loop: Header=BB93_2 Depth=1
	s_add_i32 s31, s31, 1
	s_cmp_eq_u32 s31, 10
	s_cbranch_scc1 .LBB93_16
.LBB93_2:                               ; =>This Loop Header: Depth=1
                                        ;     Child Loop BB93_4 Depth 2
                                        ;       Child Loop BB93_6 Depth 3
	s_mov_b32 s33, 0
	s_branch .LBB93_4
.LBB93_3:                               ;   in Loop: Header=BB93_4 Depth=2
	s_or_b64 exec, exec, s[20:21]
	s_waitcnt lgkmcnt(0)
	v_add_u32_e32 v23, v24, v23
	ds_bpermute_b32 v23, v16, v23
	ds_read_b32 v26, v14 offset:4100
	s_add_i32 s20, s33, 4
	s_cmp_lt_u32 s33, 60
	s_mov_b32 s33, s20
	s_waitcnt lgkmcnt(1)
	v_cndmask_b32_e64 v23, v23, v24, s[6:7]
	ds_read2_b32 v[24:25], v11 offset1:1
	s_waitcnt lgkmcnt(1)
	v_lshl_add_u32 v23, v26, 16, v23
	ds_read2_b32 v[26:27], v11 offset0:2 offset1:3
	ds_read2_b32 v[28:29], v11 offset0:4 offset1:5
	ds_read_b32 v30, v11 offset:24
	s_waitcnt lgkmcnt(3)
	v_add_u32_e32 v24, v23, v24
	ds_write2_b32 v11, v23, v24 offset1:1
	v_add_u32_e32 v23, v25, v24
	s_waitcnt lgkmcnt(3)
	v_add_u32_e32 v24, v26, v23
	ds_write2_b32 v11, v23, v24 offset0:2 offset1:3
	v_add_u32_e32 v23, v27, v24
	s_waitcnt lgkmcnt(3)
	v_add_u32_e32 v24, v28, v23
	ds_write2_b32 v11, v23, v24 offset0:4 offset1:5
	;; [unrolled: 4-line block ×3, first 2 shown]
	s_waitcnt lgkmcnt(0)
	s_barrier
	s_cbranch_scc0 .LBB93_1
.LBB93_4:                               ;   Parent Loop BB93_2 Depth=1
                                        ; =>  This Loop Header: Depth=2
                                        ;       Child Loop BB93_6 Depth 3
	s_mov_b32 s34, 0
	s_mov_b64 s[20:21], 0
	v_pk_mov_b32 v[12:13], v[0:1], v[0:1] op_sel:[0,1]
	s_branch .LBB93_6
.LBB93_5:                               ;   in Loop: Header=BB93_6 Depth=3
	s_or_b64 exec, exec, s[28:29]
	s_add_i32 s34, s34, 2
	v_cmp_eq_u32_e64 s[26:27], 8, s34
	v_add_u32_e32 v13, 0x100, v13
	s_or_b64 s[20:21], s[26:27], s[20:21]
	v_add_u32_e32 v12, 0x100, v12
	s_andn2_b64 exec, exec, s[20:21]
	s_cbranch_execz .LBB93_10
.LBB93_6:                               ;   Parent Loop BB93_2 Depth=1
                                        ;     Parent Loop BB93_4 Depth=2
                                        ; =>    This Inner Loop Header: Depth=3
	s_or_b32 s26, s34, 1
	v_cmp_le_u32_e64 s[26:27], s26, 7
	v_cmp_le_u32_e64 s[36:37], s34, 7
	s_and_saveexec_b64 s[28:29], s[36:37]
	s_cbranch_execz .LBB93_8
; %bb.7:                                ;   in Loop: Header=BB93_6 Depth=3
	v_lshlrev_b32_e32 v17, 2, v12
	ds_write_b32 v17, v14
.LBB93_8:                               ;   in Loop: Header=BB93_6 Depth=3
	s_or_b64 exec, exec, s[28:29]
	s_and_saveexec_b64 s[28:29], s[26:27]
	s_cbranch_execz .LBB93_5
; %bb.9:                                ;   in Loop: Header=BB93_6 Depth=3
	v_lshlrev_b32_e32 v17, 2, v13
	ds_write_b32 v17, v14
	s_branch .LBB93_5
.LBB93_10:                              ;   in Loop: Header=BB93_4 Depth=2
	s_or_b64 exec, exec, s[20:21]
	s_sub_i32 s20, 60, s33
	v_lshlrev_b64 v[12:13], s20, v[2:3]
	v_lshrrev_b32_e32 v12, 21, v13
	v_lshrrev_b32_e32 v13, 30, v13
	v_and_or_b32 v12, v12, s30, v0
	v_and_b32_e32 v13, 2, v13
	v_lshl_or_b32 v13, v12, 2, v13
	ds_read_u16 v12, v13
	v_lshlrev_b64 v[18:19], s20, v[4:5]
	v_lshrrev_b32_e32 v17, 21, v19
	v_and_or_b32 v17, v17, s30, v0
	v_lshlrev_b64 v[20:21], s20, v[6:7]
	s_waitcnt lgkmcnt(0)
	v_add_u16_e32 v18, 1, v12
	ds_write_b16 v13, v18
	v_lshrrev_b32_e32 v18, 30, v19
	v_and_b32_e32 v18, 2, v18
	v_lshl_or_b32 v18, v17, 2, v18
	ds_read_u16 v17, v18
	v_lshrrev_b32_e32 v20, 30, v21
	v_and_b32_e32 v20, 2, v20
	v_lshlrev_b64 v[22:23], s20, v[8:9]
	v_lshrrev_b32_e32 v22, 30, v23
	s_waitcnt lgkmcnt(0)
	v_add_u16_e32 v19, 1, v17
	ds_write_b16 v18, v19
	v_lshrrev_b32_e32 v19, 21, v21
	v_and_or_b32 v19, v19, s30, v0
	v_lshl_or_b32 v20, v19, 2, v20
	ds_read_u16 v19, v20
	v_and_b32_e32 v22, 2, v22
	s_waitcnt lgkmcnt(0)
	v_add_u16_e32 v21, 1, v19
	ds_write_b16 v20, v21
	v_lshrrev_b32_e32 v21, 21, v23
	v_and_or_b32 v21, v21, s30, v0
	v_lshl_or_b32 v22, v21, 2, v22
	ds_read_u16 v21, v22
	s_waitcnt lgkmcnt(0)
	v_add_u16_e32 v23, 1, v21
	ds_write_b16 v22, v23
	s_waitcnt lgkmcnt(0)
	s_barrier
	ds_read2_b32 v[24:25], v11 offset1:1
	ds_read2_b32 v[26:27], v11 offset0:2 offset1:3
	ds_read2_b32 v[28:29], v11 offset0:4 offset1:5
	;; [unrolled: 1-line block ×3, first 2 shown]
	s_waitcnt lgkmcnt(3)
	v_add_u32_e32 v23, v25, v24
	s_waitcnt lgkmcnt(2)
	v_add3_u32 v23, v23, v26, v27
	s_waitcnt lgkmcnt(1)
	v_add3_u32 v23, v23, v28, v29
	;; [unrolled: 2-line block ×3, first 2 shown]
	s_nop 1
	v_mov_b32_dpp v24, v23 row_shr:1 row_mask:0xf bank_mask:0xf
	v_cndmask_b32_e64 v24, v24, 0, s[8:9]
	v_add_u32_e32 v23, v24, v23
	s_nop 1
	v_mov_b32_dpp v24, v23 row_shr:2 row_mask:0xf bank_mask:0xf
	v_cndmask_b32_e64 v24, 0, v24, s[10:11]
	v_add_u32_e32 v23, v23, v24
	;; [unrolled: 4-line block ×4, first 2 shown]
	s_nop 1
	v_mov_b32_dpp v24, v23 row_bcast:15 row_mask:0xf bank_mask:0xf
	v_cndmask_b32_e64 v24, v24, 0, s[16:17]
	v_add_u32_e32 v23, v23, v24
	s_nop 1
	v_mov_b32_dpp v24, v23 row_bcast:31 row_mask:0xf bank_mask:0xf
	v_cndmask_b32_e64 v24, 0, v24, s[2:3]
	v_add_u32_e32 v23, v23, v24
	s_and_saveexec_b64 s[20:21], s[4:5]
	s_cbranch_execz .LBB93_12
; %bb.11:                               ;   in Loop: Header=BB93_4 Depth=2
	ds_write_b32 v15, v23 offset:4096
.LBB93_12:                              ;   in Loop: Header=BB93_4 Depth=2
	s_or_b64 exec, exec, s[20:21]
	s_waitcnt lgkmcnt(0)
	s_barrier
	s_and_saveexec_b64 s[20:21], vcc
	s_cbranch_execz .LBB93_14
; %bb.13:                               ;   in Loop: Header=BB93_4 Depth=2
	ds_read_b32 v24, v10 offset:4096
	s_waitcnt lgkmcnt(0)
	s_nop 0
	v_mov_b32_dpp v25, v24 row_shr:1 row_mask:0xf bank_mask:0xf
	v_cndmask_b32_e64 v25, v25, 0, s[18:19]
	v_add_u32_e32 v24, v25, v24
	ds_write_b32 v10, v24 offset:4096
.LBB93_14:                              ;   in Loop: Header=BB93_4 Depth=2
	s_or_b64 exec, exec, s[20:21]
	v_mov_b32_e32 v24, 0
	s_waitcnt lgkmcnt(0)
	s_barrier
	s_and_saveexec_b64 s[20:21], s[0:1]
	s_cbranch_execz .LBB93_3
; %bb.15:                               ;   in Loop: Header=BB93_4 Depth=2
	ds_read_b32 v24, v15 offset:4092
	s_branch .LBB93_3
.LBB93_16:
	ds_read_u16 v0, v13
	ds_read_u16 v1, v18
	;; [unrolled: 1-line block ×4, first 2 shown]
	s_lshl_b64 s[0:1], s[24:25], 2
	s_add_u32 s0, s22, s0
	s_waitcnt lgkmcnt(3)
	v_add_u32_sdwa v0, v0, v12 dst_sel:DWORD dst_unused:UNUSED_PAD src0_sel:DWORD src1_sel:WORD_0
	s_waitcnt lgkmcnt(2)
	v_add_u32_sdwa v1, v1, v17 dst_sel:DWORD dst_unused:UNUSED_PAD src0_sel:DWORD src1_sel:WORD_0
	s_waitcnt lgkmcnt(1)
	v_add_u32_sdwa v2, v2, v19 dst_sel:DWORD dst_unused:UNUSED_PAD src0_sel:DWORD src1_sel:WORD_0
	s_waitcnt lgkmcnt(0)
	v_add_u32_sdwa v3, v3, v21 dst_sel:DWORD dst_unused:UNUSED_PAD src0_sel:DWORD src1_sel:WORD_0
	s_addc_u32 s1, s23, s1
	v_lshlrev_b32_e32 v4, 2, v10
	global_store_dwordx4 v4, v[0:3], s[0:1]
	s_endpgm
	.section	.rodata,"a",@progbits
	.p2align	6, 0x0
	.amdhsa_kernel _Z11rank_kernelIxLj4ELb0EL18RadixRankAlgorithm0ELj128ELj4ELj10EEvPKT_Pi
		.amdhsa_group_segment_fixed_size 4104
		.amdhsa_private_segment_fixed_size 0
		.amdhsa_kernarg_size 16
		.amdhsa_user_sgpr_count 6
		.amdhsa_user_sgpr_private_segment_buffer 1
		.amdhsa_user_sgpr_dispatch_ptr 0
		.amdhsa_user_sgpr_queue_ptr 0
		.amdhsa_user_sgpr_kernarg_segment_ptr 1
		.amdhsa_user_sgpr_dispatch_id 0
		.amdhsa_user_sgpr_flat_scratch_init 0
		.amdhsa_user_sgpr_kernarg_preload_length 0
		.amdhsa_user_sgpr_kernarg_preload_offset 0
		.amdhsa_user_sgpr_private_segment_size 0
		.amdhsa_uses_dynamic_stack 0
		.amdhsa_system_sgpr_private_segment_wavefront_offset 0
		.amdhsa_system_sgpr_workgroup_id_x 1
		.amdhsa_system_sgpr_workgroup_id_y 0
		.amdhsa_system_sgpr_workgroup_id_z 0
		.amdhsa_system_sgpr_workgroup_info 0
		.amdhsa_system_vgpr_workitem_id 0
		.amdhsa_next_free_vgpr 32
		.amdhsa_next_free_sgpr 38
		.amdhsa_accum_offset 32
		.amdhsa_reserve_vcc 1
		.amdhsa_reserve_flat_scratch 0
		.amdhsa_float_round_mode_32 0
		.amdhsa_float_round_mode_16_64 0
		.amdhsa_float_denorm_mode_32 3
		.amdhsa_float_denorm_mode_16_64 3
		.amdhsa_dx10_clamp 1
		.amdhsa_ieee_mode 1
		.amdhsa_fp16_overflow 0
		.amdhsa_tg_split 0
		.amdhsa_exception_fp_ieee_invalid_op 0
		.amdhsa_exception_fp_denorm_src 0
		.amdhsa_exception_fp_ieee_div_zero 0
		.amdhsa_exception_fp_ieee_overflow 0
		.amdhsa_exception_fp_ieee_underflow 0
		.amdhsa_exception_fp_ieee_inexact 0
		.amdhsa_exception_int_div_zero 0
	.end_amdhsa_kernel
	.section	.text._Z11rank_kernelIxLj4ELb0EL18RadixRankAlgorithm0ELj128ELj4ELj10EEvPKT_Pi,"axG",@progbits,_Z11rank_kernelIxLj4ELb0EL18RadixRankAlgorithm0ELj128ELj4ELj10EEvPKT_Pi,comdat
.Lfunc_end93:
	.size	_Z11rank_kernelIxLj4ELb0EL18RadixRankAlgorithm0ELj128ELj4ELj10EEvPKT_Pi, .Lfunc_end93-_Z11rank_kernelIxLj4ELb0EL18RadixRankAlgorithm0ELj128ELj4ELj10EEvPKT_Pi
                                        ; -- End function
	.section	.AMDGPU.csdata,"",@progbits
; Kernel info:
; codeLenInByte = 1308
; NumSgprs: 42
; NumVgprs: 32
; NumAgprs: 0
; TotalNumVgprs: 32
; ScratchSize: 0
; MemoryBound: 0
; FloatMode: 240
; IeeeMode: 1
; LDSByteSize: 4104 bytes/workgroup (compile time only)
; SGPRBlocks: 5
; VGPRBlocks: 3
; NumSGPRsForWavesPerEU: 42
; NumVGPRsForWavesPerEU: 32
; AccumOffset: 32
; Occupancy: 8
; WaveLimiterHint : 0
; COMPUTE_PGM_RSRC2:SCRATCH_EN: 0
; COMPUTE_PGM_RSRC2:USER_SGPR: 6
; COMPUTE_PGM_RSRC2:TRAP_HANDLER: 0
; COMPUTE_PGM_RSRC2:TGID_X_EN: 1
; COMPUTE_PGM_RSRC2:TGID_Y_EN: 0
; COMPUTE_PGM_RSRC2:TGID_Z_EN: 0
; COMPUTE_PGM_RSRC2:TIDIG_COMP_CNT: 0
; COMPUTE_PGM_RSRC3_GFX90A:ACCUM_OFFSET: 7
; COMPUTE_PGM_RSRC3_GFX90A:TG_SPLIT: 0
	.section	.text._Z11rank_kernelIxLj4ELb0EL18RadixRankAlgorithm1ELj128ELj4ELj10EEvPKT_Pi,"axG",@progbits,_Z11rank_kernelIxLj4ELb0EL18RadixRankAlgorithm1ELj128ELj4ELj10EEvPKT_Pi,comdat
	.protected	_Z11rank_kernelIxLj4ELb0EL18RadixRankAlgorithm1ELj128ELj4ELj10EEvPKT_Pi ; -- Begin function _Z11rank_kernelIxLj4ELb0EL18RadixRankAlgorithm1ELj128ELj4ELj10EEvPKT_Pi
	.globl	_Z11rank_kernelIxLj4ELb0EL18RadixRankAlgorithm1ELj128ELj4ELj10EEvPKT_Pi
	.p2align	8
	.type	_Z11rank_kernelIxLj4ELb0EL18RadixRankAlgorithm1ELj128ELj4ELj10EEvPKT_Pi,@function
_Z11rank_kernelIxLj4ELb0EL18RadixRankAlgorithm1ELj128ELj4ELj10EEvPKT_Pi: ; @_Z11rank_kernelIxLj4ELb0EL18RadixRankAlgorithm1ELj128ELj4ELj10EEvPKT_Pi
; %bb.0:
	s_load_dwordx4 s[20:23], s[4:5], 0x0
	s_lshl_b32 s24, s6, 9
	s_mov_b32 s25, 0
	s_lshl_b64 s[0:1], s[24:25], 3
	v_lshlrev_b32_e32 v11, 5, v0
	s_waitcnt lgkmcnt(0)
	s_add_u32 s0, s20, s0
	s_addc_u32 s1, s21, s1
	global_load_dwordx4 v[2:5], v11, s[0:1]
	global_load_dwordx4 v[6:9], v11, s[0:1] offset:16
	v_mbcnt_lo_u32_b32 v1, -1, 0
	v_mbcnt_hi_u32_b32 v12, -1, v1
	v_or_b32_e32 v13, 63, v0
	v_cmp_eq_u32_e64 s[4:5], v13, v0
	v_add_u32_e32 v13, -1, v12
	v_and_b32_e32 v17, 64, v12
	v_lshrrev_b32_e32 v14, 4, v0
	v_cmp_lt_i32_e64 s[18:19], v13, v17
	v_and_b32_e32 v15, 15, v12
	v_and_b32_e32 v16, 16, v12
	v_cmp_lt_u32_e64 s[2:3], 31, v12
	v_cmp_eq_u32_e64 s[6:7], 0, v12
	v_and_b32_e32 v21, 4, v14
	v_and_b32_e32 v14, 1, v12
	v_cndmask_b32_e64 v12, v13, v12, s[18:19]
	v_mov_b32_e32 v20, 0
	s_movk_i32 s30, 0x380
	v_lshlrev_b32_e32 v10, 2, v0
	v_cmp_gt_u32_e32 vcc, 2, v0
	v_cmp_lt_u32_e64 s[0:1], 63, v0
	v_or_b32_e32 v1, 0x80, v0
	v_cmp_eq_u32_e64 s[8:9], 0, v15
	v_cmp_lt_u32_e64 s[10:11], 1, v15
	v_cmp_lt_u32_e64 s[12:13], 3, v15
	;; [unrolled: 1-line block ×3, first 2 shown]
	v_cmp_eq_u32_e64 s[16:17], 0, v16
	v_cmp_eq_u32_e64 s[18:19], 0, v14
	v_lshlrev_b32_e32 v22, 2, v12
	s_mov_b32 s31, s25
	s_waitcnt vmcnt(1)
	v_xor_b32_e32 v3, 0x80000000, v3
	v_xor_b32_e32 v5, 0x80000000, v5
	s_waitcnt vmcnt(0)
	v_xor_b32_e32 v7, 0x80000000, v7
	v_xor_b32_e32 v9, 0x80000000, v9
	s_branch .LBB94_2
.LBB94_1:                               ;   in Loop: Header=BB94_2 Depth=1
	s_add_i32 s31, s31, 1
	s_cmp_eq_u32 s31, 10
	s_cbranch_scc1 .LBB94_16
.LBB94_2:                               ; =>This Loop Header: Depth=1
                                        ;     Child Loop BB94_4 Depth 2
                                        ;       Child Loop BB94_6 Depth 3
	s_mov_b32 s33, 0
	s_branch .LBB94_4
.LBB94_3:                               ;   in Loop: Header=BB94_4 Depth=2
	s_or_b64 exec, exec, s[20:21]
	s_waitcnt lgkmcnt(0)
	v_add_u32_e32 v13, v31, v13
	ds_bpermute_b32 v13, v22, v13
	ds_read_b32 v32, v20 offset:4100
	s_add_i32 s20, s33, 4
	s_cmp_lt_u32 s33, 60
	s_mov_b32 s33, s20
	s_waitcnt lgkmcnt(1)
	v_cndmask_b32_e64 v13, v13, v31, s[6:7]
	s_waitcnt lgkmcnt(0)
	v_lshl_add_u32 v13, v32, 16, v13
	v_add_u32_e32 v18, v13, v18
	v_add_u32_e32 v19, v18, v19
	ds_write2_b32 v11, v13, v18 offset1:1
	v_add_u32_e32 v13, v19, v16
	v_add_u32_e32 v16, v13, v17
	ds_write2_b32 v11, v19, v13 offset0:2 offset1:3
	v_add_u32_e32 v13, v16, v14
	v_add_u32_e32 v14, v13, v15
	;; [unrolled: 1-line block ×3, first 2 shown]
	ds_write2_b32 v11, v16, v13 offset0:4 offset1:5
	ds_write2_b32 v11, v14, v12 offset0:6 offset1:7
	s_waitcnt lgkmcnt(0)
	s_barrier
	s_cbranch_scc0 .LBB94_1
.LBB94_4:                               ;   Parent Loop BB94_2 Depth=1
                                        ; =>  This Loop Header: Depth=2
                                        ;       Child Loop BB94_6 Depth 3
	s_mov_b32 s34, 0
	s_mov_b64 s[20:21], 0
	v_pk_mov_b32 v[12:13], v[0:1], v[0:1] op_sel:[0,1]
	s_branch .LBB94_6
.LBB94_5:                               ;   in Loop: Header=BB94_6 Depth=3
	s_or_b64 exec, exec, s[28:29]
	s_add_i32 s34, s34, 2
	v_cmp_eq_u32_e64 s[26:27], 8, s34
	v_add_u32_e32 v13, 0x100, v13
	s_or_b64 s[20:21], s[26:27], s[20:21]
	v_add_u32_e32 v12, 0x100, v12
	s_andn2_b64 exec, exec, s[20:21]
	s_cbranch_execz .LBB94_10
.LBB94_6:                               ;   Parent Loop BB94_2 Depth=1
                                        ;     Parent Loop BB94_4 Depth=2
                                        ; =>    This Inner Loop Header: Depth=3
	s_or_b32 s26, s34, 1
	v_cmp_le_u32_e64 s[26:27], s26, 7
	v_cmp_le_u32_e64 s[36:37], s34, 7
	s_and_saveexec_b64 s[28:29], s[36:37]
	s_cbranch_execz .LBB94_8
; %bb.7:                                ;   in Loop: Header=BB94_6 Depth=3
	v_lshlrev_b32_e32 v14, 2, v12
	ds_write_b32 v14, v20
.LBB94_8:                               ;   in Loop: Header=BB94_6 Depth=3
	s_or_b64 exec, exec, s[28:29]
	s_and_saveexec_b64 s[28:29], s[26:27]
	s_cbranch_execz .LBB94_5
; %bb.9:                                ;   in Loop: Header=BB94_6 Depth=3
	v_lshlrev_b32_e32 v14, 2, v13
	ds_write_b32 v14, v20
	s_branch .LBB94_5
.LBB94_10:                              ;   in Loop: Header=BB94_4 Depth=2
	s_or_b64 exec, exec, s[20:21]
	s_sub_i32 s20, 60, s33
	v_lshlrev_b64 v[12:13], s20, v[2:3]
	v_lshrrev_b32_e32 v12, 21, v13
	v_lshrrev_b32_e32 v13, 30, v13
	v_and_or_b32 v12, v12, s30, v0
	v_and_b32_e32 v13, 2, v13
	v_lshl_or_b32 v24, v12, 2, v13
	ds_read_u16 v23, v24
	v_lshlrev_b64 v[12:13], s20, v[4:5]
	v_lshrrev_b32_e32 v12, 21, v13
	v_lshrrev_b32_e32 v13, 30, v13
	v_and_or_b32 v12, v12, s30, v0
	s_waitcnt lgkmcnt(0)
	v_add_u16_e32 v14, 1, v23
	v_and_b32_e32 v13, 2, v13
	ds_write_b16 v24, v14
	v_lshl_or_b32 v26, v12, 2, v13
	ds_read_u16 v25, v26
	s_waitcnt lgkmcnt(0)
	v_add_u16_e32 v12, 1, v25
	ds_write_b16 v26, v12
	v_lshlrev_b64 v[12:13], s20, v[6:7]
	v_lshrrev_b32_e32 v12, 21, v13
	v_lshrrev_b32_e32 v13, 30, v13
	v_and_or_b32 v12, v12, s30, v0
	v_and_b32_e32 v13, 2, v13
	v_lshl_or_b32 v28, v12, 2, v13
	ds_read_u16 v27, v28
	s_waitcnt lgkmcnt(0)
	v_add_u16_e32 v12, 1, v27
	ds_write_b16 v28, v12
	v_lshlrev_b64 v[12:13], s20, v[8:9]
	v_lshrrev_b32_e32 v12, 21, v13
	v_lshrrev_b32_e32 v13, 30, v13
	v_and_or_b32 v12, v12, s30, v0
	v_and_b32_e32 v13, 2, v13
	v_lshl_or_b32 v30, v12, 2, v13
	ds_read_u16 v29, v30
	s_waitcnt lgkmcnt(0)
	v_add_u16_e32 v12, 1, v29
	ds_write_b16 v30, v12
	s_waitcnt lgkmcnt(0)
	s_barrier
	ds_read2_b32 v[18:19], v11 offset1:1
	ds_read2_b32 v[16:17], v11 offset0:2 offset1:3
	ds_read2_b32 v[14:15], v11 offset0:4 offset1:5
	;; [unrolled: 1-line block ×3, first 2 shown]
	s_waitcnt lgkmcnt(3)
	v_add_u32_e32 v31, v19, v18
	s_waitcnt lgkmcnt(2)
	v_add3_u32 v31, v31, v16, v17
	s_waitcnt lgkmcnt(1)
	v_add3_u32 v31, v31, v14, v15
	;; [unrolled: 2-line block ×3, first 2 shown]
	s_nop 1
	v_mov_b32_dpp v31, v13 row_shr:1 row_mask:0xf bank_mask:0xf
	v_cndmask_b32_e64 v31, v31, 0, s[8:9]
	v_add_u32_e32 v13, v31, v13
	s_nop 1
	v_mov_b32_dpp v31, v13 row_shr:2 row_mask:0xf bank_mask:0xf
	v_cndmask_b32_e64 v31, 0, v31, s[10:11]
	v_add_u32_e32 v13, v13, v31
	s_nop 1
	v_mov_b32_dpp v31, v13 row_shr:4 row_mask:0xf bank_mask:0xf
	v_cndmask_b32_e64 v31, 0, v31, s[12:13]
	v_add_u32_e32 v13, v13, v31
	s_nop 1
	v_mov_b32_dpp v31, v13 row_shr:8 row_mask:0xf bank_mask:0xf
	v_cndmask_b32_e64 v31, 0, v31, s[14:15]
	v_add_u32_e32 v13, v13, v31
	s_nop 1
	v_mov_b32_dpp v31, v13 row_bcast:15 row_mask:0xf bank_mask:0xf
	v_cndmask_b32_e64 v31, v31, 0, s[16:17]
	v_add_u32_e32 v13, v13, v31
	s_nop 1
	v_mov_b32_dpp v31, v13 row_bcast:31 row_mask:0xf bank_mask:0xf
	v_cndmask_b32_e64 v31, 0, v31, s[2:3]
	v_add_u32_e32 v13, v13, v31
	s_and_saveexec_b64 s[20:21], s[4:5]
	s_cbranch_execz .LBB94_12
; %bb.11:                               ;   in Loop: Header=BB94_4 Depth=2
	ds_write_b32 v21, v13 offset:4096
.LBB94_12:                              ;   in Loop: Header=BB94_4 Depth=2
	s_or_b64 exec, exec, s[20:21]
	s_waitcnt lgkmcnt(0)
	s_barrier
	s_and_saveexec_b64 s[20:21], vcc
	s_cbranch_execz .LBB94_14
; %bb.13:                               ;   in Loop: Header=BB94_4 Depth=2
	ds_read_b32 v31, v10 offset:4096
	s_waitcnt lgkmcnt(0)
	s_nop 0
	v_mov_b32_dpp v32, v31 row_shr:1 row_mask:0xf bank_mask:0xf
	v_cndmask_b32_e64 v32, v32, 0, s[18:19]
	v_add_u32_e32 v31, v32, v31
	ds_write_b32 v10, v31 offset:4096
.LBB94_14:                              ;   in Loop: Header=BB94_4 Depth=2
	s_or_b64 exec, exec, s[20:21]
	v_mov_b32_e32 v31, 0
	s_waitcnt lgkmcnt(0)
	s_barrier
	s_and_saveexec_b64 s[20:21], s[0:1]
	s_cbranch_execz .LBB94_3
; %bb.15:                               ;   in Loop: Header=BB94_4 Depth=2
	ds_read_b32 v31, v21 offset:4092
	s_branch .LBB94_3
.LBB94_16:
	ds_read_u16 v0, v24
	ds_read_u16 v1, v26
	;; [unrolled: 1-line block ×4, first 2 shown]
	s_lshl_b64 s[0:1], s[24:25], 2
	s_add_u32 s0, s22, s0
	s_waitcnt lgkmcnt(3)
	v_add_u32_sdwa v0, v0, v23 dst_sel:DWORD dst_unused:UNUSED_PAD src0_sel:DWORD src1_sel:WORD_0
	s_waitcnt lgkmcnt(2)
	v_add_u32_sdwa v1, v1, v25 dst_sel:DWORD dst_unused:UNUSED_PAD src0_sel:DWORD src1_sel:WORD_0
	;; [unrolled: 2-line block ×4, first 2 shown]
	s_addc_u32 s1, s23, s1
	v_lshlrev_b32_e32 v4, 2, v10
	global_store_dwordx4 v4, v[0:3], s[0:1]
	s_endpgm
	.section	.rodata,"a",@progbits
	.p2align	6, 0x0
	.amdhsa_kernel _Z11rank_kernelIxLj4ELb0EL18RadixRankAlgorithm1ELj128ELj4ELj10EEvPKT_Pi
		.amdhsa_group_segment_fixed_size 4104
		.amdhsa_private_segment_fixed_size 0
		.amdhsa_kernarg_size 16
		.amdhsa_user_sgpr_count 6
		.amdhsa_user_sgpr_private_segment_buffer 1
		.amdhsa_user_sgpr_dispatch_ptr 0
		.amdhsa_user_sgpr_queue_ptr 0
		.amdhsa_user_sgpr_kernarg_segment_ptr 1
		.amdhsa_user_sgpr_dispatch_id 0
		.amdhsa_user_sgpr_flat_scratch_init 0
		.amdhsa_user_sgpr_kernarg_preload_length 0
		.amdhsa_user_sgpr_kernarg_preload_offset 0
		.amdhsa_user_sgpr_private_segment_size 0
		.amdhsa_uses_dynamic_stack 0
		.amdhsa_system_sgpr_private_segment_wavefront_offset 0
		.amdhsa_system_sgpr_workgroup_id_x 1
		.amdhsa_system_sgpr_workgroup_id_y 0
		.amdhsa_system_sgpr_workgroup_id_z 0
		.amdhsa_system_sgpr_workgroup_info 0
		.amdhsa_system_vgpr_workitem_id 0
		.amdhsa_next_free_vgpr 33
		.amdhsa_next_free_sgpr 38
		.amdhsa_accum_offset 36
		.amdhsa_reserve_vcc 1
		.amdhsa_reserve_flat_scratch 0
		.amdhsa_float_round_mode_32 0
		.amdhsa_float_round_mode_16_64 0
		.amdhsa_float_denorm_mode_32 3
		.amdhsa_float_denorm_mode_16_64 3
		.amdhsa_dx10_clamp 1
		.amdhsa_ieee_mode 1
		.amdhsa_fp16_overflow 0
		.amdhsa_tg_split 0
		.amdhsa_exception_fp_ieee_invalid_op 0
		.amdhsa_exception_fp_denorm_src 0
		.amdhsa_exception_fp_ieee_div_zero 0
		.amdhsa_exception_fp_ieee_overflow 0
		.amdhsa_exception_fp_ieee_underflow 0
		.amdhsa_exception_fp_ieee_inexact 0
		.amdhsa_exception_int_div_zero 0
	.end_amdhsa_kernel
	.section	.text._Z11rank_kernelIxLj4ELb0EL18RadixRankAlgorithm1ELj128ELj4ELj10EEvPKT_Pi,"axG",@progbits,_Z11rank_kernelIxLj4ELb0EL18RadixRankAlgorithm1ELj128ELj4ELj10EEvPKT_Pi,comdat
.Lfunc_end94:
	.size	_Z11rank_kernelIxLj4ELb0EL18RadixRankAlgorithm1ELj128ELj4ELj10EEvPKT_Pi, .Lfunc_end94-_Z11rank_kernelIxLj4ELb0EL18RadixRankAlgorithm1ELj128ELj4ELj10EEvPKT_Pi
                                        ; -- End function
	.section	.AMDGPU.csdata,"",@progbits
; Kernel info:
; codeLenInByte = 1260
; NumSgprs: 42
; NumVgprs: 33
; NumAgprs: 0
; TotalNumVgprs: 33
; ScratchSize: 0
; MemoryBound: 0
; FloatMode: 240
; IeeeMode: 1
; LDSByteSize: 4104 bytes/workgroup (compile time only)
; SGPRBlocks: 5
; VGPRBlocks: 4
; NumSGPRsForWavesPerEU: 42
; NumVGPRsForWavesPerEU: 33
; AccumOffset: 36
; Occupancy: 8
; WaveLimiterHint : 0
; COMPUTE_PGM_RSRC2:SCRATCH_EN: 0
; COMPUTE_PGM_RSRC2:USER_SGPR: 6
; COMPUTE_PGM_RSRC2:TRAP_HANDLER: 0
; COMPUTE_PGM_RSRC2:TGID_X_EN: 1
; COMPUTE_PGM_RSRC2:TGID_Y_EN: 0
; COMPUTE_PGM_RSRC2:TGID_Z_EN: 0
; COMPUTE_PGM_RSRC2:TIDIG_COMP_CNT: 0
; COMPUTE_PGM_RSRC3_GFX90A:ACCUM_OFFSET: 8
; COMPUTE_PGM_RSRC3_GFX90A:TG_SPLIT: 0
	.section	.text._Z11rank_kernelIxLj4ELb0EL18RadixRankAlgorithm2ELj128ELj4ELj10EEvPKT_Pi,"axG",@progbits,_Z11rank_kernelIxLj4ELb0EL18RadixRankAlgorithm2ELj128ELj4ELj10EEvPKT_Pi,comdat
	.protected	_Z11rank_kernelIxLj4ELb0EL18RadixRankAlgorithm2ELj128ELj4ELj10EEvPKT_Pi ; -- Begin function _Z11rank_kernelIxLj4ELb0EL18RadixRankAlgorithm2ELj128ELj4ELj10EEvPKT_Pi
	.globl	_Z11rank_kernelIxLj4ELb0EL18RadixRankAlgorithm2ELj128ELj4ELj10EEvPKT_Pi
	.p2align	8
	.type	_Z11rank_kernelIxLj4ELb0EL18RadixRankAlgorithm2ELj128ELj4ELj10EEvPKT_Pi,@function
_Z11rank_kernelIxLj4ELb0EL18RadixRankAlgorithm2ELj128ELj4ELj10EEvPKT_Pi: ; @_Z11rank_kernelIxLj4ELb0EL18RadixRankAlgorithm2ELj128ELj4ELj10EEvPKT_Pi
; %bb.0:
	s_load_dwordx4 s[24:27], s[4:5], 0x0
	s_load_dword s20, s[4:5], 0x1c
	s_lshl_b32 s28, s6, 9
	s_mov_b32 s29, 0
	s_lshl_b64 s[0:1], s[28:29], 3
	s_waitcnt lgkmcnt(0)
	s_add_u32 s0, s24, s0
	v_and_b32_e32 v12, 0x3ff, v0
	s_addc_u32 s1, s25, s1
	v_lshlrev_b32_e32 v1, 5, v12
	global_load_dwordx4 v[2:5], v1, s[0:1]
	global_load_dwordx4 v[6:9], v1, s[0:1] offset:16
	v_mbcnt_lo_u32_b32 v1, -1, 0
	v_mbcnt_hi_u32_b32 v1, -1, v1
	v_bfe_u32 v11, v0, 10, 10
	v_bfe_u32 v13, v0, 20, 10
	v_add_u32_e32 v17, -1, v1
	v_and_b32_e32 v18, 64, v1
	s_lshr_b32 s21, s20, 16
	v_and_b32_e32 v14, 15, v1
	v_or_b32_e32 v16, 63, v12
	v_lshrrev_b32_e32 v19, 4, v12
	v_cmp_lt_i32_e64 s[18:19], v17, v18
	s_and_b32 s20, s20, 0xffff
	v_mad_u32_u24 v11, v13, s21, v11
	v_lshlrev_b32_e32 v0, 2, v12
	v_and_b32_e32 v15, 16, v1
	v_cmp_lt_u32_e32 vcc, 31, v1
	v_cmp_gt_u32_e64 s[0:1], 2, v12
	v_cmp_lt_u32_e64 s[2:3], 63, v12
	v_cmp_eq_u32_e64 s[4:5], 0, v1
	v_and_b32_e32 v20, 1, v1
	v_cmp_eq_u32_e64 s[6:7], 0, v14
	v_cmp_lt_u32_e64 s[8:9], 1, v14
	v_cmp_lt_u32_e64 s[10:11], 3, v14
	v_cmp_lt_u32_e64 s[12:13], 7, v14
	v_cmp_eq_u32_e64 s[16:17], v16, v12
	v_cndmask_b32_e64 v14, v17, v1, s[18:19]
	v_and_b32_e32 v1, 4, v19
	v_mad_u64_u32 v[12:13], s[20:21], v11, s20, v[12:13]
	v_mov_b32_e32 v10, 0
	v_cmp_eq_u32_e64 s[14:15], 0, v15
	v_cmp_eq_u32_e64 s[18:19], 0, v20
	v_lshlrev_b32_e32 v14, 2, v14
	v_add_u32_e32 v15, -4, v1
	v_lshrrev_b32_e32 v16, 6, v12
	s_mov_b32 s30, s29
	s_waitcnt vmcnt(1)
	v_xor_b32_e32 v3, 0x80000000, v3
	v_xor_b32_e32 v5, 0x80000000, v5
	s_waitcnt vmcnt(0)
	v_xor_b32_e32 v7, 0x80000000, v7
	v_xor_b32_e32 v9, 0x80000000, v9
	s_branch .LBB95_2
.LBB95_1:                               ;   in Loop: Header=BB95_2 Depth=1
	s_add_i32 s30, s30, 1
	s_cmp_eq_u32 s30, 10
	s_cbranch_scc1 .LBB95_18
.LBB95_2:                               ; =>This Loop Header: Depth=1
                                        ;     Child Loop BB95_4 Depth 2
	s_mov_b64 s[24:25], 60
	s_mov_b32 s31, -4
	s_branch .LBB95_4
.LBB95_3:                               ;   in Loop: Header=BB95_4 Depth=2
	s_or_b64 exec, exec, s[20:21]
	s_waitcnt lgkmcnt(0)
	v_add_u32_e32 v12, v13, v12
	ds_bpermute_b32 v12, v14, v12
	s_add_i32 s31, s31, 4
	s_add_u32 s24, s24, -4
	s_addc_u32 s25, s25, -1
	s_cmp_lt_u32 s31, 60
	s_waitcnt lgkmcnt(0)
	v_cndmask_b32_e64 v12, v12, v13, s[4:5]
	ds_write_b32 v0, v12 offset:8
	s_waitcnt lgkmcnt(0)
	s_barrier
	s_cbranch_scc0 .LBB95_1
.LBB95_4:                               ;   Parent Loop BB95_2 Depth=1
                                        ; =>  This Inner Loop Header: Depth=2
	v_lshlrev_b64 v[12:13], s24, v[2:3]
	v_lshrrev_b32_e32 v18, 28, v13
	v_mad_u32_u24 v11, v18, 3, v16
	v_lshl_add_u32 v17, v11, 2, 8
	v_bfe_u32 v11, v13, 28, 1
	v_add_co_u32_e64 v19, s[20:21], -1, v11
	v_addc_co_u32_e64 v20, s[20:21], 0, -1, s[20:21]
	v_cmp_ne_u32_e64 s[20:21], 0, v11
	v_xor_b32_e32 v11, s21, v20
	v_and_b32_e32 v20, exec_hi, v11
	v_lshlrev_b32_e32 v11, 30, v18
	v_xor_b32_e32 v19, s20, v19
	v_cmp_gt_i64_e64 s[20:21], 0, v[10:11]
	v_not_b32_e32 v11, v11
	v_ashrrev_i32_e32 v11, 31, v11
	v_and_b32_e32 v19, exec_lo, v19
	v_xor_b32_e32 v21, s21, v11
	v_xor_b32_e32 v11, s20, v11
	v_and_b32_e32 v19, v19, v11
	v_lshlrev_b32_e32 v11, 29, v18
	v_cmp_gt_i64_e64 s[20:21], 0, v[10:11]
	v_not_b32_e32 v11, v11
	v_ashrrev_i32_e32 v11, 31, v11
	v_xor_b32_e32 v18, s21, v11
	v_xor_b32_e32 v11, s20, v11
	v_cmp_gt_i64_e64 s[20:21], 0, v[12:13]
	v_not_b32_e32 v12, v13
	v_ashrrev_i32_e32 v12, 31, v12
	v_and_b32_e32 v20, v20, v21
	v_and_b32_e32 v11, v19, v11
	v_xor_b32_e32 v13, s21, v12
	v_xor_b32_e32 v12, s20, v12
	v_and_b32_e32 v18, v20, v18
	v_and_b32_e32 v12, v11, v12
	;; [unrolled: 1-line block ×3, first 2 shown]
	v_mbcnt_lo_u32_b32 v11, v12, 0
	v_mbcnt_hi_u32_b32 v18, v13, v11
	v_cmp_eq_u32_e64 s[20:21], 0, v18
	v_cmp_ne_u64_e64 s[22:23], 0, v[12:13]
	s_and_b64 s[22:23], s[22:23], s[20:21]
	ds_write_b32 v0, v10 offset:8
	s_waitcnt lgkmcnt(0)
	s_barrier
	s_waitcnt lgkmcnt(0)
	; wave barrier
	s_and_saveexec_b64 s[20:21], s[22:23]
	s_cbranch_execz .LBB95_6
; %bb.5:                                ;   in Loop: Header=BB95_4 Depth=2
	v_bcnt_u32_b32 v11, v12, 0
	v_bcnt_u32_b32 v11, v13, v11
	ds_write_b32 v17, v11
.LBB95_6:                               ;   in Loop: Header=BB95_4 Depth=2
	s_or_b64 exec, exec, s[20:21]
	v_lshlrev_b64 v[12:13], s24, v[4:5]
	v_lshrrev_b32_e32 v21, 28, v13
	v_mul_u32_u24_e32 v11, 3, v21
	v_add_lshl_u32 v11, v16, v11, 2
	; wave barrier
	v_add_u32_e32 v20, 8, v11
	ds_read_b32 v19, v11 offset:8
	v_bfe_u32 v11, v13, 28, 1
	v_add_co_u32_e64 v22, s[20:21], -1, v11
	v_addc_co_u32_e64 v23, s[20:21], 0, -1, s[20:21]
	v_cmp_ne_u32_e64 s[20:21], 0, v11
	v_xor_b32_e32 v11, s21, v23
	v_and_b32_e32 v23, exec_hi, v11
	v_lshlrev_b32_e32 v11, 30, v21
	v_xor_b32_e32 v22, s20, v22
	v_cmp_gt_i64_e64 s[20:21], 0, v[10:11]
	v_not_b32_e32 v11, v11
	v_ashrrev_i32_e32 v11, 31, v11
	v_and_b32_e32 v22, exec_lo, v22
	v_xor_b32_e32 v24, s21, v11
	v_xor_b32_e32 v11, s20, v11
	v_and_b32_e32 v22, v22, v11
	v_lshlrev_b32_e32 v11, 29, v21
	v_cmp_gt_i64_e64 s[20:21], 0, v[10:11]
	v_not_b32_e32 v11, v11
	v_ashrrev_i32_e32 v11, 31, v11
	v_xor_b32_e32 v21, s21, v11
	v_xor_b32_e32 v11, s20, v11
	v_cmp_gt_i64_e64 s[20:21], 0, v[12:13]
	v_not_b32_e32 v12, v13
	v_ashrrev_i32_e32 v12, 31, v12
	v_and_b32_e32 v23, v23, v24
	v_and_b32_e32 v11, v22, v11
	v_xor_b32_e32 v13, s21, v12
	v_xor_b32_e32 v12, s20, v12
	v_and_b32_e32 v21, v23, v21
	v_and_b32_e32 v12, v11, v12
	;; [unrolled: 1-line block ×3, first 2 shown]
	v_mbcnt_lo_u32_b32 v11, v12, 0
	v_mbcnt_hi_u32_b32 v21, v13, v11
	v_cmp_eq_u32_e64 s[20:21], 0, v21
	v_cmp_ne_u64_e64 s[22:23], 0, v[12:13]
	s_and_b64 s[22:23], s[22:23], s[20:21]
	; wave barrier
	s_and_saveexec_b64 s[20:21], s[22:23]
	s_cbranch_execz .LBB95_8
; %bb.7:                                ;   in Loop: Header=BB95_4 Depth=2
	v_bcnt_u32_b32 v11, v12, 0
	v_bcnt_u32_b32 v11, v13, v11
	s_waitcnt lgkmcnt(0)
	v_add_u32_e32 v11, v19, v11
	ds_write_b32 v20, v11
.LBB95_8:                               ;   in Loop: Header=BB95_4 Depth=2
	s_or_b64 exec, exec, s[20:21]
	v_lshlrev_b64 v[12:13], s24, v[6:7]
	v_lshrrev_b32_e32 v24, 28, v13
	v_mul_u32_u24_e32 v11, 3, v24
	v_add_lshl_u32 v11, v16, v11, 2
	; wave barrier
	v_add_u32_e32 v23, 8, v11
	ds_read_b32 v22, v11 offset:8
	v_bfe_u32 v11, v13, 28, 1
	v_add_co_u32_e64 v25, s[20:21], -1, v11
	v_addc_co_u32_e64 v26, s[20:21], 0, -1, s[20:21]
	v_cmp_ne_u32_e64 s[20:21], 0, v11
	v_xor_b32_e32 v11, s21, v26
	v_and_b32_e32 v26, exec_hi, v11
	v_lshlrev_b32_e32 v11, 30, v24
	v_xor_b32_e32 v25, s20, v25
	v_cmp_gt_i64_e64 s[20:21], 0, v[10:11]
	v_not_b32_e32 v11, v11
	v_ashrrev_i32_e32 v11, 31, v11
	v_and_b32_e32 v25, exec_lo, v25
	v_xor_b32_e32 v27, s21, v11
	v_xor_b32_e32 v11, s20, v11
	v_and_b32_e32 v25, v25, v11
	v_lshlrev_b32_e32 v11, 29, v24
	v_cmp_gt_i64_e64 s[20:21], 0, v[10:11]
	v_not_b32_e32 v11, v11
	v_ashrrev_i32_e32 v11, 31, v11
	v_xor_b32_e32 v24, s21, v11
	v_xor_b32_e32 v11, s20, v11
	v_cmp_gt_i64_e64 s[20:21], 0, v[12:13]
	v_not_b32_e32 v12, v13
	v_ashrrev_i32_e32 v12, 31, v12
	v_and_b32_e32 v26, v26, v27
	v_and_b32_e32 v11, v25, v11
	v_xor_b32_e32 v13, s21, v12
	v_xor_b32_e32 v12, s20, v12
	v_and_b32_e32 v24, v26, v24
	v_and_b32_e32 v12, v11, v12
	;; [unrolled: 1-line block ×3, first 2 shown]
	v_mbcnt_lo_u32_b32 v11, v12, 0
	v_mbcnt_hi_u32_b32 v24, v13, v11
	v_cmp_eq_u32_e64 s[20:21], 0, v24
	v_cmp_ne_u64_e64 s[22:23], 0, v[12:13]
	s_and_b64 s[22:23], s[22:23], s[20:21]
	; wave barrier
	s_and_saveexec_b64 s[20:21], s[22:23]
	s_cbranch_execz .LBB95_10
; %bb.9:                                ;   in Loop: Header=BB95_4 Depth=2
	v_bcnt_u32_b32 v11, v12, 0
	v_bcnt_u32_b32 v11, v13, v11
	s_waitcnt lgkmcnt(0)
	v_add_u32_e32 v11, v22, v11
	ds_write_b32 v23, v11
.LBB95_10:                              ;   in Loop: Header=BB95_4 Depth=2
	s_or_b64 exec, exec, s[20:21]
	v_lshlrev_b64 v[12:13], s24, v[8:9]
	v_lshrrev_b32_e32 v27, 28, v13
	v_mul_u32_u24_e32 v11, 3, v27
	v_add_lshl_u32 v11, v16, v11, 2
	; wave barrier
	v_add_u32_e32 v26, 8, v11
	ds_read_b32 v25, v11 offset:8
	v_bfe_u32 v11, v13, 28, 1
	v_add_co_u32_e64 v28, s[20:21], -1, v11
	v_addc_co_u32_e64 v29, s[20:21], 0, -1, s[20:21]
	v_cmp_ne_u32_e64 s[20:21], 0, v11
	v_xor_b32_e32 v11, s21, v29
	v_and_b32_e32 v29, exec_hi, v11
	v_lshlrev_b32_e32 v11, 30, v27
	v_xor_b32_e32 v28, s20, v28
	v_cmp_gt_i64_e64 s[20:21], 0, v[10:11]
	v_not_b32_e32 v11, v11
	v_ashrrev_i32_e32 v11, 31, v11
	v_and_b32_e32 v28, exec_lo, v28
	v_xor_b32_e32 v30, s21, v11
	v_xor_b32_e32 v11, s20, v11
	v_and_b32_e32 v28, v28, v11
	v_lshlrev_b32_e32 v11, 29, v27
	v_cmp_gt_i64_e64 s[20:21], 0, v[10:11]
	v_not_b32_e32 v11, v11
	v_ashrrev_i32_e32 v11, 31, v11
	v_xor_b32_e32 v27, s21, v11
	v_xor_b32_e32 v11, s20, v11
	v_cmp_gt_i64_e64 s[20:21], 0, v[12:13]
	v_not_b32_e32 v12, v13
	v_ashrrev_i32_e32 v12, 31, v12
	v_and_b32_e32 v29, v29, v30
	v_and_b32_e32 v11, v28, v11
	v_xor_b32_e32 v13, s21, v12
	v_xor_b32_e32 v12, s20, v12
	v_and_b32_e32 v27, v29, v27
	v_and_b32_e32 v12, v11, v12
	;; [unrolled: 1-line block ×3, first 2 shown]
	v_mbcnt_lo_u32_b32 v11, v12, 0
	v_mbcnt_hi_u32_b32 v11, v13, v11
	v_cmp_eq_u32_e64 s[20:21], 0, v11
	v_cmp_ne_u64_e64 s[22:23], 0, v[12:13]
	s_and_b64 s[22:23], s[22:23], s[20:21]
	; wave barrier
	s_and_saveexec_b64 s[20:21], s[22:23]
	s_cbranch_execz .LBB95_12
; %bb.11:                               ;   in Loop: Header=BB95_4 Depth=2
	v_bcnt_u32_b32 v12, v12, 0
	v_bcnt_u32_b32 v12, v13, v12
	s_waitcnt lgkmcnt(0)
	v_add_u32_e32 v12, v25, v12
	ds_write_b32 v26, v12
.LBB95_12:                              ;   in Loop: Header=BB95_4 Depth=2
	s_or_b64 exec, exec, s[20:21]
	; wave barrier
	s_waitcnt lgkmcnt(0)
	s_barrier
	ds_read_b32 v12, v0 offset:8
	s_waitcnt lgkmcnt(0)
	s_nop 0
	v_mov_b32_dpp v13, v12 row_shr:1 row_mask:0xf bank_mask:0xf
	v_cndmask_b32_e64 v13, v13, 0, s[6:7]
	v_add_u32_e32 v12, v13, v12
	s_nop 1
	v_mov_b32_dpp v13, v12 row_shr:2 row_mask:0xf bank_mask:0xf
	v_cndmask_b32_e64 v13, 0, v13, s[8:9]
	v_add_u32_e32 v12, v12, v13
	;; [unrolled: 4-line block ×4, first 2 shown]
	s_nop 1
	v_mov_b32_dpp v13, v12 row_bcast:15 row_mask:0xf bank_mask:0xf
	v_cndmask_b32_e64 v13, v13, 0, s[14:15]
	v_add_u32_e32 v12, v12, v13
	s_nop 1
	v_mov_b32_dpp v13, v12 row_bcast:31 row_mask:0xf bank_mask:0xf
	v_cndmask_b32_e32 v13, 0, v13, vcc
	v_add_u32_e32 v12, v12, v13
	s_and_saveexec_b64 s[20:21], s[16:17]
	s_xor_b64 s[20:21], exec, s[20:21]
	s_cbranch_execz .LBB95_14
; %bb.13:                               ;   in Loop: Header=BB95_4 Depth=2
	ds_write_b32 v1, v12
.LBB95_14:                              ;   in Loop: Header=BB95_4 Depth=2
	s_or_b64 exec, exec, s[20:21]
	s_waitcnt lgkmcnt(0)
	s_barrier
	s_and_saveexec_b64 s[20:21], s[0:1]
	s_cbranch_execz .LBB95_16
; %bb.15:                               ;   in Loop: Header=BB95_4 Depth=2
	ds_read_b32 v13, v0
	s_waitcnt lgkmcnt(0)
	s_nop 0
	v_mov_b32_dpp v27, v13 row_shr:1 row_mask:0xf bank_mask:0xf
	v_cndmask_b32_e64 v27, v27, 0, s[18:19]
	v_add_u32_e32 v13, v27, v13
	ds_write_b32 v0, v13
.LBB95_16:                              ;   in Loop: Header=BB95_4 Depth=2
	s_or_b64 exec, exec, s[20:21]
	v_mov_b32_e32 v13, 0
	s_waitcnt lgkmcnt(0)
	s_barrier
	s_and_saveexec_b64 s[20:21], s[2:3]
	s_cbranch_execz .LBB95_3
; %bb.17:                               ;   in Loop: Header=BB95_4 Depth=2
	ds_read_b32 v13, v15
	s_branch .LBB95_3
.LBB95_18:
	ds_read_b32 v2, v26
	ds_read_b32 v4, v23
	;; [unrolled: 1-line block ×4, first 2 shown]
	s_lshl_b64 s[0:1], s[28:29], 2
	s_add_u32 s0, s26, s0
	s_addc_u32 s1, s27, s1
	v_lshlrev_b32_e32 v5, 2, v0
	s_waitcnt lgkmcnt(1)
	v_add3_u32 v1, v21, v19, v1
	s_waitcnt lgkmcnt(0)
	v_add_u32_e32 v0, v3, v18
	v_add3_u32 v3, v11, v25, v2
	v_add3_u32 v2, v24, v22, v4
	global_store_dwordx4 v5, v[0:3], s[0:1]
	s_endpgm
	.section	.rodata,"a",@progbits
	.p2align	6, 0x0
	.amdhsa_kernel _Z11rank_kernelIxLj4ELb0EL18RadixRankAlgorithm2ELj128ELj4ELj10EEvPKT_Pi
		.amdhsa_group_segment_fixed_size 520
		.amdhsa_private_segment_fixed_size 0
		.amdhsa_kernarg_size 272
		.amdhsa_user_sgpr_count 6
		.amdhsa_user_sgpr_private_segment_buffer 1
		.amdhsa_user_sgpr_dispatch_ptr 0
		.amdhsa_user_sgpr_queue_ptr 0
		.amdhsa_user_sgpr_kernarg_segment_ptr 1
		.amdhsa_user_sgpr_dispatch_id 0
		.amdhsa_user_sgpr_flat_scratch_init 0
		.amdhsa_user_sgpr_kernarg_preload_length 0
		.amdhsa_user_sgpr_kernarg_preload_offset 0
		.amdhsa_user_sgpr_private_segment_size 0
		.amdhsa_uses_dynamic_stack 0
		.amdhsa_system_sgpr_private_segment_wavefront_offset 0
		.amdhsa_system_sgpr_workgroup_id_x 1
		.amdhsa_system_sgpr_workgroup_id_y 0
		.amdhsa_system_sgpr_workgroup_id_z 0
		.amdhsa_system_sgpr_workgroup_info 0
		.amdhsa_system_vgpr_workitem_id 2
		.amdhsa_next_free_vgpr 31
		.amdhsa_next_free_sgpr 32
		.amdhsa_accum_offset 32
		.amdhsa_reserve_vcc 1
		.amdhsa_reserve_flat_scratch 0
		.amdhsa_float_round_mode_32 0
		.amdhsa_float_round_mode_16_64 0
		.amdhsa_float_denorm_mode_32 3
		.amdhsa_float_denorm_mode_16_64 3
		.amdhsa_dx10_clamp 1
		.amdhsa_ieee_mode 1
		.amdhsa_fp16_overflow 0
		.amdhsa_tg_split 0
		.amdhsa_exception_fp_ieee_invalid_op 0
		.amdhsa_exception_fp_denorm_src 0
		.amdhsa_exception_fp_ieee_div_zero 0
		.amdhsa_exception_fp_ieee_overflow 0
		.amdhsa_exception_fp_ieee_underflow 0
		.amdhsa_exception_fp_ieee_inexact 0
		.amdhsa_exception_int_div_zero 0
	.end_amdhsa_kernel
	.section	.text._Z11rank_kernelIxLj4ELb0EL18RadixRankAlgorithm2ELj128ELj4ELj10EEvPKT_Pi,"axG",@progbits,_Z11rank_kernelIxLj4ELb0EL18RadixRankAlgorithm2ELj128ELj4ELj10EEvPKT_Pi,comdat
.Lfunc_end95:
	.size	_Z11rank_kernelIxLj4ELb0EL18RadixRankAlgorithm2ELj128ELj4ELj10EEvPKT_Pi, .Lfunc_end95-_Z11rank_kernelIxLj4ELb0EL18RadixRankAlgorithm2ELj128ELj4ELj10EEvPKT_Pi
                                        ; -- End function
	.section	.AMDGPU.csdata,"",@progbits
; Kernel info:
; codeLenInByte = 1872
; NumSgprs: 36
; NumVgprs: 31
; NumAgprs: 0
; TotalNumVgprs: 31
; ScratchSize: 0
; MemoryBound: 0
; FloatMode: 240
; IeeeMode: 1
; LDSByteSize: 520 bytes/workgroup (compile time only)
; SGPRBlocks: 4
; VGPRBlocks: 3
; NumSGPRsForWavesPerEU: 36
; NumVGPRsForWavesPerEU: 31
; AccumOffset: 32
; Occupancy: 8
; WaveLimiterHint : 0
; COMPUTE_PGM_RSRC2:SCRATCH_EN: 0
; COMPUTE_PGM_RSRC2:USER_SGPR: 6
; COMPUTE_PGM_RSRC2:TRAP_HANDLER: 0
; COMPUTE_PGM_RSRC2:TGID_X_EN: 1
; COMPUTE_PGM_RSRC2:TGID_Y_EN: 0
; COMPUTE_PGM_RSRC2:TGID_Z_EN: 0
; COMPUTE_PGM_RSRC2:TIDIG_COMP_CNT: 2
; COMPUTE_PGM_RSRC3_GFX90A:ACCUM_OFFSET: 7
; COMPUTE_PGM_RSRC3_GFX90A:TG_SPLIT: 0
	.section	.text._Z11rank_kernelIxLj4ELb0EL18RadixRankAlgorithm0ELj128ELj8ELj10EEvPKT_Pi,"axG",@progbits,_Z11rank_kernelIxLj4ELb0EL18RadixRankAlgorithm0ELj128ELj8ELj10EEvPKT_Pi,comdat
	.protected	_Z11rank_kernelIxLj4ELb0EL18RadixRankAlgorithm0ELj128ELj8ELj10EEvPKT_Pi ; -- Begin function _Z11rank_kernelIxLj4ELb0EL18RadixRankAlgorithm0ELj128ELj8ELj10EEvPKT_Pi
	.globl	_Z11rank_kernelIxLj4ELb0EL18RadixRankAlgorithm0ELj128ELj8ELj10EEvPKT_Pi
	.p2align	8
	.type	_Z11rank_kernelIxLj4ELb0EL18RadixRankAlgorithm0ELj128ELj8ELj10EEvPKT_Pi,@function
_Z11rank_kernelIxLj4ELb0EL18RadixRankAlgorithm0ELj128ELj8ELj10EEvPKT_Pi: ; @_Z11rank_kernelIxLj4ELb0EL18RadixRankAlgorithm0ELj128ELj8ELj10EEvPKT_Pi
; %bb.0:
	s_load_dwordx4 s[20:23], s[4:5], 0x0
	s_lshl_b32 s24, s6, 10
	s_mov_b32 s25, 0
	s_lshl_b64 s[0:1], s[24:25], 3
	v_lshlrev_b32_e32 v1, 6, v0
	s_waitcnt lgkmcnt(0)
	s_add_u32 s0, s20, s0
	s_addc_u32 s1, s21, s1
	global_load_dwordx4 v[2:5], v1, s[0:1]
	global_load_dwordx4 v[6:9], v1, s[0:1] offset:16
	global_load_dwordx4 v[10:13], v1, s[0:1] offset:32
	;; [unrolled: 1-line block ×3, first 2 shown]
	v_mbcnt_lo_u32_b32 v1, -1, 0
	v_mbcnt_hi_u32_b32 v20, -1, v1
	v_or_b32_e32 v21, 63, v0
	v_cmp_eq_u32_e64 s[4:5], v21, v0
	v_add_u32_e32 v21, -1, v20
	v_and_b32_e32 v27, 64, v20
	v_cmp_lt_i32_e64 s[18:19], v21, v27
	v_lshrrev_b32_e32 v24, 4, v0
	v_and_b32_e32 v25, 15, v20
	v_and_b32_e32 v26, 16, v20
	v_cmp_lt_u32_e64 s[2:3], 31, v20
	v_cmp_eq_u32_e64 s[6:7], 0, v20
	v_and_b32_e32 v28, 1, v20
	v_cndmask_b32_e64 v20, v21, v20, s[18:19]
	v_mov_b32_e32 v19, 0
	s_movk_i32 s30, 0x380
	v_lshlrev_b32_e32 v18, 3, v0
	v_lshlrev_b32_e32 v22, 5, v0
	v_cmp_gt_u32_e32 vcc, 2, v0
	v_cmp_lt_u32_e64 s[0:1], 63, v0
	v_lshlrev_b32_e32 v23, 2, v0
	v_or_b32_e32 v1, 0x80, v0
	v_and_b32_e32 v24, 4, v24
	v_cmp_eq_u32_e64 s[8:9], 0, v25
	v_cmp_lt_u32_e64 s[10:11], 1, v25
	v_cmp_lt_u32_e64 s[12:13], 3, v25
	;; [unrolled: 1-line block ×3, first 2 shown]
	v_cmp_eq_u32_e64 s[16:17], 0, v26
	v_cmp_eq_u32_e64 s[18:19], 0, v28
	v_lshlrev_b32_e32 v25, 2, v20
	s_mov_b32 s31, s25
	s_waitcnt vmcnt(3)
	v_xor_b32_e32 v3, 0x80000000, v3
	v_xor_b32_e32 v5, 0x80000000, v5
	s_waitcnt vmcnt(2)
	v_xor_b32_e32 v7, 0x80000000, v7
	v_xor_b32_e32 v9, 0x80000000, v9
	;; [unrolled: 3-line block ×4, first 2 shown]
	s_branch .LBB96_2
.LBB96_1:                               ;   in Loop: Header=BB96_2 Depth=1
	s_add_i32 s31, s31, 1
	s_cmp_eq_u32 s31, 10
	s_cbranch_scc1 .LBB96_16
.LBB96_2:                               ; =>This Loop Header: Depth=1
                                        ;     Child Loop BB96_4 Depth 2
                                        ;       Child Loop BB96_6 Depth 3
	s_mov_b32 s33, 0
	s_branch .LBB96_4
.LBB96_3:                               ;   in Loop: Header=BB96_4 Depth=2
	s_or_b64 exec, exec, s[20:21]
	s_waitcnt lgkmcnt(0)
	v_add_u32_e32 v40, v41, v40
	ds_bpermute_b32 v40, v25, v40
	ds_read_b32 v42, v19 offset:4100
	s_add_i32 s20, s33, 4
	s_cmp_lt_u32 s33, 60
	s_mov_b32 s33, s20
	s_waitcnt lgkmcnt(1)
	v_cndmask_b32_e64 v43, v40, v41, s[6:7]
	ds_read2_b32 v[40:41], v22 offset1:1
	s_waitcnt lgkmcnt(1)
	v_lshl_add_u32 v46, v42, 16, v43
	ds_read2_b32 v[42:43], v22 offset0:2 offset1:3
	ds_read2_b32 v[44:45], v22 offset0:4 offset1:5
	ds_read_b32 v47, v22 offset:24
	s_waitcnt lgkmcnt(3)
	v_add_u32_e32 v40, v46, v40
	ds_write2_b32 v22, v46, v40 offset1:1
	v_add_u32_e32 v40, v41, v40
	s_waitcnt lgkmcnt(3)
	v_add_u32_e32 v41, v42, v40
	ds_write2_b32 v22, v40, v41 offset0:2 offset1:3
	v_add_u32_e32 v40, v43, v41
	s_waitcnt lgkmcnt(3)
	v_add_u32_e32 v41, v44, v40
	ds_write2_b32 v22, v40, v41 offset0:4 offset1:5
	;; [unrolled: 4-line block ×3, first 2 shown]
	s_waitcnt lgkmcnt(0)
	s_barrier
	s_cbranch_scc0 .LBB96_1
.LBB96_4:                               ;   Parent Loop BB96_2 Depth=1
                                        ; =>  This Loop Header: Depth=2
                                        ;       Child Loop BB96_6 Depth 3
	s_mov_b32 s34, 0
	s_mov_b64 s[20:21], 0
	v_pk_mov_b32 v[20:21], v[0:1], v[0:1] op_sel:[0,1]
	s_branch .LBB96_6
.LBB96_5:                               ;   in Loop: Header=BB96_6 Depth=3
	s_or_b64 exec, exec, s[28:29]
	s_add_i32 s34, s34, 2
	v_cmp_eq_u32_e64 s[26:27], 8, s34
	v_add_u32_e32 v21, 0x100, v21
	s_or_b64 s[20:21], s[26:27], s[20:21]
	v_add_u32_e32 v20, 0x100, v20
	s_andn2_b64 exec, exec, s[20:21]
	s_cbranch_execz .LBB96_10
.LBB96_6:                               ;   Parent Loop BB96_2 Depth=1
                                        ;     Parent Loop BB96_4 Depth=2
                                        ; =>    This Inner Loop Header: Depth=3
	s_or_b32 s26, s34, 1
	v_cmp_le_u32_e64 s[26:27], s26, 7
	v_cmp_le_u32_e64 s[36:37], s34, 7
	s_and_saveexec_b64 s[28:29], s[36:37]
	s_cbranch_execz .LBB96_8
; %bb.7:                                ;   in Loop: Header=BB96_6 Depth=3
	v_lshlrev_b32_e32 v26, 2, v20
	ds_write_b32 v26, v19
.LBB96_8:                               ;   in Loop: Header=BB96_6 Depth=3
	s_or_b64 exec, exec, s[28:29]
	s_and_saveexec_b64 s[28:29], s[26:27]
	s_cbranch_execz .LBB96_5
; %bb.9:                                ;   in Loop: Header=BB96_6 Depth=3
	v_lshlrev_b32_e32 v26, 2, v21
	ds_write_b32 v26, v19
	s_branch .LBB96_5
.LBB96_10:                              ;   in Loop: Header=BB96_4 Depth=2
	s_or_b64 exec, exec, s[20:21]
	s_sub_i32 s20, 60, s33
	v_lshlrev_b64 v[20:21], s20, v[2:3]
	v_lshrrev_b32_e32 v20, 21, v21
	v_lshrrev_b32_e32 v21, 30, v21
	v_and_or_b32 v20, v20, s30, v0
	v_and_b32_e32 v21, 2, v21
	v_lshl_or_b32 v21, v20, 2, v21
	ds_read_u16 v20, v21
	v_lshlrev_b64 v[26:27], s20, v[4:5]
	v_lshrrev_b32_e32 v26, 21, v27
	v_lshrrev_b32_e32 v27, 30, v27
	v_and_or_b32 v26, v26, s30, v0
	s_waitcnt lgkmcnt(0)
	v_add_u16_e32 v28, 1, v20
	v_and_b32_e32 v27, 2, v27
	ds_write_b16 v21, v28
	v_lshl_or_b32 v27, v26, 2, v27
	ds_read_u16 v26, v27
	v_lshlrev_b64 v[34:35], s20, v[10:11]
	v_lshrrev_b32_e32 v33, 30, v35
	v_and_b32_e32 v33, 2, v33
	s_waitcnt lgkmcnt(0)
	v_add_u16_e32 v28, 1, v26
	ds_write_b16 v27, v28
	v_lshlrev_b64 v[28:29], s20, v[6:7]
	v_lshrrev_b32_e32 v28, 21, v29
	v_lshrrev_b32_e32 v29, 30, v29
	v_and_or_b32 v28, v28, s30, v0
	v_and_b32_e32 v29, 2, v29
	v_lshl_or_b32 v29, v28, 2, v29
	ds_read_u16 v28, v29
	s_waitcnt lgkmcnt(0)
	v_add_u16_e32 v30, 1, v28
	ds_write_b16 v29, v30
	v_lshlrev_b64 v[30:31], s20, v[8:9]
	v_lshrrev_b32_e32 v30, 21, v31
	v_lshrrev_b32_e32 v31, 30, v31
	v_and_or_b32 v30, v30, s30, v0
	v_and_b32_e32 v31, 2, v31
	v_lshl_or_b32 v32, v30, 2, v31
	ds_read_u16 v30, v32
	s_waitcnt lgkmcnt(0)
	v_add_u16_e32 v31, 1, v30
	ds_write_b16 v32, v31
	v_lshrrev_b32_e32 v31, 21, v35
	v_and_or_b32 v31, v31, s30, v0
	v_lshl_or_b32 v33, v31, 2, v33
	ds_read_u16 v31, v33
	s_waitcnt lgkmcnt(0)
	v_add_u16_e32 v34, 1, v31
	ds_write_b16 v33, v34
	v_lshlrev_b64 v[34:35], s20, v[12:13]
	v_lshrrev_b32_e32 v34, 21, v35
	v_lshrrev_b32_e32 v35, 30, v35
	v_and_or_b32 v34, v34, s30, v0
	v_and_b32_e32 v35, 2, v35
	v_lshl_or_b32 v35, v34, 2, v35
	ds_read_u16 v34, v35
	s_waitcnt lgkmcnt(0)
	v_add_u16_e32 v36, 1, v34
	ds_write_b16 v35, v36
	v_lshlrev_b64 v[36:37], s20, v[14:15]
	v_lshrrev_b32_e32 v36, 21, v37
	v_lshrrev_b32_e32 v37, 30, v37
	v_and_or_b32 v36, v36, s30, v0
	v_and_b32_e32 v37, 2, v37
	;; [unrolled: 10-line block ×3, first 2 shown]
	v_lshl_or_b32 v39, v38, 2, v39
	ds_read_u16 v38, v39
	s_waitcnt lgkmcnt(0)
	v_add_u16_e32 v40, 1, v38
	ds_write_b16 v39, v40
	s_waitcnt lgkmcnt(0)
	s_barrier
	ds_read2_b32 v[40:41], v22 offset1:1
	ds_read2_b32 v[42:43], v22 offset0:2 offset1:3
	ds_read2_b32 v[44:45], v22 offset0:4 offset1:5
	;; [unrolled: 1-line block ×3, first 2 shown]
	s_waitcnt lgkmcnt(3)
	v_add_u32_e32 v40, v41, v40
	s_waitcnt lgkmcnt(2)
	v_add3_u32 v40, v40, v42, v43
	s_waitcnt lgkmcnt(1)
	v_add3_u32 v40, v40, v44, v45
	;; [unrolled: 2-line block ×3, first 2 shown]
	s_nop 1
	v_mov_b32_dpp v41, v40 row_shr:1 row_mask:0xf bank_mask:0xf
	v_cndmask_b32_e64 v41, v41, 0, s[8:9]
	v_add_u32_e32 v40, v41, v40
	s_nop 1
	v_mov_b32_dpp v41, v40 row_shr:2 row_mask:0xf bank_mask:0xf
	v_cndmask_b32_e64 v41, 0, v41, s[10:11]
	v_add_u32_e32 v40, v40, v41
	s_nop 1
	v_mov_b32_dpp v41, v40 row_shr:4 row_mask:0xf bank_mask:0xf
	v_cndmask_b32_e64 v41, 0, v41, s[12:13]
	v_add_u32_e32 v40, v40, v41
	s_nop 1
	v_mov_b32_dpp v41, v40 row_shr:8 row_mask:0xf bank_mask:0xf
	v_cndmask_b32_e64 v41, 0, v41, s[14:15]
	v_add_u32_e32 v40, v40, v41
	s_nop 1
	v_mov_b32_dpp v41, v40 row_bcast:15 row_mask:0xf bank_mask:0xf
	v_cndmask_b32_e64 v41, v41, 0, s[16:17]
	v_add_u32_e32 v40, v40, v41
	s_nop 1
	v_mov_b32_dpp v41, v40 row_bcast:31 row_mask:0xf bank_mask:0xf
	v_cndmask_b32_e64 v41, 0, v41, s[2:3]
	v_add_u32_e32 v40, v40, v41
	s_and_saveexec_b64 s[20:21], s[4:5]
	s_cbranch_execz .LBB96_12
; %bb.11:                               ;   in Loop: Header=BB96_4 Depth=2
	ds_write_b32 v24, v40 offset:4096
.LBB96_12:                              ;   in Loop: Header=BB96_4 Depth=2
	s_or_b64 exec, exec, s[20:21]
	s_waitcnt lgkmcnt(0)
	s_barrier
	s_and_saveexec_b64 s[20:21], vcc
	s_cbranch_execz .LBB96_14
; %bb.13:                               ;   in Loop: Header=BB96_4 Depth=2
	ds_read_b32 v41, v23 offset:4096
	s_waitcnt lgkmcnt(0)
	s_nop 0
	v_mov_b32_dpp v42, v41 row_shr:1 row_mask:0xf bank_mask:0xf
	v_cndmask_b32_e64 v42, v42, 0, s[18:19]
	v_add_u32_e32 v41, v42, v41
	ds_write_b32 v23, v41 offset:4096
.LBB96_14:                              ;   in Loop: Header=BB96_4 Depth=2
	s_or_b64 exec, exec, s[20:21]
	v_mov_b32_e32 v41, 0
	s_waitcnt lgkmcnt(0)
	s_barrier
	s_and_saveexec_b64 s[20:21], s[0:1]
	s_cbranch_execz .LBB96_3
; %bb.15:                               ;   in Loop: Header=BB96_4 Depth=2
	ds_read_b32 v41, v24 offset:4092
	s_branch .LBB96_3
.LBB96_16:
	ds_read_u16 v3, v32
	ds_read_u16 v2, v29
	;; [unrolled: 1-line block ×8, first 2 shown]
	s_lshl_b64 s[0:1], s[24:25], 2
	s_add_u32 s0, s22, s0
	s_waitcnt lgkmcnt(4)
	v_add_u32_sdwa v0, v0, v20 dst_sel:DWORD dst_unused:UNUSED_PAD src0_sel:DWORD src1_sel:WORD_0
	v_add_u32_sdwa v1, v1, v26 dst_sel:DWORD dst_unused:UNUSED_PAD src0_sel:DWORD src1_sel:WORD_0
	;; [unrolled: 1-line block ×4, first 2 shown]
	s_addc_u32 s1, s23, s1
	v_lshlrev_b32_e32 v8, 2, v18
	s_waitcnt lgkmcnt(0)
	v_add_u32_sdwa v4, v4, v31 dst_sel:DWORD dst_unused:UNUSED_PAD src0_sel:DWORD src1_sel:WORD_0
	v_add_u32_sdwa v5, v5, v34 dst_sel:DWORD dst_unused:UNUSED_PAD src0_sel:DWORD src1_sel:WORD_0
	;; [unrolled: 1-line block ×4, first 2 shown]
	global_store_dwordx4 v8, v[0:3], s[0:1]
	global_store_dwordx4 v8, v[4:7], s[0:1] offset:16
	s_endpgm
	.section	.rodata,"a",@progbits
	.p2align	6, 0x0
	.amdhsa_kernel _Z11rank_kernelIxLj4ELb0EL18RadixRankAlgorithm0ELj128ELj8ELj10EEvPKT_Pi
		.amdhsa_group_segment_fixed_size 4104
		.amdhsa_private_segment_fixed_size 0
		.amdhsa_kernarg_size 16
		.amdhsa_user_sgpr_count 6
		.amdhsa_user_sgpr_private_segment_buffer 1
		.amdhsa_user_sgpr_dispatch_ptr 0
		.amdhsa_user_sgpr_queue_ptr 0
		.amdhsa_user_sgpr_kernarg_segment_ptr 1
		.amdhsa_user_sgpr_dispatch_id 0
		.amdhsa_user_sgpr_flat_scratch_init 0
		.amdhsa_user_sgpr_kernarg_preload_length 0
		.amdhsa_user_sgpr_kernarg_preload_offset 0
		.amdhsa_user_sgpr_private_segment_size 0
		.amdhsa_uses_dynamic_stack 0
		.amdhsa_system_sgpr_private_segment_wavefront_offset 0
		.amdhsa_system_sgpr_workgroup_id_x 1
		.amdhsa_system_sgpr_workgroup_id_y 0
		.amdhsa_system_sgpr_workgroup_id_z 0
		.amdhsa_system_sgpr_workgroup_info 0
		.amdhsa_system_vgpr_workitem_id 0
		.amdhsa_next_free_vgpr 48
		.amdhsa_next_free_sgpr 38
		.amdhsa_accum_offset 48
		.amdhsa_reserve_vcc 1
		.amdhsa_reserve_flat_scratch 0
		.amdhsa_float_round_mode_32 0
		.amdhsa_float_round_mode_16_64 0
		.amdhsa_float_denorm_mode_32 3
		.amdhsa_float_denorm_mode_16_64 3
		.amdhsa_dx10_clamp 1
		.amdhsa_ieee_mode 1
		.amdhsa_fp16_overflow 0
		.amdhsa_tg_split 0
		.amdhsa_exception_fp_ieee_invalid_op 0
		.amdhsa_exception_fp_denorm_src 0
		.amdhsa_exception_fp_ieee_div_zero 0
		.amdhsa_exception_fp_ieee_overflow 0
		.amdhsa_exception_fp_ieee_underflow 0
		.amdhsa_exception_fp_ieee_inexact 0
		.amdhsa_exception_int_div_zero 0
	.end_amdhsa_kernel
	.section	.text._Z11rank_kernelIxLj4ELb0EL18RadixRankAlgorithm0ELj128ELj8ELj10EEvPKT_Pi,"axG",@progbits,_Z11rank_kernelIxLj4ELb0EL18RadixRankAlgorithm0ELj128ELj8ELj10EEvPKT_Pi,comdat
.Lfunc_end96:
	.size	_Z11rank_kernelIxLj4ELb0EL18RadixRankAlgorithm0ELj128ELj8ELj10EEvPKT_Pi, .Lfunc_end96-_Z11rank_kernelIxLj4ELb0EL18RadixRankAlgorithm0ELj128ELj8ELj10EEvPKT_Pi
                                        ; -- End function
	.section	.AMDGPU.csdata,"",@progbits
; Kernel info:
; codeLenInByte = 1676
; NumSgprs: 42
; NumVgprs: 48
; NumAgprs: 0
; TotalNumVgprs: 48
; ScratchSize: 0
; MemoryBound: 0
; FloatMode: 240
; IeeeMode: 1
; LDSByteSize: 4104 bytes/workgroup (compile time only)
; SGPRBlocks: 5
; VGPRBlocks: 5
; NumSGPRsForWavesPerEU: 42
; NumVGPRsForWavesPerEU: 48
; AccumOffset: 48
; Occupancy: 8
; WaveLimiterHint : 0
; COMPUTE_PGM_RSRC2:SCRATCH_EN: 0
; COMPUTE_PGM_RSRC2:USER_SGPR: 6
; COMPUTE_PGM_RSRC2:TRAP_HANDLER: 0
; COMPUTE_PGM_RSRC2:TGID_X_EN: 1
; COMPUTE_PGM_RSRC2:TGID_Y_EN: 0
; COMPUTE_PGM_RSRC2:TGID_Z_EN: 0
; COMPUTE_PGM_RSRC2:TIDIG_COMP_CNT: 0
; COMPUTE_PGM_RSRC3_GFX90A:ACCUM_OFFSET: 11
; COMPUTE_PGM_RSRC3_GFX90A:TG_SPLIT: 0
	.section	.text._Z11rank_kernelIxLj4ELb0EL18RadixRankAlgorithm1ELj128ELj8ELj10EEvPKT_Pi,"axG",@progbits,_Z11rank_kernelIxLj4ELb0EL18RadixRankAlgorithm1ELj128ELj8ELj10EEvPKT_Pi,comdat
	.protected	_Z11rank_kernelIxLj4ELb0EL18RadixRankAlgorithm1ELj128ELj8ELj10EEvPKT_Pi ; -- Begin function _Z11rank_kernelIxLj4ELb0EL18RadixRankAlgorithm1ELj128ELj8ELj10EEvPKT_Pi
	.globl	_Z11rank_kernelIxLj4ELb0EL18RadixRankAlgorithm1ELj128ELj8ELj10EEvPKT_Pi
	.p2align	8
	.type	_Z11rank_kernelIxLj4ELb0EL18RadixRankAlgorithm1ELj128ELj8ELj10EEvPKT_Pi,@function
_Z11rank_kernelIxLj4ELb0EL18RadixRankAlgorithm1ELj128ELj8ELj10EEvPKT_Pi: ; @_Z11rank_kernelIxLj4ELb0EL18RadixRankAlgorithm1ELj128ELj8ELj10EEvPKT_Pi
; %bb.0:
	s_load_dwordx4 s[20:23], s[4:5], 0x0
	s_lshl_b32 s24, s6, 10
	s_mov_b32 s25, 0
	s_lshl_b64 s[0:1], s[24:25], 3
	v_lshlrev_b32_e32 v1, 6, v0
	s_waitcnt lgkmcnt(0)
	s_add_u32 s0, s20, s0
	s_addc_u32 s1, s21, s1
	global_load_dwordx4 v[2:5], v1, s[0:1]
	global_load_dwordx4 v[6:9], v1, s[0:1] offset:16
	global_load_dwordx4 v[10:13], v1, s[0:1] offset:32
	;; [unrolled: 1-line block ×3, first 2 shown]
	v_mbcnt_lo_u32_b32 v1, -1, 0
	v_mbcnt_hi_u32_b32 v20, -1, v1
	v_or_b32_e32 v21, 63, v0
	v_cmp_eq_u32_e64 s[4:5], v21, v0
	v_add_u32_e32 v21, -1, v20
	v_and_b32_e32 v25, 64, v20
	v_lshrrev_b32_e32 v22, 4, v0
	v_cmp_lt_i32_e64 s[18:19], v21, v25
	v_and_b32_e32 v23, 15, v20
	v_and_b32_e32 v24, 16, v20
	v_cmp_lt_u32_e64 s[2:3], 31, v20
	v_cmp_eq_u32_e64 s[6:7], 0, v20
	v_and_b32_e32 v30, 4, v22
	v_and_b32_e32 v22, 1, v20
	v_cndmask_b32_e64 v20, v21, v20, s[18:19]
	v_mov_b32_e32 v19, 0
	s_movk_i32 s30, 0x380
	v_lshlrev_b32_e32 v18, 3, v0
	v_lshlrev_b32_e32 v28, 5, v0
	v_cmp_gt_u32_e32 vcc, 2, v0
	v_cmp_lt_u32_e64 s[0:1], 63, v0
	v_lshlrev_b32_e32 v29, 2, v0
	v_or_b32_e32 v1, 0x80, v0
	v_cmp_eq_u32_e64 s[8:9], 0, v23
	v_cmp_lt_u32_e64 s[10:11], 1, v23
	v_cmp_lt_u32_e64 s[12:13], 3, v23
	;; [unrolled: 1-line block ×3, first 2 shown]
	v_cmp_eq_u32_e64 s[16:17], 0, v24
	v_cmp_eq_u32_e64 s[18:19], 0, v22
	v_lshlrev_b32_e32 v31, 2, v20
	s_mov_b32 s31, s25
	s_waitcnt vmcnt(3)
	v_xor_b32_e32 v3, 0x80000000, v3
	v_xor_b32_e32 v5, 0x80000000, v5
	s_waitcnt vmcnt(2)
	v_xor_b32_e32 v7, 0x80000000, v7
	v_xor_b32_e32 v9, 0x80000000, v9
	;; [unrolled: 3-line block ×4, first 2 shown]
	s_branch .LBB97_2
.LBB97_1:                               ;   in Loop: Header=BB97_2 Depth=1
	s_add_i32 s31, s31, 1
	s_cmp_eq_u32 s31, 10
	s_cbranch_scc1 .LBB97_16
.LBB97_2:                               ; =>This Loop Header: Depth=1
                                        ;     Child Loop BB97_4 Depth 2
                                        ;       Child Loop BB97_6 Depth 3
	s_mov_b32 s33, 0
	s_branch .LBB97_4
.LBB97_3:                               ;   in Loop: Header=BB97_4 Depth=2
	s_or_b64 exec, exec, s[20:21]
	s_waitcnt lgkmcnt(0)
	v_add_u32_e32 v21, v48, v21
	ds_bpermute_b32 v21, v31, v21
	ds_read_b32 v49, v19 offset:4100
	s_add_i32 s20, s33, 4
	s_cmp_lt_u32 s33, 60
	s_mov_b32 s33, s20
	s_waitcnt lgkmcnt(1)
	v_cndmask_b32_e64 v21, v21, v48, s[6:7]
	s_waitcnt lgkmcnt(0)
	v_lshl_add_u32 v21, v49, 16, v21
	v_add_u32_e32 v26, v21, v26
	v_add_u32_e32 v27, v26, v27
	ds_write2_b32 v28, v21, v26 offset1:1
	v_add_u32_e32 v21, v27, v24
	v_add_u32_e32 v24, v21, v25
	ds_write2_b32 v28, v27, v21 offset0:2 offset1:3
	v_add_u32_e32 v21, v24, v22
	v_add_u32_e32 v22, v21, v23
	;; [unrolled: 1-line block ×3, first 2 shown]
	ds_write2_b32 v28, v24, v21 offset0:4 offset1:5
	ds_write2_b32 v28, v22, v20 offset0:6 offset1:7
	s_waitcnt lgkmcnt(0)
	s_barrier
	s_cbranch_scc0 .LBB97_1
.LBB97_4:                               ;   Parent Loop BB97_2 Depth=1
                                        ; =>  This Loop Header: Depth=2
                                        ;       Child Loop BB97_6 Depth 3
	s_mov_b32 s34, 0
	s_mov_b64 s[20:21], 0
	v_pk_mov_b32 v[20:21], v[0:1], v[0:1] op_sel:[0,1]
	s_branch .LBB97_6
.LBB97_5:                               ;   in Loop: Header=BB97_6 Depth=3
	s_or_b64 exec, exec, s[28:29]
	s_add_i32 s34, s34, 2
	v_cmp_eq_u32_e64 s[26:27], 8, s34
	v_add_u32_e32 v21, 0x100, v21
	s_or_b64 s[20:21], s[26:27], s[20:21]
	v_add_u32_e32 v20, 0x100, v20
	s_andn2_b64 exec, exec, s[20:21]
	s_cbranch_execz .LBB97_10
.LBB97_6:                               ;   Parent Loop BB97_2 Depth=1
                                        ;     Parent Loop BB97_4 Depth=2
                                        ; =>    This Inner Loop Header: Depth=3
	s_or_b32 s26, s34, 1
	v_cmp_le_u32_e64 s[26:27], s26, 7
	v_cmp_le_u32_e64 s[36:37], s34, 7
	s_and_saveexec_b64 s[28:29], s[36:37]
	s_cbranch_execz .LBB97_8
; %bb.7:                                ;   in Loop: Header=BB97_6 Depth=3
	v_lshlrev_b32_e32 v22, 2, v20
	ds_write_b32 v22, v19
.LBB97_8:                               ;   in Loop: Header=BB97_6 Depth=3
	s_or_b64 exec, exec, s[28:29]
	s_and_saveexec_b64 s[28:29], s[26:27]
	s_cbranch_execz .LBB97_5
; %bb.9:                                ;   in Loop: Header=BB97_6 Depth=3
	v_lshlrev_b32_e32 v22, 2, v21
	ds_write_b32 v22, v19
	s_branch .LBB97_5
.LBB97_10:                              ;   in Loop: Header=BB97_4 Depth=2
	s_or_b64 exec, exec, s[20:21]
	s_sub_i32 s20, 60, s33
	v_lshlrev_b64 v[20:21], s20, v[2:3]
	v_lshrrev_b32_e32 v20, 21, v21
	v_lshrrev_b32_e32 v21, 30, v21
	v_and_or_b32 v20, v20, s30, v0
	v_and_b32_e32 v21, 2, v21
	v_lshl_or_b32 v33, v20, 2, v21
	ds_read_u16 v32, v33
	v_lshlrev_b64 v[20:21], s20, v[4:5]
	v_lshrrev_b32_e32 v20, 21, v21
	v_lshrrev_b32_e32 v21, 30, v21
	v_and_or_b32 v20, v20, s30, v0
	s_waitcnt lgkmcnt(0)
	v_add_u16_e32 v22, 1, v32
	v_and_b32_e32 v21, 2, v21
	ds_write_b16 v33, v22
	v_lshl_or_b32 v35, v20, 2, v21
	ds_read_u16 v34, v35
	s_waitcnt lgkmcnt(0)
	v_add_u16_e32 v20, 1, v34
	ds_write_b16 v35, v20
	v_lshlrev_b64 v[20:21], s20, v[6:7]
	v_lshrrev_b32_e32 v20, 21, v21
	v_lshrrev_b32_e32 v21, 30, v21
	v_and_or_b32 v20, v20, s30, v0
	v_and_b32_e32 v21, 2, v21
	v_lshl_or_b32 v37, v20, 2, v21
	ds_read_u16 v36, v37
	s_waitcnt lgkmcnt(0)
	v_add_u16_e32 v20, 1, v36
	ds_write_b16 v37, v20
	v_lshlrev_b64 v[20:21], s20, v[8:9]
	v_lshrrev_b32_e32 v20, 21, v21
	v_lshrrev_b32_e32 v21, 30, v21
	v_and_or_b32 v20, v20, s30, v0
	v_and_b32_e32 v21, 2, v21
	;; [unrolled: 10-line block ×6, first 2 shown]
	v_lshl_or_b32 v47, v20, 2, v21
	ds_read_u16 v46, v47
	s_waitcnt lgkmcnt(0)
	v_add_u16_e32 v20, 1, v46
	ds_write_b16 v47, v20
	s_waitcnt lgkmcnt(0)
	s_barrier
	ds_read2_b32 v[26:27], v28 offset1:1
	ds_read2_b32 v[24:25], v28 offset0:2 offset1:3
	ds_read2_b32 v[22:23], v28 offset0:4 offset1:5
	;; [unrolled: 1-line block ×3, first 2 shown]
	s_waitcnt lgkmcnt(3)
	v_add_u32_e32 v48, v27, v26
	s_waitcnt lgkmcnt(2)
	v_add3_u32 v48, v48, v24, v25
	s_waitcnt lgkmcnt(1)
	v_add3_u32 v48, v48, v22, v23
	;; [unrolled: 2-line block ×3, first 2 shown]
	s_nop 1
	v_mov_b32_dpp v48, v21 row_shr:1 row_mask:0xf bank_mask:0xf
	v_cndmask_b32_e64 v48, v48, 0, s[8:9]
	v_add_u32_e32 v21, v48, v21
	s_nop 1
	v_mov_b32_dpp v48, v21 row_shr:2 row_mask:0xf bank_mask:0xf
	v_cndmask_b32_e64 v48, 0, v48, s[10:11]
	v_add_u32_e32 v21, v21, v48
	;; [unrolled: 4-line block ×4, first 2 shown]
	s_nop 1
	v_mov_b32_dpp v48, v21 row_bcast:15 row_mask:0xf bank_mask:0xf
	v_cndmask_b32_e64 v48, v48, 0, s[16:17]
	v_add_u32_e32 v21, v21, v48
	s_nop 1
	v_mov_b32_dpp v48, v21 row_bcast:31 row_mask:0xf bank_mask:0xf
	v_cndmask_b32_e64 v48, 0, v48, s[2:3]
	v_add_u32_e32 v21, v21, v48
	s_and_saveexec_b64 s[20:21], s[4:5]
	s_cbranch_execz .LBB97_12
; %bb.11:                               ;   in Loop: Header=BB97_4 Depth=2
	ds_write_b32 v30, v21 offset:4096
.LBB97_12:                              ;   in Loop: Header=BB97_4 Depth=2
	s_or_b64 exec, exec, s[20:21]
	s_waitcnt lgkmcnt(0)
	s_barrier
	s_and_saveexec_b64 s[20:21], vcc
	s_cbranch_execz .LBB97_14
; %bb.13:                               ;   in Loop: Header=BB97_4 Depth=2
	ds_read_b32 v48, v29 offset:4096
	s_waitcnt lgkmcnt(0)
	s_nop 0
	v_mov_b32_dpp v49, v48 row_shr:1 row_mask:0xf bank_mask:0xf
	v_cndmask_b32_e64 v49, v49, 0, s[18:19]
	v_add_u32_e32 v48, v49, v48
	ds_write_b32 v29, v48 offset:4096
.LBB97_14:                              ;   in Loop: Header=BB97_4 Depth=2
	s_or_b64 exec, exec, s[20:21]
	v_mov_b32_e32 v48, 0
	s_waitcnt lgkmcnt(0)
	s_barrier
	s_and_saveexec_b64 s[20:21], s[0:1]
	s_cbranch_execz .LBB97_3
; %bb.15:                               ;   in Loop: Header=BB97_4 Depth=2
	ds_read_b32 v48, v30 offset:4092
	s_branch .LBB97_3
.LBB97_16:
	ds_read_u16 v3, v40
	ds_read_u16 v2, v37
	;; [unrolled: 1-line block ×8, first 2 shown]
	s_lshl_b64 s[0:1], s[24:25], 2
	s_add_u32 s0, s22, s0
	s_waitcnt lgkmcnt(4)
	v_add_u32_sdwa v0, v0, v32 dst_sel:DWORD dst_unused:UNUSED_PAD src0_sel:DWORD src1_sel:WORD_0
	v_add_u32_sdwa v1, v1, v34 dst_sel:DWORD dst_unused:UNUSED_PAD src0_sel:DWORD src1_sel:WORD_0
	;; [unrolled: 1-line block ×4, first 2 shown]
	s_addc_u32 s1, s23, s1
	v_lshlrev_b32_e32 v8, 2, v18
	s_waitcnt lgkmcnt(0)
	v_add_u32_sdwa v4, v4, v39 dst_sel:DWORD dst_unused:UNUSED_PAD src0_sel:DWORD src1_sel:WORD_0
	v_add_u32_sdwa v5, v5, v42 dst_sel:DWORD dst_unused:UNUSED_PAD src0_sel:DWORD src1_sel:WORD_0
	;; [unrolled: 1-line block ×4, first 2 shown]
	global_store_dwordx4 v8, v[0:3], s[0:1]
	global_store_dwordx4 v8, v[4:7], s[0:1] offset:16
	s_endpgm
	.section	.rodata,"a",@progbits
	.p2align	6, 0x0
	.amdhsa_kernel _Z11rank_kernelIxLj4ELb0EL18RadixRankAlgorithm1ELj128ELj8ELj10EEvPKT_Pi
		.amdhsa_group_segment_fixed_size 4104
		.amdhsa_private_segment_fixed_size 0
		.amdhsa_kernarg_size 16
		.amdhsa_user_sgpr_count 6
		.amdhsa_user_sgpr_private_segment_buffer 1
		.amdhsa_user_sgpr_dispatch_ptr 0
		.amdhsa_user_sgpr_queue_ptr 0
		.amdhsa_user_sgpr_kernarg_segment_ptr 1
		.amdhsa_user_sgpr_dispatch_id 0
		.amdhsa_user_sgpr_flat_scratch_init 0
		.amdhsa_user_sgpr_kernarg_preload_length 0
		.amdhsa_user_sgpr_kernarg_preload_offset 0
		.amdhsa_user_sgpr_private_segment_size 0
		.amdhsa_uses_dynamic_stack 0
		.amdhsa_system_sgpr_private_segment_wavefront_offset 0
		.amdhsa_system_sgpr_workgroup_id_x 1
		.amdhsa_system_sgpr_workgroup_id_y 0
		.amdhsa_system_sgpr_workgroup_id_z 0
		.amdhsa_system_sgpr_workgroup_info 0
		.amdhsa_system_vgpr_workitem_id 0
		.amdhsa_next_free_vgpr 50
		.amdhsa_next_free_sgpr 38
		.amdhsa_accum_offset 52
		.amdhsa_reserve_vcc 1
		.amdhsa_reserve_flat_scratch 0
		.amdhsa_float_round_mode_32 0
		.amdhsa_float_round_mode_16_64 0
		.amdhsa_float_denorm_mode_32 3
		.amdhsa_float_denorm_mode_16_64 3
		.amdhsa_dx10_clamp 1
		.amdhsa_ieee_mode 1
		.amdhsa_fp16_overflow 0
		.amdhsa_tg_split 0
		.amdhsa_exception_fp_ieee_invalid_op 0
		.amdhsa_exception_fp_denorm_src 0
		.amdhsa_exception_fp_ieee_div_zero 0
		.amdhsa_exception_fp_ieee_overflow 0
		.amdhsa_exception_fp_ieee_underflow 0
		.amdhsa_exception_fp_ieee_inexact 0
		.amdhsa_exception_int_div_zero 0
	.end_amdhsa_kernel
	.section	.text._Z11rank_kernelIxLj4ELb0EL18RadixRankAlgorithm1ELj128ELj8ELj10EEvPKT_Pi,"axG",@progbits,_Z11rank_kernelIxLj4ELb0EL18RadixRankAlgorithm1ELj128ELj8ELj10EEvPKT_Pi,comdat
.Lfunc_end97:
	.size	_Z11rank_kernelIxLj4ELb0EL18RadixRankAlgorithm1ELj128ELj8ELj10EEvPKT_Pi, .Lfunc_end97-_Z11rank_kernelIxLj4ELb0EL18RadixRankAlgorithm1ELj128ELj8ELj10EEvPKT_Pi
                                        ; -- End function
	.section	.AMDGPU.csdata,"",@progbits
; Kernel info:
; codeLenInByte = 1628
; NumSgprs: 42
; NumVgprs: 50
; NumAgprs: 0
; TotalNumVgprs: 50
; ScratchSize: 0
; MemoryBound: 0
; FloatMode: 240
; IeeeMode: 1
; LDSByteSize: 4104 bytes/workgroup (compile time only)
; SGPRBlocks: 5
; VGPRBlocks: 6
; NumSGPRsForWavesPerEU: 42
; NumVGPRsForWavesPerEU: 50
; AccumOffset: 52
; Occupancy: 8
; WaveLimiterHint : 0
; COMPUTE_PGM_RSRC2:SCRATCH_EN: 0
; COMPUTE_PGM_RSRC2:USER_SGPR: 6
; COMPUTE_PGM_RSRC2:TRAP_HANDLER: 0
; COMPUTE_PGM_RSRC2:TGID_X_EN: 1
; COMPUTE_PGM_RSRC2:TGID_Y_EN: 0
; COMPUTE_PGM_RSRC2:TGID_Z_EN: 0
; COMPUTE_PGM_RSRC2:TIDIG_COMP_CNT: 0
; COMPUTE_PGM_RSRC3_GFX90A:ACCUM_OFFSET: 12
; COMPUTE_PGM_RSRC3_GFX90A:TG_SPLIT: 0
	.section	.text._Z11rank_kernelIxLj4ELb0EL18RadixRankAlgorithm2ELj128ELj8ELj10EEvPKT_Pi,"axG",@progbits,_Z11rank_kernelIxLj4ELb0EL18RadixRankAlgorithm2ELj128ELj8ELj10EEvPKT_Pi,comdat
	.protected	_Z11rank_kernelIxLj4ELb0EL18RadixRankAlgorithm2ELj128ELj8ELj10EEvPKT_Pi ; -- Begin function _Z11rank_kernelIxLj4ELb0EL18RadixRankAlgorithm2ELj128ELj8ELj10EEvPKT_Pi
	.globl	_Z11rank_kernelIxLj4ELb0EL18RadixRankAlgorithm2ELj128ELj8ELj10EEvPKT_Pi
	.p2align	8
	.type	_Z11rank_kernelIxLj4ELb0EL18RadixRankAlgorithm2ELj128ELj8ELj10EEvPKT_Pi,@function
_Z11rank_kernelIxLj4ELb0EL18RadixRankAlgorithm2ELj128ELj8ELj10EEvPKT_Pi: ; @_Z11rank_kernelIxLj4ELb0EL18RadixRankAlgorithm2ELj128ELj8ELj10EEvPKT_Pi
; %bb.0:
	s_load_dwordx4 s[24:27], s[4:5], 0x0
	s_load_dword s20, s[4:5], 0x1c
	s_lshl_b32 s28, s6, 10
	s_mov_b32 s29, 0
	s_lshl_b64 s[0:1], s[28:29], 3
	s_waitcnt lgkmcnt(0)
	s_add_u32 s0, s24, s0
	v_and_b32_e32 v20, 0x3ff, v0
	s_addc_u32 s1, s25, s1
	v_lshlrev_b32_e32 v1, 6, v20
	global_load_dwordx4 v[2:5], v1, s[0:1]
	global_load_dwordx4 v[6:9], v1, s[0:1] offset:16
	global_load_dwordx4 v[10:13], v1, s[0:1] offset:32
	;; [unrolled: 1-line block ×3, first 2 shown]
	v_mbcnt_lo_u32_b32 v1, -1, 0
	v_mbcnt_hi_u32_b32 v22, -1, v1
	v_bfe_u32 v19, v0, 10, 10
	v_bfe_u32 v21, v0, 20, 10
	v_add_u32_e32 v26, -1, v22
	v_and_b32_e32 v27, 64, v22
	s_lshr_b32 s21, s20, 16
	v_and_b32_e32 v23, 15, v22
	v_or_b32_e32 v25, 63, v20
	v_lshrrev_b32_e32 v28, 4, v20
	v_cmp_lt_i32_e64 s[18:19], v26, v27
	s_and_b32 s20, s20, 0xffff
	v_mad_u32_u24 v19, v21, s21, v19
	v_lshlrev_b32_e32 v0, 3, v20
	v_lshlrev_b32_e32 v1, 2, v20
	v_and_b32_e32 v24, 16, v22
	v_cmp_lt_u32_e32 vcc, 31, v22
	v_cmp_gt_u32_e64 s[0:1], 2, v20
	v_cmp_lt_u32_e64 s[2:3], 63, v20
	v_cmp_eq_u32_e64 s[4:5], 0, v22
	v_and_b32_e32 v29, 1, v22
	v_cmp_eq_u32_e64 s[6:7], 0, v23
	v_cmp_lt_u32_e64 s[8:9], 1, v23
	v_cmp_lt_u32_e64 s[10:11], 3, v23
	;; [unrolled: 1-line block ×3, first 2 shown]
	v_cmp_eq_u32_e64 s[16:17], v25, v20
	v_cndmask_b32_e64 v23, v26, v22, s[18:19]
	v_and_b32_e32 v22, 4, v28
	v_mad_u64_u32 v[20:21], s[20:21], v19, s20, v[20:21]
	v_mov_b32_e32 v18, 0
	v_cmp_eq_u32_e64 s[14:15], 0, v24
	v_cmp_eq_u32_e64 s[18:19], 0, v29
	v_lshlrev_b32_e32 v23, 2, v23
	v_add_u32_e32 v24, -4, v22
	v_lshrrev_b32_e32 v25, 6, v20
	s_mov_b32 s30, s29
	s_waitcnt vmcnt(3)
	v_xor_b32_e32 v3, 0x80000000, v3
	v_xor_b32_e32 v5, 0x80000000, v5
	s_waitcnt vmcnt(2)
	v_xor_b32_e32 v7, 0x80000000, v7
	v_xor_b32_e32 v9, 0x80000000, v9
	s_waitcnt vmcnt(1)
	v_xor_b32_e32 v11, 0x80000000, v11
	v_xor_b32_e32 v13, 0x80000000, v13
	s_waitcnt vmcnt(0)
	v_xor_b32_e32 v15, 0x80000000, v15
	v_xor_b32_e32 v17, 0x80000000, v17
	s_branch .LBB98_2
.LBB98_1:                               ;   in Loop: Header=BB98_2 Depth=1
	s_add_i32 s30, s30, 1
	s_cmp_eq_u32 s30, 10
	s_cbranch_scc1 .LBB98_26
.LBB98_2:                               ; =>This Loop Header: Depth=1
                                        ;     Child Loop BB98_4 Depth 2
	s_mov_b64 s[24:25], 60
	s_mov_b32 s31, -4
	s_branch .LBB98_4
.LBB98_3:                               ;   in Loop: Header=BB98_4 Depth=2
	s_or_b64 exec, exec, s[20:21]
	s_waitcnt lgkmcnt(0)
	v_add_u32_e32 v20, v21, v20
	ds_bpermute_b32 v20, v23, v20
	s_add_i32 s31, s31, 4
	s_add_u32 s24, s24, -4
	s_addc_u32 s25, s25, -1
	s_cmp_lt_u32 s31, 60
	s_waitcnt lgkmcnt(0)
	v_cndmask_b32_e64 v20, v20, v21, s[4:5]
	ds_write_b32 v1, v20 offset:8
	s_waitcnt lgkmcnt(0)
	s_barrier
	s_cbranch_scc0 .LBB98_1
.LBB98_4:                               ;   Parent Loop BB98_2 Depth=1
                                        ; =>  This Inner Loop Header: Depth=2
	v_lshlrev_b64 v[20:21], s24, v[2:3]
	v_lshrrev_b32_e32 v27, 28, v21
	v_mad_u32_u24 v19, v27, 3, v25
	v_lshl_add_u32 v26, v19, 2, 8
	v_bfe_u32 v19, v21, 28, 1
	v_add_co_u32_e64 v28, s[20:21], -1, v19
	v_addc_co_u32_e64 v29, s[20:21], 0, -1, s[20:21]
	v_cmp_ne_u32_e64 s[20:21], 0, v19
	v_xor_b32_e32 v19, s21, v29
	v_and_b32_e32 v29, exec_hi, v19
	v_lshlrev_b32_e32 v19, 30, v27
	v_xor_b32_e32 v28, s20, v28
	v_cmp_gt_i64_e64 s[20:21], 0, v[18:19]
	v_not_b32_e32 v19, v19
	v_ashrrev_i32_e32 v19, 31, v19
	v_and_b32_e32 v28, exec_lo, v28
	v_xor_b32_e32 v30, s21, v19
	v_xor_b32_e32 v19, s20, v19
	v_and_b32_e32 v28, v28, v19
	v_lshlrev_b32_e32 v19, 29, v27
	v_cmp_gt_i64_e64 s[20:21], 0, v[18:19]
	v_not_b32_e32 v19, v19
	v_ashrrev_i32_e32 v19, 31, v19
	v_xor_b32_e32 v27, s21, v19
	v_xor_b32_e32 v19, s20, v19
	v_cmp_gt_i64_e64 s[20:21], 0, v[20:21]
	v_not_b32_e32 v20, v21
	v_ashrrev_i32_e32 v20, 31, v20
	v_and_b32_e32 v29, v29, v30
	v_and_b32_e32 v19, v28, v19
	v_xor_b32_e32 v21, s21, v20
	v_xor_b32_e32 v20, s20, v20
	v_and_b32_e32 v27, v29, v27
	v_and_b32_e32 v20, v19, v20
	;; [unrolled: 1-line block ×3, first 2 shown]
	v_mbcnt_lo_u32_b32 v19, v20, 0
	v_mbcnt_hi_u32_b32 v27, v21, v19
	v_cmp_eq_u32_e64 s[20:21], 0, v27
	v_cmp_ne_u64_e64 s[22:23], 0, v[20:21]
	s_and_b64 s[22:23], s[22:23], s[20:21]
	ds_write_b32 v1, v18 offset:8
	s_waitcnt lgkmcnt(0)
	s_barrier
	s_waitcnt lgkmcnt(0)
	; wave barrier
	s_and_saveexec_b64 s[20:21], s[22:23]
	s_cbranch_execz .LBB98_6
; %bb.5:                                ;   in Loop: Header=BB98_4 Depth=2
	v_bcnt_u32_b32 v19, v20, 0
	v_bcnt_u32_b32 v19, v21, v19
	ds_write_b32 v26, v19
.LBB98_6:                               ;   in Loop: Header=BB98_4 Depth=2
	s_or_b64 exec, exec, s[20:21]
	v_lshlrev_b64 v[20:21], s24, v[4:5]
	v_lshrrev_b32_e32 v30, 28, v21
	v_mul_u32_u24_e32 v19, 3, v30
	v_add_lshl_u32 v19, v25, v19, 2
	; wave barrier
	v_add_u32_e32 v29, 8, v19
	ds_read_b32 v28, v19 offset:8
	v_bfe_u32 v19, v21, 28, 1
	v_add_co_u32_e64 v31, s[20:21], -1, v19
	v_addc_co_u32_e64 v32, s[20:21], 0, -1, s[20:21]
	v_cmp_ne_u32_e64 s[20:21], 0, v19
	v_xor_b32_e32 v19, s21, v32
	v_and_b32_e32 v32, exec_hi, v19
	v_lshlrev_b32_e32 v19, 30, v30
	v_xor_b32_e32 v31, s20, v31
	v_cmp_gt_i64_e64 s[20:21], 0, v[18:19]
	v_not_b32_e32 v19, v19
	v_ashrrev_i32_e32 v19, 31, v19
	v_and_b32_e32 v31, exec_lo, v31
	v_xor_b32_e32 v33, s21, v19
	v_xor_b32_e32 v19, s20, v19
	v_and_b32_e32 v31, v31, v19
	v_lshlrev_b32_e32 v19, 29, v30
	v_cmp_gt_i64_e64 s[20:21], 0, v[18:19]
	v_not_b32_e32 v19, v19
	v_ashrrev_i32_e32 v19, 31, v19
	v_xor_b32_e32 v30, s21, v19
	v_xor_b32_e32 v19, s20, v19
	v_cmp_gt_i64_e64 s[20:21], 0, v[20:21]
	v_not_b32_e32 v20, v21
	v_ashrrev_i32_e32 v20, 31, v20
	v_and_b32_e32 v32, v32, v33
	v_and_b32_e32 v19, v31, v19
	v_xor_b32_e32 v21, s21, v20
	v_xor_b32_e32 v20, s20, v20
	v_and_b32_e32 v30, v32, v30
	v_and_b32_e32 v20, v19, v20
	;; [unrolled: 1-line block ×3, first 2 shown]
	v_mbcnt_lo_u32_b32 v19, v20, 0
	v_mbcnt_hi_u32_b32 v30, v21, v19
	v_cmp_eq_u32_e64 s[20:21], 0, v30
	v_cmp_ne_u64_e64 s[22:23], 0, v[20:21]
	s_and_b64 s[22:23], s[22:23], s[20:21]
	; wave barrier
	s_and_saveexec_b64 s[20:21], s[22:23]
	s_cbranch_execz .LBB98_8
; %bb.7:                                ;   in Loop: Header=BB98_4 Depth=2
	v_bcnt_u32_b32 v19, v20, 0
	v_bcnt_u32_b32 v19, v21, v19
	s_waitcnt lgkmcnt(0)
	v_add_u32_e32 v19, v28, v19
	ds_write_b32 v29, v19
.LBB98_8:                               ;   in Loop: Header=BB98_4 Depth=2
	s_or_b64 exec, exec, s[20:21]
	v_lshlrev_b64 v[20:21], s24, v[6:7]
	v_lshrrev_b32_e32 v33, 28, v21
	v_mul_u32_u24_e32 v19, 3, v33
	v_add_lshl_u32 v19, v25, v19, 2
	; wave barrier
	v_add_u32_e32 v32, 8, v19
	ds_read_b32 v31, v19 offset:8
	v_bfe_u32 v19, v21, 28, 1
	v_add_co_u32_e64 v34, s[20:21], -1, v19
	v_addc_co_u32_e64 v35, s[20:21], 0, -1, s[20:21]
	v_cmp_ne_u32_e64 s[20:21], 0, v19
	v_xor_b32_e32 v19, s21, v35
	v_and_b32_e32 v35, exec_hi, v19
	v_lshlrev_b32_e32 v19, 30, v33
	v_xor_b32_e32 v34, s20, v34
	v_cmp_gt_i64_e64 s[20:21], 0, v[18:19]
	v_not_b32_e32 v19, v19
	v_ashrrev_i32_e32 v19, 31, v19
	v_and_b32_e32 v34, exec_lo, v34
	v_xor_b32_e32 v36, s21, v19
	v_xor_b32_e32 v19, s20, v19
	v_and_b32_e32 v34, v34, v19
	v_lshlrev_b32_e32 v19, 29, v33
	v_cmp_gt_i64_e64 s[20:21], 0, v[18:19]
	v_not_b32_e32 v19, v19
	v_ashrrev_i32_e32 v19, 31, v19
	v_xor_b32_e32 v33, s21, v19
	v_xor_b32_e32 v19, s20, v19
	v_cmp_gt_i64_e64 s[20:21], 0, v[20:21]
	v_not_b32_e32 v20, v21
	v_ashrrev_i32_e32 v20, 31, v20
	v_and_b32_e32 v35, v35, v36
	v_and_b32_e32 v19, v34, v19
	v_xor_b32_e32 v21, s21, v20
	v_xor_b32_e32 v20, s20, v20
	v_and_b32_e32 v33, v35, v33
	v_and_b32_e32 v20, v19, v20
	;; [unrolled: 1-line block ×3, first 2 shown]
	v_mbcnt_lo_u32_b32 v19, v20, 0
	v_mbcnt_hi_u32_b32 v33, v21, v19
	v_cmp_eq_u32_e64 s[20:21], 0, v33
	v_cmp_ne_u64_e64 s[22:23], 0, v[20:21]
	s_and_b64 s[22:23], s[22:23], s[20:21]
	; wave barrier
	s_and_saveexec_b64 s[20:21], s[22:23]
	s_cbranch_execz .LBB98_10
; %bb.9:                                ;   in Loop: Header=BB98_4 Depth=2
	v_bcnt_u32_b32 v19, v20, 0
	v_bcnt_u32_b32 v19, v21, v19
	s_waitcnt lgkmcnt(0)
	v_add_u32_e32 v19, v31, v19
	ds_write_b32 v32, v19
.LBB98_10:                              ;   in Loop: Header=BB98_4 Depth=2
	s_or_b64 exec, exec, s[20:21]
	v_lshlrev_b64 v[20:21], s24, v[8:9]
	v_lshrrev_b32_e32 v36, 28, v21
	v_mul_u32_u24_e32 v19, 3, v36
	v_add_lshl_u32 v19, v25, v19, 2
	; wave barrier
	v_add_u32_e32 v35, 8, v19
	ds_read_b32 v34, v19 offset:8
	v_bfe_u32 v19, v21, 28, 1
	v_add_co_u32_e64 v37, s[20:21], -1, v19
	v_addc_co_u32_e64 v38, s[20:21], 0, -1, s[20:21]
	v_cmp_ne_u32_e64 s[20:21], 0, v19
	v_xor_b32_e32 v19, s21, v38
	v_and_b32_e32 v38, exec_hi, v19
	v_lshlrev_b32_e32 v19, 30, v36
	v_xor_b32_e32 v37, s20, v37
	v_cmp_gt_i64_e64 s[20:21], 0, v[18:19]
	v_not_b32_e32 v19, v19
	v_ashrrev_i32_e32 v19, 31, v19
	v_and_b32_e32 v37, exec_lo, v37
	v_xor_b32_e32 v39, s21, v19
	v_xor_b32_e32 v19, s20, v19
	v_and_b32_e32 v37, v37, v19
	v_lshlrev_b32_e32 v19, 29, v36
	v_cmp_gt_i64_e64 s[20:21], 0, v[18:19]
	v_not_b32_e32 v19, v19
	v_ashrrev_i32_e32 v19, 31, v19
	v_xor_b32_e32 v36, s21, v19
	v_xor_b32_e32 v19, s20, v19
	v_cmp_gt_i64_e64 s[20:21], 0, v[20:21]
	v_not_b32_e32 v20, v21
	v_ashrrev_i32_e32 v20, 31, v20
	v_and_b32_e32 v38, v38, v39
	v_and_b32_e32 v19, v37, v19
	v_xor_b32_e32 v21, s21, v20
	v_xor_b32_e32 v20, s20, v20
	v_and_b32_e32 v36, v38, v36
	v_and_b32_e32 v20, v19, v20
	v_and_b32_e32 v21, v36, v21
	v_mbcnt_lo_u32_b32 v19, v20, 0
	v_mbcnt_hi_u32_b32 v36, v21, v19
	v_cmp_eq_u32_e64 s[20:21], 0, v36
	v_cmp_ne_u64_e64 s[22:23], 0, v[20:21]
	s_and_b64 s[22:23], s[22:23], s[20:21]
	; wave barrier
	s_and_saveexec_b64 s[20:21], s[22:23]
	s_cbranch_execz .LBB98_12
; %bb.11:                               ;   in Loop: Header=BB98_4 Depth=2
	v_bcnt_u32_b32 v19, v20, 0
	v_bcnt_u32_b32 v19, v21, v19
	s_waitcnt lgkmcnt(0)
	v_add_u32_e32 v19, v34, v19
	ds_write_b32 v35, v19
.LBB98_12:                              ;   in Loop: Header=BB98_4 Depth=2
	s_or_b64 exec, exec, s[20:21]
	v_lshlrev_b64 v[20:21], s24, v[10:11]
	v_lshrrev_b32_e32 v39, 28, v21
	v_mul_u32_u24_e32 v19, 3, v39
	v_add_lshl_u32 v19, v25, v19, 2
	; wave barrier
	v_add_u32_e32 v38, 8, v19
	ds_read_b32 v37, v19 offset:8
	v_bfe_u32 v19, v21, 28, 1
	v_add_co_u32_e64 v40, s[20:21], -1, v19
	v_addc_co_u32_e64 v41, s[20:21], 0, -1, s[20:21]
	v_cmp_ne_u32_e64 s[20:21], 0, v19
	v_xor_b32_e32 v19, s21, v41
	v_and_b32_e32 v41, exec_hi, v19
	v_lshlrev_b32_e32 v19, 30, v39
	v_xor_b32_e32 v40, s20, v40
	v_cmp_gt_i64_e64 s[20:21], 0, v[18:19]
	v_not_b32_e32 v19, v19
	v_ashrrev_i32_e32 v19, 31, v19
	v_and_b32_e32 v40, exec_lo, v40
	v_xor_b32_e32 v42, s21, v19
	v_xor_b32_e32 v19, s20, v19
	v_and_b32_e32 v40, v40, v19
	v_lshlrev_b32_e32 v19, 29, v39
	v_cmp_gt_i64_e64 s[20:21], 0, v[18:19]
	v_not_b32_e32 v19, v19
	v_ashrrev_i32_e32 v19, 31, v19
	v_xor_b32_e32 v39, s21, v19
	v_xor_b32_e32 v19, s20, v19
	v_cmp_gt_i64_e64 s[20:21], 0, v[20:21]
	v_not_b32_e32 v20, v21
	v_ashrrev_i32_e32 v20, 31, v20
	v_and_b32_e32 v41, v41, v42
	v_and_b32_e32 v19, v40, v19
	v_xor_b32_e32 v21, s21, v20
	v_xor_b32_e32 v20, s20, v20
	v_and_b32_e32 v39, v41, v39
	v_and_b32_e32 v20, v19, v20
	v_and_b32_e32 v21, v39, v21
	v_mbcnt_lo_u32_b32 v19, v20, 0
	v_mbcnt_hi_u32_b32 v39, v21, v19
	v_cmp_eq_u32_e64 s[20:21], 0, v39
	v_cmp_ne_u64_e64 s[22:23], 0, v[20:21]
	s_and_b64 s[22:23], s[22:23], s[20:21]
	; wave barrier
	s_and_saveexec_b64 s[20:21], s[22:23]
	s_cbranch_execz .LBB98_14
; %bb.13:                               ;   in Loop: Header=BB98_4 Depth=2
	v_bcnt_u32_b32 v19, v20, 0
	v_bcnt_u32_b32 v19, v21, v19
	s_waitcnt lgkmcnt(0)
	v_add_u32_e32 v19, v37, v19
	ds_write_b32 v38, v19
.LBB98_14:                              ;   in Loop: Header=BB98_4 Depth=2
	;; [unrolled: 54-line block ×5, first 2 shown]
	s_or_b64 exec, exec, s[20:21]
	; wave barrier
	s_waitcnt lgkmcnt(0)
	s_barrier
	ds_read_b32 v20, v1 offset:8
	s_waitcnt lgkmcnt(0)
	s_nop 0
	v_mov_b32_dpp v21, v20 row_shr:1 row_mask:0xf bank_mask:0xf
	v_cndmask_b32_e64 v21, v21, 0, s[6:7]
	v_add_u32_e32 v20, v21, v20
	s_nop 1
	v_mov_b32_dpp v21, v20 row_shr:2 row_mask:0xf bank_mask:0xf
	v_cndmask_b32_e64 v21, 0, v21, s[8:9]
	v_add_u32_e32 v20, v20, v21
	;; [unrolled: 4-line block ×4, first 2 shown]
	s_nop 1
	v_mov_b32_dpp v21, v20 row_bcast:15 row_mask:0xf bank_mask:0xf
	v_cndmask_b32_e64 v21, v21, 0, s[14:15]
	v_add_u32_e32 v20, v20, v21
	s_nop 1
	v_mov_b32_dpp v21, v20 row_bcast:31 row_mask:0xf bank_mask:0xf
	v_cndmask_b32_e32 v21, 0, v21, vcc
	v_add_u32_e32 v20, v20, v21
	s_and_saveexec_b64 s[20:21], s[16:17]
	s_xor_b64 s[20:21], exec, s[20:21]
	s_cbranch_execz .LBB98_22
; %bb.21:                               ;   in Loop: Header=BB98_4 Depth=2
	ds_write_b32 v22, v20
.LBB98_22:                              ;   in Loop: Header=BB98_4 Depth=2
	s_or_b64 exec, exec, s[20:21]
	s_waitcnt lgkmcnt(0)
	s_barrier
	s_and_saveexec_b64 s[20:21], s[0:1]
	s_cbranch_execz .LBB98_24
; %bb.23:                               ;   in Loop: Header=BB98_4 Depth=2
	ds_read_b32 v21, v1
	s_waitcnt lgkmcnt(0)
	s_nop 0
	v_mov_b32_dpp v48, v21 row_shr:1 row_mask:0xf bank_mask:0xf
	v_cndmask_b32_e64 v48, v48, 0, s[18:19]
	v_add_u32_e32 v21, v48, v21
	ds_write_b32 v1, v21
.LBB98_24:                              ;   in Loop: Header=BB98_4 Depth=2
	s_or_b64 exec, exec, s[20:21]
	v_mov_b32_e32 v21, 0
	s_waitcnt lgkmcnt(0)
	s_barrier
	s_and_saveexec_b64 s[20:21], s[2:3]
	s_cbranch_execz .LBB98_3
; %bb.25:                               ;   in Loop: Header=BB98_4 Depth=2
	ds_read_b32 v21, v24
	s_branch .LBB98_3
.LBB98_26:
	ds_read_b32 v4, v47
	ds_read_b32 v5, v44
	;; [unrolled: 1-line block ×8, first 2 shown]
	s_lshl_b64 s[0:1], s[28:29], 2
	s_add_u32 s0, s26, s0
	s_addc_u32 s1, s27, s1
	v_lshlrev_b32_e32 v9, 2, v0
	s_waitcnt lgkmcnt(1)
	v_add3_u32 v1, v30, v28, v1
	s_waitcnt lgkmcnt(0)
	v_add_u32_e32 v0, v3, v27
	v_add3_u32 v3, v36, v34, v2
	v_add3_u32 v2, v33, v31, v8
	global_store_dwordx4 v9, v[0:3], s[0:1]
	s_nop 0
	v_add3_u32 v1, v42, v40, v6
	v_add3_u32 v0, v39, v37, v7
	;; [unrolled: 1-line block ×4, first 2 shown]
	global_store_dwordx4 v9, v[0:3], s[0:1] offset:16
	s_endpgm
	.section	.rodata,"a",@progbits
	.p2align	6, 0x0
	.amdhsa_kernel _Z11rank_kernelIxLj4ELb0EL18RadixRankAlgorithm2ELj128ELj8ELj10EEvPKT_Pi
		.amdhsa_group_segment_fixed_size 520
		.amdhsa_private_segment_fixed_size 0
		.amdhsa_kernarg_size 272
		.amdhsa_user_sgpr_count 6
		.amdhsa_user_sgpr_private_segment_buffer 1
		.amdhsa_user_sgpr_dispatch_ptr 0
		.amdhsa_user_sgpr_queue_ptr 0
		.amdhsa_user_sgpr_kernarg_segment_ptr 1
		.amdhsa_user_sgpr_dispatch_id 0
		.amdhsa_user_sgpr_flat_scratch_init 0
		.amdhsa_user_sgpr_kernarg_preload_length 0
		.amdhsa_user_sgpr_kernarg_preload_offset 0
		.amdhsa_user_sgpr_private_segment_size 0
		.amdhsa_uses_dynamic_stack 0
		.amdhsa_system_sgpr_private_segment_wavefront_offset 0
		.amdhsa_system_sgpr_workgroup_id_x 1
		.amdhsa_system_sgpr_workgroup_id_y 0
		.amdhsa_system_sgpr_workgroup_id_z 0
		.amdhsa_system_sgpr_workgroup_info 0
		.amdhsa_system_vgpr_workitem_id 2
		.amdhsa_next_free_vgpr 52
		.amdhsa_next_free_sgpr 32
		.amdhsa_accum_offset 52
		.amdhsa_reserve_vcc 1
		.amdhsa_reserve_flat_scratch 0
		.amdhsa_float_round_mode_32 0
		.amdhsa_float_round_mode_16_64 0
		.amdhsa_float_denorm_mode_32 3
		.amdhsa_float_denorm_mode_16_64 3
		.amdhsa_dx10_clamp 1
		.amdhsa_ieee_mode 1
		.amdhsa_fp16_overflow 0
		.amdhsa_tg_split 0
		.amdhsa_exception_fp_ieee_invalid_op 0
		.amdhsa_exception_fp_denorm_src 0
		.amdhsa_exception_fp_ieee_div_zero 0
		.amdhsa_exception_fp_ieee_overflow 0
		.amdhsa_exception_fp_ieee_underflow 0
		.amdhsa_exception_fp_ieee_inexact 0
		.amdhsa_exception_int_div_zero 0
	.end_amdhsa_kernel
	.section	.text._Z11rank_kernelIxLj4ELb0EL18RadixRankAlgorithm2ELj128ELj8ELj10EEvPKT_Pi,"axG",@progbits,_Z11rank_kernelIxLj4ELb0EL18RadixRankAlgorithm2ELj128ELj8ELj10EEvPKT_Pi,comdat
.Lfunc_end98:
	.size	_Z11rank_kernelIxLj4ELb0EL18RadixRankAlgorithm2ELj128ELj8ELj10EEvPKT_Pi, .Lfunc_end98-_Z11rank_kernelIxLj4ELb0EL18RadixRankAlgorithm2ELj128ELj8ELj10EEvPKT_Pi
                                        ; -- End function
	.section	.AMDGPU.csdata,"",@progbits
; Kernel info:
; codeLenInByte = 3080
; NumSgprs: 36
; NumVgprs: 52
; NumAgprs: 0
; TotalNumVgprs: 52
; ScratchSize: 0
; MemoryBound: 0
; FloatMode: 240
; IeeeMode: 1
; LDSByteSize: 520 bytes/workgroup (compile time only)
; SGPRBlocks: 4
; VGPRBlocks: 6
; NumSGPRsForWavesPerEU: 36
; NumVGPRsForWavesPerEU: 52
; AccumOffset: 52
; Occupancy: 8
; WaveLimiterHint : 0
; COMPUTE_PGM_RSRC2:SCRATCH_EN: 0
; COMPUTE_PGM_RSRC2:USER_SGPR: 6
; COMPUTE_PGM_RSRC2:TRAP_HANDLER: 0
; COMPUTE_PGM_RSRC2:TGID_X_EN: 1
; COMPUTE_PGM_RSRC2:TGID_Y_EN: 0
; COMPUTE_PGM_RSRC2:TGID_Z_EN: 0
; COMPUTE_PGM_RSRC2:TIDIG_COMP_CNT: 2
; COMPUTE_PGM_RSRC3_GFX90A:ACCUM_OFFSET: 12
; COMPUTE_PGM_RSRC3_GFX90A:TG_SPLIT: 0
	.section	.text._Z11rank_kernelIxLj4ELb0EL18RadixRankAlgorithm0ELj128ELj16ELj10EEvPKT_Pi,"axG",@progbits,_Z11rank_kernelIxLj4ELb0EL18RadixRankAlgorithm0ELj128ELj16ELj10EEvPKT_Pi,comdat
	.protected	_Z11rank_kernelIxLj4ELb0EL18RadixRankAlgorithm0ELj128ELj16ELj10EEvPKT_Pi ; -- Begin function _Z11rank_kernelIxLj4ELb0EL18RadixRankAlgorithm0ELj128ELj16ELj10EEvPKT_Pi
	.globl	_Z11rank_kernelIxLj4ELb0EL18RadixRankAlgorithm0ELj128ELj16ELj10EEvPKT_Pi
	.p2align	8
	.type	_Z11rank_kernelIxLj4ELb0EL18RadixRankAlgorithm0ELj128ELj16ELj10EEvPKT_Pi,@function
_Z11rank_kernelIxLj4ELb0EL18RadixRankAlgorithm0ELj128ELj16ELj10EEvPKT_Pi: ; @_Z11rank_kernelIxLj4ELb0EL18RadixRankAlgorithm0ELj128ELj16ELj10EEvPKT_Pi
; %bb.0:
	s_load_dwordx4 s[20:23], s[4:5], 0x0
	s_lshl_b32 s24, s6, 11
	s_mov_b32 s25, 0
	s_lshl_b64 s[0:1], s[24:25], 3
	v_lshlrev_b32_e32 v1, 7, v0
	s_waitcnt lgkmcnt(0)
	s_add_u32 s0, s20, s0
	s_addc_u32 s1, s21, s1
	global_load_dwordx4 v[2:5], v1, s[0:1]
	global_load_dwordx4 v[6:9], v1, s[0:1] offset:16
	global_load_dwordx4 v[10:13], v1, s[0:1] offset:32
	global_load_dwordx4 v[14:17], v1, s[0:1] offset:48
	global_load_dwordx4 v[18:21], v1, s[0:1] offset:64
	global_load_dwordx4 v[22:25], v1, s[0:1] offset:80
	global_load_dwordx4 v[26:29], v1, s[0:1] offset:96
	global_load_dwordx4 v[30:33], v1, s[0:1] offset:112
	v_mbcnt_lo_u32_b32 v1, -1, 0
	v_mbcnt_hi_u32_b32 v36, -1, v1
	v_or_b32_e32 v37, 63, v0
	v_cmp_eq_u32_e64 s[4:5], v37, v0
	v_add_u32_e32 v37, -1, v36
	v_and_b32_e32 v43, 64, v36
	v_cmp_lt_i32_e64 s[18:19], v37, v43
	v_lshrrev_b32_e32 v40, 4, v0
	v_and_b32_e32 v41, 15, v36
	v_and_b32_e32 v42, 16, v36
	v_cmp_lt_u32_e64 s[2:3], 31, v36
	v_cmp_eq_u32_e64 s[6:7], 0, v36
	v_and_b32_e32 v44, 1, v36
	v_cndmask_b32_e64 v36, v37, v36, s[18:19]
	v_mov_b32_e32 v35, 0
	s_movk_i32 s30, 0x380
	v_lshlrev_b32_e32 v34, 4, v0
	v_lshlrev_b32_e32 v38, 5, v0
	v_cmp_gt_u32_e32 vcc, 2, v0
	v_cmp_lt_u32_e64 s[0:1], 63, v0
	v_lshlrev_b32_e32 v39, 2, v0
	v_or_b32_e32 v1, 0x80, v0
	v_and_b32_e32 v40, 4, v40
	v_cmp_eq_u32_e64 s[8:9], 0, v41
	v_cmp_lt_u32_e64 s[10:11], 1, v41
	v_cmp_lt_u32_e64 s[12:13], 3, v41
	;; [unrolled: 1-line block ×3, first 2 shown]
	v_cmp_eq_u32_e64 s[16:17], 0, v42
	v_cmp_eq_u32_e64 s[18:19], 0, v44
	v_lshlrev_b32_e32 v41, 2, v36
	s_mov_b32 s31, s25
	s_waitcnt vmcnt(7)
	v_xor_b32_e32 v3, 0x80000000, v3
	v_xor_b32_e32 v5, 0x80000000, v5
	s_waitcnt vmcnt(6)
	v_xor_b32_e32 v7, 0x80000000, v7
	v_xor_b32_e32 v9, 0x80000000, v9
	;; [unrolled: 3-line block ×8, first 2 shown]
	s_branch .LBB99_2
.LBB99_1:                               ;   in Loop: Header=BB99_2 Depth=1
	s_add_i32 s31, s31, 1
	s_cmp_eq_u32 s31, 10
	s_cbranch_scc1 .LBB99_16
.LBB99_2:                               ; =>This Loop Header: Depth=1
                                        ;     Child Loop BB99_4 Depth 2
                                        ;       Child Loop BB99_6 Depth 3
	s_mov_b32 s33, 0
	s_branch .LBB99_4
.LBB99_3:                               ;   in Loop: Header=BB99_4 Depth=2
	s_or_b64 exec, exec, s[20:21]
	s_waitcnt lgkmcnt(0)
	v_add_u32_e32 v72, v73, v72
	ds_bpermute_b32 v72, v41, v72
	s_add_i32 s20, s33, 4
	s_cmp_lt_u32 s33, 60
	s_mov_b32 s33, s20
	s_waitcnt lgkmcnt(0)
	v_cndmask_b32_e64 v72, v72, v73, s[6:7]
	ds_read_b32 v73, v35 offset:4100
	s_waitcnt lgkmcnt(0)
	v_lshl_add_u32 v74, v73, 16, v72
	ds_read2_b32 v[72:73], v38 offset1:1
	s_waitcnt lgkmcnt(0)
	v_add_u32_e32 v72, v74, v72
	ds_write2_b32 v38, v74, v72 offset1:1
	v_add_u32_e32 v74, v73, v72
	ds_read2_b32 v[72:73], v38 offset0:2 offset1:3
	s_waitcnt lgkmcnt(0)
	v_add_u32_e32 v72, v72, v74
	ds_write2_b32 v38, v74, v72 offset0:2 offset1:3
	v_add_u32_e32 v74, v73, v72
	ds_read2_b32 v[72:73], v38 offset0:4 offset1:5
	s_waitcnt lgkmcnt(0)
	v_add_u32_e32 v72, v72, v74
	ds_write2_b32 v38, v74, v72 offset0:4 offset1:5
	v_add_u32_e32 v72, v73, v72
	ds_read_b32 v73, v38 offset:24
	s_waitcnt lgkmcnt(0)
	v_add_u32_e32 v73, v73, v72
	ds_write2_b32 v38, v72, v73 offset0:6 offset1:7
	s_waitcnt lgkmcnt(0)
	s_barrier
	s_cbranch_scc0 .LBB99_1
.LBB99_4:                               ;   Parent Loop BB99_2 Depth=1
                                        ; =>  This Loop Header: Depth=2
                                        ;       Child Loop BB99_6 Depth 3
	s_mov_b32 s34, 0
	s_mov_b64 s[20:21], 0
	v_pk_mov_b32 v[36:37], v[0:1], v[0:1] op_sel:[0,1]
	s_branch .LBB99_6
.LBB99_5:                               ;   in Loop: Header=BB99_6 Depth=3
	s_or_b64 exec, exec, s[28:29]
	s_add_i32 s34, s34, 2
	v_cmp_eq_u32_e64 s[26:27], 8, s34
	v_add_u32_e32 v37, 0x100, v37
	s_or_b64 s[20:21], s[26:27], s[20:21]
	v_add_u32_e32 v36, 0x100, v36
	s_andn2_b64 exec, exec, s[20:21]
	s_cbranch_execz .LBB99_10
.LBB99_6:                               ;   Parent Loop BB99_2 Depth=1
                                        ;     Parent Loop BB99_4 Depth=2
                                        ; =>    This Inner Loop Header: Depth=3
	s_or_b32 s26, s34, 1
	v_cmp_le_u32_e64 s[26:27], s26, 7
	v_cmp_le_u32_e64 s[36:37], s34, 7
	s_and_saveexec_b64 s[28:29], s[36:37]
	s_cbranch_execz .LBB99_8
; %bb.7:                                ;   in Loop: Header=BB99_6 Depth=3
	v_lshlrev_b32_e32 v42, 2, v36
	ds_write_b32 v42, v35
.LBB99_8:                               ;   in Loop: Header=BB99_6 Depth=3
	s_or_b64 exec, exec, s[28:29]
	s_and_saveexec_b64 s[28:29], s[26:27]
	s_cbranch_execz .LBB99_5
; %bb.9:                                ;   in Loop: Header=BB99_6 Depth=3
	v_lshlrev_b32_e32 v42, 2, v37
	ds_write_b32 v42, v35
	s_branch .LBB99_5
.LBB99_10:                              ;   in Loop: Header=BB99_4 Depth=2
	s_or_b64 exec, exec, s[20:21]
	s_sub_i32 s20, 60, s33
	v_lshlrev_b64 v[36:37], s20, v[2:3]
	v_lshrrev_b32_e32 v36, 21, v37
	v_lshrrev_b32_e32 v37, 30, v37
	v_and_or_b32 v36, v36, s30, v0
	v_and_b32_e32 v37, 2, v37
	v_lshl_or_b32 v37, v36, 2, v37
	ds_read_u16 v36, v37
	v_lshlrev_b64 v[42:43], s20, v[4:5]
	v_lshrrev_b32_e32 v42, 21, v43
	v_lshrrev_b32_e32 v43, 30, v43
	v_and_or_b32 v42, v42, s30, v0
	s_waitcnt lgkmcnt(0)
	v_add_u16_e32 v44, 1, v36
	v_and_b32_e32 v43, 2, v43
	ds_write_b16 v37, v44
	v_lshl_or_b32 v44, v42, 2, v43
	ds_read_u16 v42, v44
	v_lshlrev_b64 v[46:47], s20, v[6:7]
	v_lshrrev_b32_e32 v45, 30, v47
	v_and_b32_e32 v45, 2, v45
	v_lshlrev_b64 v[48:49], s20, v[8:9]
	s_waitcnt lgkmcnt(0)
	v_add_u16_e32 v43, 1, v42
	ds_write_b16 v44, v43
	v_lshrrev_b32_e32 v43, 21, v47
	v_and_or_b32 v43, v43, s30, v0
	v_lshl_or_b32 v46, v43, 2, v45
	ds_read_u16 v43, v46
	v_lshrrev_b32_e32 v47, 30, v49
	v_and_b32_e32 v47, 2, v47
	v_lshlrev_b64 v[50:51], s20, v[10:11]
	v_lshlrev_b64 v[52:53], s20, v[12:13]
	s_waitcnt lgkmcnt(0)
	v_add_u16_e32 v45, 1, v43
	ds_write_b16 v46, v45
	v_lshrrev_b32_e32 v45, 21, v49
	v_and_or_b32 v45, v45, s30, v0
	v_lshl_or_b32 v48, v45, 2, v47
	ds_read_u16 v45, v48
	v_lshrrev_b32_e32 v49, 30, v51
	v_and_b32_e32 v49, 2, v49
	v_lshlrev_b64 v[54:55], s20, v[14:15]
	;; [unrolled: 11-line block ×6, first 2 shown]
	v_lshlrev_b64 v[72:73], s20, v[32:33]
	s_waitcnt lgkmcnt(0)
	v_add_u16_e32 v55, 1, v53
	ds_write_b16 v56, v55
	v_lshrrev_b32_e32 v55, 21, v59
	v_and_or_b32 v55, v55, s30, v0
	v_lshl_or_b32 v58, v55, 2, v57
	ds_read_u16 v55, v58
	v_lshrrev_b32_e32 v59, 30, v61
	v_and_b32_e32 v59, 2, v59
	s_waitcnt lgkmcnt(0)
	v_add_u16_e32 v57, 1, v55
	ds_write_b16 v58, v57
	v_lshrrev_b32_e32 v57, 21, v61
	v_and_or_b32 v57, v57, s30, v0
	v_lshl_or_b32 v60, v57, 2, v59
	ds_read_u16 v57, v60
	v_lshrrev_b32_e32 v61, 30, v63
	v_and_b32_e32 v61, 2, v61
	;; [unrolled: 9-line block ×7, first 2 shown]
	s_waitcnt lgkmcnt(0)
	v_add_u16_e32 v69, 1, v67
	ds_write_b16 v70, v69
	v_lshrrev_b32_e32 v69, 21, v73
	v_and_or_b32 v69, v69, s30, v0
	v_lshl_or_b32 v71, v69, 2, v71
	ds_read_u16 v69, v71
	s_waitcnt lgkmcnt(0)
	v_add_u16_e32 v72, 1, v69
	ds_write_b16 v71, v72
	s_waitcnt lgkmcnt(0)
	s_barrier
	ds_read2_b32 v[72:73], v38 offset1:1
	s_waitcnt lgkmcnt(0)
	v_add_u32_e32 v74, v73, v72
	ds_read2_b32 v[72:73], v38 offset0:2 offset1:3
	s_waitcnt lgkmcnt(0)
	v_add3_u32 v74, v74, v72, v73
	ds_read2_b32 v[72:73], v38 offset0:4 offset1:5
	s_waitcnt lgkmcnt(0)
	v_add3_u32 v74, v74, v72, v73
	;; [unrolled: 3-line block ×3, first 2 shown]
	s_nop 1
	v_mov_b32_dpp v73, v72 row_shr:1 row_mask:0xf bank_mask:0xf
	v_cndmask_b32_e64 v73, v73, 0, s[8:9]
	v_add_u32_e32 v72, v73, v72
	s_nop 1
	v_mov_b32_dpp v73, v72 row_shr:2 row_mask:0xf bank_mask:0xf
	v_cndmask_b32_e64 v73, 0, v73, s[10:11]
	v_add_u32_e32 v72, v72, v73
	;; [unrolled: 4-line block ×4, first 2 shown]
	s_nop 1
	v_mov_b32_dpp v73, v72 row_bcast:15 row_mask:0xf bank_mask:0xf
	v_cndmask_b32_e64 v73, v73, 0, s[16:17]
	v_add_u32_e32 v72, v72, v73
	s_nop 1
	v_mov_b32_dpp v73, v72 row_bcast:31 row_mask:0xf bank_mask:0xf
	v_cndmask_b32_e64 v73, 0, v73, s[2:3]
	v_add_u32_e32 v72, v72, v73
	s_and_saveexec_b64 s[20:21], s[4:5]
	s_cbranch_execz .LBB99_12
; %bb.11:                               ;   in Loop: Header=BB99_4 Depth=2
	ds_write_b32 v40, v72 offset:4096
.LBB99_12:                              ;   in Loop: Header=BB99_4 Depth=2
	s_or_b64 exec, exec, s[20:21]
	s_waitcnt lgkmcnt(0)
	s_barrier
	s_and_saveexec_b64 s[20:21], vcc
	s_cbranch_execz .LBB99_14
; %bb.13:                               ;   in Loop: Header=BB99_4 Depth=2
	ds_read_b32 v73, v39 offset:4096
	s_waitcnt lgkmcnt(0)
	s_nop 0
	v_mov_b32_dpp v74, v73 row_shr:1 row_mask:0xf bank_mask:0xf
	v_cndmask_b32_e64 v74, v74, 0, s[18:19]
	v_add_u32_e32 v73, v74, v73
	ds_write_b32 v39, v73 offset:4096
.LBB99_14:                              ;   in Loop: Header=BB99_4 Depth=2
	s_or_b64 exec, exec, s[20:21]
	v_mov_b32_e32 v73, 0
	s_waitcnt lgkmcnt(0)
	s_barrier
	s_and_saveexec_b64 s[20:21], s[0:1]
	s_cbranch_execz .LBB99_3
; %bb.15:                               ;   in Loop: Header=BB99_4 Depth=2
	ds_read_b32 v73, v40 offset:4092
	s_branch .LBB99_3
.LBB99_16:
	ds_read_u16 v0, v71
	ds_read_u16 v1, v70
	;; [unrolled: 1-line block ×16, first 2 shown]
	s_lshl_b64 s[0:1], s[24:25], 2
	s_add_u32 s0, s22, s0
	s_waitcnt lgkmcnt(14)
	v_add_u32_sdwa v3, v0, v69 dst_sel:DWORD dst_unused:UNUSED_PAD src0_sel:DWORD src1_sel:WORD_0
	v_add_u32_sdwa v2, v1, v67 dst_sel:DWORD dst_unused:UNUSED_PAD src0_sel:DWORD src1_sel:WORD_0
	s_waitcnt lgkmcnt(13)
	v_add_u32_sdwa v1, v4, v65 dst_sel:DWORD dst_unused:UNUSED_PAD src0_sel:DWORD src1_sel:WORD_0
	s_waitcnt lgkmcnt(12)
	;; [unrolled: 2-line block ×13, first 2 shown]
	v_add_u32_sdwa v12, v18, v36 dst_sel:DWORD dst_unused:UNUSED_PAD src0_sel:DWORD src1_sel:WORD_0
	s_addc_u32 s1, s23, s1
	v_lshlrev_b32_e32 v16, 2, v34
	v_add_u32_sdwa v11, v11, v53 dst_sel:DWORD dst_unused:UNUSED_PAD src0_sel:DWORD src1_sel:WORD_0
	global_store_dwordx4 v16, v[12:15], s[0:1]
	global_store_dwordx4 v16, v[8:11], s[0:1] offset:16
	global_store_dwordx4 v16, v[4:7], s[0:1] offset:32
	;; [unrolled: 1-line block ×3, first 2 shown]
	s_endpgm
	.section	.rodata,"a",@progbits
	.p2align	6, 0x0
	.amdhsa_kernel _Z11rank_kernelIxLj4ELb0EL18RadixRankAlgorithm0ELj128ELj16ELj10EEvPKT_Pi
		.amdhsa_group_segment_fixed_size 4104
		.amdhsa_private_segment_fixed_size 0
		.amdhsa_kernarg_size 16
		.amdhsa_user_sgpr_count 6
		.amdhsa_user_sgpr_private_segment_buffer 1
		.amdhsa_user_sgpr_dispatch_ptr 0
		.amdhsa_user_sgpr_queue_ptr 0
		.amdhsa_user_sgpr_kernarg_segment_ptr 1
		.amdhsa_user_sgpr_dispatch_id 0
		.amdhsa_user_sgpr_flat_scratch_init 0
		.amdhsa_user_sgpr_kernarg_preload_length 0
		.amdhsa_user_sgpr_kernarg_preload_offset 0
		.amdhsa_user_sgpr_private_segment_size 0
		.amdhsa_uses_dynamic_stack 0
		.amdhsa_system_sgpr_private_segment_wavefront_offset 0
		.amdhsa_system_sgpr_workgroup_id_x 1
		.amdhsa_system_sgpr_workgroup_id_y 0
		.amdhsa_system_sgpr_workgroup_id_z 0
		.amdhsa_system_sgpr_workgroup_info 0
		.amdhsa_system_vgpr_workitem_id 0
		.amdhsa_next_free_vgpr 75
		.amdhsa_next_free_sgpr 38
		.amdhsa_accum_offset 76
		.amdhsa_reserve_vcc 1
		.amdhsa_reserve_flat_scratch 0
		.amdhsa_float_round_mode_32 0
		.amdhsa_float_round_mode_16_64 0
		.amdhsa_float_denorm_mode_32 3
		.amdhsa_float_denorm_mode_16_64 3
		.amdhsa_dx10_clamp 1
		.amdhsa_ieee_mode 1
		.amdhsa_fp16_overflow 0
		.amdhsa_tg_split 0
		.amdhsa_exception_fp_ieee_invalid_op 0
		.amdhsa_exception_fp_denorm_src 0
		.amdhsa_exception_fp_ieee_div_zero 0
		.amdhsa_exception_fp_ieee_overflow 0
		.amdhsa_exception_fp_ieee_underflow 0
		.amdhsa_exception_fp_ieee_inexact 0
		.amdhsa_exception_int_div_zero 0
	.end_amdhsa_kernel
	.section	.text._Z11rank_kernelIxLj4ELb0EL18RadixRankAlgorithm0ELj128ELj16ELj10EEvPKT_Pi,"axG",@progbits,_Z11rank_kernelIxLj4ELb0EL18RadixRankAlgorithm0ELj128ELj16ELj10EEvPKT_Pi,comdat
.Lfunc_end99:
	.size	_Z11rank_kernelIxLj4ELb0EL18RadixRankAlgorithm0ELj128ELj16ELj10EEvPKT_Pi, .Lfunc_end99-_Z11rank_kernelIxLj4ELb0EL18RadixRankAlgorithm0ELj128ELj16ELj10EEvPKT_Pi
                                        ; -- End function
	.section	.AMDGPU.csdata,"",@progbits
; Kernel info:
; codeLenInByte = 2460
; NumSgprs: 42
; NumVgprs: 75
; NumAgprs: 0
; TotalNumVgprs: 75
; ScratchSize: 0
; MemoryBound: 0
; FloatMode: 240
; IeeeMode: 1
; LDSByteSize: 4104 bytes/workgroup (compile time only)
; SGPRBlocks: 5
; VGPRBlocks: 9
; NumSGPRsForWavesPerEU: 42
; NumVGPRsForWavesPerEU: 75
; AccumOffset: 76
; Occupancy: 6
; WaveLimiterHint : 0
; COMPUTE_PGM_RSRC2:SCRATCH_EN: 0
; COMPUTE_PGM_RSRC2:USER_SGPR: 6
; COMPUTE_PGM_RSRC2:TRAP_HANDLER: 0
; COMPUTE_PGM_RSRC2:TGID_X_EN: 1
; COMPUTE_PGM_RSRC2:TGID_Y_EN: 0
; COMPUTE_PGM_RSRC2:TGID_Z_EN: 0
; COMPUTE_PGM_RSRC2:TIDIG_COMP_CNT: 0
; COMPUTE_PGM_RSRC3_GFX90A:ACCUM_OFFSET: 18
; COMPUTE_PGM_RSRC3_GFX90A:TG_SPLIT: 0
	.section	.text._Z11rank_kernelIxLj4ELb0EL18RadixRankAlgorithm1ELj128ELj16ELj10EEvPKT_Pi,"axG",@progbits,_Z11rank_kernelIxLj4ELb0EL18RadixRankAlgorithm1ELj128ELj16ELj10EEvPKT_Pi,comdat
	.protected	_Z11rank_kernelIxLj4ELb0EL18RadixRankAlgorithm1ELj128ELj16ELj10EEvPKT_Pi ; -- Begin function _Z11rank_kernelIxLj4ELb0EL18RadixRankAlgorithm1ELj128ELj16ELj10EEvPKT_Pi
	.globl	_Z11rank_kernelIxLj4ELb0EL18RadixRankAlgorithm1ELj128ELj16ELj10EEvPKT_Pi
	.p2align	8
	.type	_Z11rank_kernelIxLj4ELb0EL18RadixRankAlgorithm1ELj128ELj16ELj10EEvPKT_Pi,@function
_Z11rank_kernelIxLj4ELb0EL18RadixRankAlgorithm1ELj128ELj16ELj10EEvPKT_Pi: ; @_Z11rank_kernelIxLj4ELb0EL18RadixRankAlgorithm1ELj128ELj16ELj10EEvPKT_Pi
; %bb.0:
	s_load_dwordx4 s[20:23], s[4:5], 0x0
	s_lshl_b32 s24, s6, 11
	s_mov_b32 s25, 0
	s_lshl_b64 s[0:1], s[24:25], 3
	v_lshlrev_b32_e32 v1, 7, v0
	s_waitcnt lgkmcnt(0)
	s_add_u32 s0, s20, s0
	s_addc_u32 s1, s21, s1
	global_load_dwordx4 v[2:5], v1, s[0:1]
	global_load_dwordx4 v[6:9], v1, s[0:1] offset:16
	global_load_dwordx4 v[10:13], v1, s[0:1] offset:32
	;; [unrolled: 1-line block ×7, first 2 shown]
	v_mbcnt_lo_u32_b32 v1, -1, 0
	v_mbcnt_hi_u32_b32 v36, -1, v1
	v_or_b32_e32 v37, 63, v0
	v_cmp_eq_u32_e64 s[4:5], v37, v0
	v_add_u32_e32 v37, -1, v36
	v_and_b32_e32 v41, 64, v36
	v_lshrrev_b32_e32 v38, 4, v0
	v_cmp_lt_i32_e64 s[18:19], v37, v41
	v_and_b32_e32 v39, 15, v36
	v_and_b32_e32 v40, 16, v36
	v_cmp_lt_u32_e64 s[2:3], 31, v36
	v_cmp_eq_u32_e64 s[6:7], 0, v36
	v_and_b32_e32 v46, 4, v38
	v_and_b32_e32 v38, 1, v36
	v_cndmask_b32_e64 v36, v37, v36, s[18:19]
	v_mov_b32_e32 v35, 0
	s_movk_i32 s30, 0x380
	v_lshlrev_b32_e32 v34, 4, v0
	v_lshlrev_b32_e32 v44, 5, v0
	v_cmp_gt_u32_e32 vcc, 2, v0
	v_cmp_lt_u32_e64 s[0:1], 63, v0
	v_lshlrev_b32_e32 v45, 2, v0
	v_or_b32_e32 v1, 0x80, v0
	v_cmp_eq_u32_e64 s[8:9], 0, v39
	v_cmp_lt_u32_e64 s[10:11], 1, v39
	v_cmp_lt_u32_e64 s[12:13], 3, v39
	;; [unrolled: 1-line block ×3, first 2 shown]
	v_cmp_eq_u32_e64 s[16:17], 0, v40
	v_cmp_eq_u32_e64 s[18:19], 0, v38
	v_lshlrev_b32_e32 v47, 2, v36
	s_mov_b32 s31, s25
	s_waitcnt vmcnt(7)
	v_xor_b32_e32 v3, 0x80000000, v3
	v_xor_b32_e32 v5, 0x80000000, v5
	s_waitcnt vmcnt(6)
	v_xor_b32_e32 v7, 0x80000000, v7
	v_xor_b32_e32 v9, 0x80000000, v9
	;; [unrolled: 3-line block ×8, first 2 shown]
	s_branch .LBB100_2
.LBB100_1:                              ;   in Loop: Header=BB100_2 Depth=1
	s_add_i32 s31, s31, 1
	s_cmp_eq_u32 s31, 10
	s_cbranch_scc1 .LBB100_16
.LBB100_2:                              ; =>This Loop Header: Depth=1
                                        ;     Child Loop BB100_4 Depth 2
                                        ;       Child Loop BB100_6 Depth 3
	s_mov_b32 s33, 0
	s_branch .LBB100_4
.LBB100_3:                              ;   in Loop: Header=BB100_4 Depth=2
	s_or_b64 exec, exec, s[20:21]
	s_waitcnt lgkmcnt(0)
	v_add_u32_e32 v39, v80, v39
	ds_bpermute_b32 v39, v47, v39
	ds_read_b32 v81, v35 offset:4100
	s_add_i32 s20, s33, 4
	s_cmp_lt_u32 s33, 60
	s_mov_b32 s33, s20
	s_waitcnt lgkmcnt(1)
	v_cndmask_b32_e64 v39, v39, v80, s[6:7]
	s_waitcnt lgkmcnt(0)
	v_lshl_add_u32 v39, v81, 16, v39
	v_add_u32_e32 v42, v39, v42
	v_add_u32_e32 v43, v42, v43
	ds_write2_b32 v44, v39, v42 offset1:1
	v_add_u32_e32 v39, v43, v40
	v_add_u32_e32 v40, v39, v41
	;; [unrolled: 1-line block ×4, first 2 shown]
	ds_write2_b32 v44, v40, v36 offset0:4 offset1:5
	v_add_u32_e32 v36, v37, v38
	ds_write2_b32 v44, v43, v39 offset0:2 offset1:3
	ds_write2_b32 v44, v37, v36 offset0:6 offset1:7
	s_waitcnt lgkmcnt(0)
	s_barrier
	s_cbranch_scc0 .LBB100_1
.LBB100_4:                              ;   Parent Loop BB100_2 Depth=1
                                        ; =>  This Loop Header: Depth=2
                                        ;       Child Loop BB100_6 Depth 3
	s_mov_b32 s34, 0
	s_mov_b64 s[20:21], 0
	v_pk_mov_b32 v[36:37], v[0:1], v[0:1] op_sel:[0,1]
	s_branch .LBB100_6
.LBB100_5:                              ;   in Loop: Header=BB100_6 Depth=3
	s_or_b64 exec, exec, s[28:29]
	s_add_i32 s34, s34, 2
	v_cmp_eq_u32_e64 s[26:27], 8, s34
	v_add_u32_e32 v37, 0x100, v37
	s_or_b64 s[20:21], s[26:27], s[20:21]
	v_add_u32_e32 v36, 0x100, v36
	s_andn2_b64 exec, exec, s[20:21]
	s_cbranch_execz .LBB100_10
.LBB100_6:                              ;   Parent Loop BB100_2 Depth=1
                                        ;     Parent Loop BB100_4 Depth=2
                                        ; =>    This Inner Loop Header: Depth=3
	s_or_b32 s26, s34, 1
	v_cmp_le_u32_e64 s[26:27], s26, 7
	v_cmp_le_u32_e64 s[36:37], s34, 7
	s_and_saveexec_b64 s[28:29], s[36:37]
	s_cbranch_execz .LBB100_8
; %bb.7:                                ;   in Loop: Header=BB100_6 Depth=3
	v_lshlrev_b32_e32 v38, 2, v36
	ds_write_b32 v38, v35
.LBB100_8:                              ;   in Loop: Header=BB100_6 Depth=3
	s_or_b64 exec, exec, s[28:29]
	s_and_saveexec_b64 s[28:29], s[26:27]
	s_cbranch_execz .LBB100_5
; %bb.9:                                ;   in Loop: Header=BB100_6 Depth=3
	v_lshlrev_b32_e32 v38, 2, v37
	ds_write_b32 v38, v35
	s_branch .LBB100_5
.LBB100_10:                             ;   in Loop: Header=BB100_4 Depth=2
	s_or_b64 exec, exec, s[20:21]
	s_sub_i32 s20, 60, s33
	v_lshlrev_b64 v[36:37], s20, v[2:3]
	v_lshrrev_b32_e32 v36, 21, v37
	v_lshrrev_b32_e32 v37, 30, v37
	v_and_or_b32 v36, v36, s30, v0
	v_and_b32_e32 v37, 2, v37
	v_lshl_or_b32 v50, v36, 2, v37
	ds_read_u16 v48, v50
	v_lshlrev_b64 v[36:37], s20, v[4:5]
	v_lshrrev_b32_e32 v36, 21, v37
	v_lshrrev_b32_e32 v37, 30, v37
	v_and_or_b32 v36, v36, s30, v0
	s_waitcnt lgkmcnt(0)
	v_add_u16_e32 v38, 1, v48
	v_and_b32_e32 v37, 2, v37
	ds_write_b16 v50, v38
	v_lshl_or_b32 v52, v36, 2, v37
	ds_read_u16 v49, v52
	s_waitcnt lgkmcnt(0)
	v_add_u16_e32 v36, 1, v49
	ds_write_b16 v52, v36
	v_lshlrev_b64 v[36:37], s20, v[6:7]
	v_lshrrev_b32_e32 v36, 21, v37
	v_lshrrev_b32_e32 v37, 30, v37
	v_and_or_b32 v36, v36, s30, v0
	v_and_b32_e32 v37, 2, v37
	v_lshl_or_b32 v54, v36, 2, v37
	ds_read_u16 v51, v54
	s_waitcnt lgkmcnt(0)
	v_add_u16_e32 v36, 1, v51
	ds_write_b16 v54, v36
	v_lshlrev_b64 v[36:37], s20, v[8:9]
	v_lshrrev_b32_e32 v36, 21, v37
	v_lshrrev_b32_e32 v37, 30, v37
	v_and_or_b32 v36, v36, s30, v0
	v_and_b32_e32 v37, 2, v37
	;; [unrolled: 10-line block ×14, first 2 shown]
	v_lshl_or_b32 v79, v36, 2, v37
	ds_read_u16 v77, v79
	s_waitcnt lgkmcnt(0)
	v_add_u16_e32 v36, 1, v77
	ds_write_b16 v79, v36
	s_waitcnt lgkmcnt(0)
	s_barrier
	ds_read2_b32 v[42:43], v44 offset1:1
	ds_read2_b32 v[40:41], v44 offset0:2 offset1:3
	ds_read2_b32 v[36:37], v44 offset0:4 offset1:5
	;; [unrolled: 1-line block ×3, first 2 shown]
	s_waitcnt lgkmcnt(3)
	v_add_u32_e32 v80, v43, v42
	s_waitcnt lgkmcnt(2)
	v_add3_u32 v80, v80, v40, v41
	s_waitcnt lgkmcnt(1)
	v_add3_u32 v80, v80, v36, v37
	;; [unrolled: 2-line block ×3, first 2 shown]
	s_nop 1
	v_mov_b32_dpp v80, v39 row_shr:1 row_mask:0xf bank_mask:0xf
	v_cndmask_b32_e64 v80, v80, 0, s[8:9]
	v_add_u32_e32 v39, v80, v39
	s_nop 1
	v_mov_b32_dpp v80, v39 row_shr:2 row_mask:0xf bank_mask:0xf
	v_cndmask_b32_e64 v80, 0, v80, s[10:11]
	v_add_u32_e32 v39, v39, v80
	;; [unrolled: 4-line block ×4, first 2 shown]
	s_nop 1
	v_mov_b32_dpp v80, v39 row_bcast:15 row_mask:0xf bank_mask:0xf
	v_cndmask_b32_e64 v80, v80, 0, s[16:17]
	v_add_u32_e32 v39, v39, v80
	s_nop 1
	v_mov_b32_dpp v80, v39 row_bcast:31 row_mask:0xf bank_mask:0xf
	v_cndmask_b32_e64 v80, 0, v80, s[2:3]
	v_add_u32_e32 v39, v39, v80
	s_and_saveexec_b64 s[20:21], s[4:5]
	s_cbranch_execz .LBB100_12
; %bb.11:                               ;   in Loop: Header=BB100_4 Depth=2
	ds_write_b32 v46, v39 offset:4096
.LBB100_12:                             ;   in Loop: Header=BB100_4 Depth=2
	s_or_b64 exec, exec, s[20:21]
	s_waitcnt lgkmcnt(0)
	s_barrier
	s_and_saveexec_b64 s[20:21], vcc
	s_cbranch_execz .LBB100_14
; %bb.13:                               ;   in Loop: Header=BB100_4 Depth=2
	ds_read_b32 v80, v45 offset:4096
	s_waitcnt lgkmcnt(0)
	s_nop 0
	v_mov_b32_dpp v81, v80 row_shr:1 row_mask:0xf bank_mask:0xf
	v_cndmask_b32_e64 v81, v81, 0, s[18:19]
	v_add_u32_e32 v80, v81, v80
	ds_write_b32 v45, v80 offset:4096
.LBB100_14:                             ;   in Loop: Header=BB100_4 Depth=2
	s_or_b64 exec, exec, s[20:21]
	v_mov_b32_e32 v80, 0
	s_waitcnt lgkmcnt(0)
	s_barrier
	s_and_saveexec_b64 s[20:21], s[0:1]
	s_cbranch_execz .LBB100_3
; %bb.15:                               ;   in Loop: Header=BB100_4 Depth=2
	ds_read_b32 v80, v46 offset:4092
	s_branch .LBB100_3
.LBB100_16:
	ds_read_u16 v0, v79
	ds_read_u16 v1, v78
	;; [unrolled: 1-line block ×16, first 2 shown]
	s_lshl_b64 s[0:1], s[24:25], 2
	s_add_u32 s0, s22, s0
	s_waitcnt lgkmcnt(14)
	v_add_u32_sdwa v3, v0, v77 dst_sel:DWORD dst_unused:UNUSED_PAD src0_sel:DWORD src1_sel:WORD_0
	v_add_u32_sdwa v2, v1, v75 dst_sel:DWORD dst_unused:UNUSED_PAD src0_sel:DWORD src1_sel:WORD_0
	s_waitcnt lgkmcnt(13)
	v_add_u32_sdwa v1, v4, v73 dst_sel:DWORD dst_unused:UNUSED_PAD src0_sel:DWORD src1_sel:WORD_0
	s_waitcnt lgkmcnt(12)
	;; [unrolled: 2-line block ×13, first 2 shown]
	v_add_u32_sdwa v12, v18, v48 dst_sel:DWORD dst_unused:UNUSED_PAD src0_sel:DWORD src1_sel:WORD_0
	s_addc_u32 s1, s23, s1
	v_lshlrev_b32_e32 v16, 2, v34
	v_add_u32_sdwa v11, v11, v61 dst_sel:DWORD dst_unused:UNUSED_PAD src0_sel:DWORD src1_sel:WORD_0
	global_store_dwordx4 v16, v[12:15], s[0:1]
	global_store_dwordx4 v16, v[8:11], s[0:1] offset:16
	global_store_dwordx4 v16, v[4:7], s[0:1] offset:32
	;; [unrolled: 1-line block ×3, first 2 shown]
	s_endpgm
	.section	.rodata,"a",@progbits
	.p2align	6, 0x0
	.amdhsa_kernel _Z11rank_kernelIxLj4ELb0EL18RadixRankAlgorithm1ELj128ELj16ELj10EEvPKT_Pi
		.amdhsa_group_segment_fixed_size 4104
		.amdhsa_private_segment_fixed_size 0
		.amdhsa_kernarg_size 16
		.amdhsa_user_sgpr_count 6
		.amdhsa_user_sgpr_private_segment_buffer 1
		.amdhsa_user_sgpr_dispatch_ptr 0
		.amdhsa_user_sgpr_queue_ptr 0
		.amdhsa_user_sgpr_kernarg_segment_ptr 1
		.amdhsa_user_sgpr_dispatch_id 0
		.amdhsa_user_sgpr_flat_scratch_init 0
		.amdhsa_user_sgpr_kernarg_preload_length 0
		.amdhsa_user_sgpr_kernarg_preload_offset 0
		.amdhsa_user_sgpr_private_segment_size 0
		.amdhsa_uses_dynamic_stack 0
		.amdhsa_system_sgpr_private_segment_wavefront_offset 0
		.amdhsa_system_sgpr_workgroup_id_x 1
		.amdhsa_system_sgpr_workgroup_id_y 0
		.amdhsa_system_sgpr_workgroup_id_z 0
		.amdhsa_system_sgpr_workgroup_info 0
		.amdhsa_system_vgpr_workitem_id 0
		.amdhsa_next_free_vgpr 82
		.amdhsa_next_free_sgpr 38
		.amdhsa_accum_offset 84
		.amdhsa_reserve_vcc 1
		.amdhsa_reserve_flat_scratch 0
		.amdhsa_float_round_mode_32 0
		.amdhsa_float_round_mode_16_64 0
		.amdhsa_float_denorm_mode_32 3
		.amdhsa_float_denorm_mode_16_64 3
		.amdhsa_dx10_clamp 1
		.amdhsa_ieee_mode 1
		.amdhsa_fp16_overflow 0
		.amdhsa_tg_split 0
		.amdhsa_exception_fp_ieee_invalid_op 0
		.amdhsa_exception_fp_denorm_src 0
		.amdhsa_exception_fp_ieee_div_zero 0
		.amdhsa_exception_fp_ieee_overflow 0
		.amdhsa_exception_fp_ieee_underflow 0
		.amdhsa_exception_fp_ieee_inexact 0
		.amdhsa_exception_int_div_zero 0
	.end_amdhsa_kernel
	.section	.text._Z11rank_kernelIxLj4ELb0EL18RadixRankAlgorithm1ELj128ELj16ELj10EEvPKT_Pi,"axG",@progbits,_Z11rank_kernelIxLj4ELb0EL18RadixRankAlgorithm1ELj128ELj16ELj10EEvPKT_Pi,comdat
.Lfunc_end100:
	.size	_Z11rank_kernelIxLj4ELb0EL18RadixRankAlgorithm1ELj128ELj16ELj10EEvPKT_Pi, .Lfunc_end100-_Z11rank_kernelIxLj4ELb0EL18RadixRankAlgorithm1ELj128ELj16ELj10EEvPKT_Pi
                                        ; -- End function
	.section	.AMDGPU.csdata,"",@progbits
; Kernel info:
; codeLenInByte = 2412
; NumSgprs: 42
; NumVgprs: 82
; NumAgprs: 0
; TotalNumVgprs: 82
; ScratchSize: 0
; MemoryBound: 0
; FloatMode: 240
; IeeeMode: 1
; LDSByteSize: 4104 bytes/workgroup (compile time only)
; SGPRBlocks: 5
; VGPRBlocks: 10
; NumSGPRsForWavesPerEU: 42
; NumVGPRsForWavesPerEU: 82
; AccumOffset: 84
; Occupancy: 5
; WaveLimiterHint : 0
; COMPUTE_PGM_RSRC2:SCRATCH_EN: 0
; COMPUTE_PGM_RSRC2:USER_SGPR: 6
; COMPUTE_PGM_RSRC2:TRAP_HANDLER: 0
; COMPUTE_PGM_RSRC2:TGID_X_EN: 1
; COMPUTE_PGM_RSRC2:TGID_Y_EN: 0
; COMPUTE_PGM_RSRC2:TGID_Z_EN: 0
; COMPUTE_PGM_RSRC2:TIDIG_COMP_CNT: 0
; COMPUTE_PGM_RSRC3_GFX90A:ACCUM_OFFSET: 20
; COMPUTE_PGM_RSRC3_GFX90A:TG_SPLIT: 0
	.section	.text._Z11rank_kernelIxLj4ELb0EL18RadixRankAlgorithm2ELj128ELj16ELj10EEvPKT_Pi,"axG",@progbits,_Z11rank_kernelIxLj4ELb0EL18RadixRankAlgorithm2ELj128ELj16ELj10EEvPKT_Pi,comdat
	.protected	_Z11rank_kernelIxLj4ELb0EL18RadixRankAlgorithm2ELj128ELj16ELj10EEvPKT_Pi ; -- Begin function _Z11rank_kernelIxLj4ELb0EL18RadixRankAlgorithm2ELj128ELj16ELj10EEvPKT_Pi
	.globl	_Z11rank_kernelIxLj4ELb0EL18RadixRankAlgorithm2ELj128ELj16ELj10EEvPKT_Pi
	.p2align	8
	.type	_Z11rank_kernelIxLj4ELb0EL18RadixRankAlgorithm2ELj128ELj16ELj10EEvPKT_Pi,@function
_Z11rank_kernelIxLj4ELb0EL18RadixRankAlgorithm2ELj128ELj16ELj10EEvPKT_Pi: ; @_Z11rank_kernelIxLj4ELb0EL18RadixRankAlgorithm2ELj128ELj16ELj10EEvPKT_Pi
; %bb.0:
	s_load_dwordx4 s[24:27], s[4:5], 0x0
	s_load_dword s20, s[4:5], 0x1c
	s_lshl_b32 s28, s6, 11
	s_mov_b32 s29, 0
	s_lshl_b64 s[0:1], s[28:29], 3
	s_waitcnt lgkmcnt(0)
	s_add_u32 s0, s24, s0
	v_and_b32_e32 v36, 0x3ff, v0
	s_addc_u32 s1, s25, s1
	v_lshlrev_b32_e32 v1, 7, v36
	global_load_dwordx4 v[2:5], v1, s[0:1]
	global_load_dwordx4 v[6:9], v1, s[0:1] offset:16
	global_load_dwordx4 v[10:13], v1, s[0:1] offset:32
	;; [unrolled: 1-line block ×7, first 2 shown]
	v_mbcnt_lo_u32_b32 v1, -1, 0
	v_mbcnt_hi_u32_b32 v38, -1, v1
	v_bfe_u32 v35, v0, 10, 10
	v_bfe_u32 v37, v0, 20, 10
	v_add_u32_e32 v42, -1, v38
	v_and_b32_e32 v43, 64, v38
	s_lshr_b32 s21, s20, 16
	v_and_b32_e32 v39, 15, v38
	v_or_b32_e32 v41, 63, v36
	v_lshrrev_b32_e32 v44, 4, v36
	v_cmp_lt_i32_e64 s[18:19], v42, v43
	s_and_b32 s20, s20, 0xffff
	v_mad_u32_u24 v35, v37, s21, v35
	v_lshlrev_b32_e32 v0, 4, v36
	v_lshlrev_b32_e32 v1, 2, v36
	v_and_b32_e32 v40, 16, v38
	v_cmp_lt_u32_e32 vcc, 31, v38
	v_cmp_gt_u32_e64 s[0:1], 2, v36
	v_cmp_lt_u32_e64 s[2:3], 63, v36
	v_cmp_eq_u32_e64 s[4:5], 0, v38
	v_and_b32_e32 v45, 1, v38
	v_cmp_eq_u32_e64 s[6:7], 0, v39
	v_cmp_lt_u32_e64 s[8:9], 1, v39
	v_cmp_lt_u32_e64 s[10:11], 3, v39
	v_cmp_lt_u32_e64 s[12:13], 7, v39
	v_cmp_eq_u32_e64 s[16:17], v41, v36
	v_cndmask_b32_e64 v39, v42, v38, s[18:19]
	v_and_b32_e32 v38, 4, v44
	v_mad_u64_u32 v[36:37], s[20:21], v35, s20, v[36:37]
	v_mov_b32_e32 v34, 0
	v_cmp_eq_u32_e64 s[14:15], 0, v40
	v_cmp_eq_u32_e64 s[18:19], 0, v45
	v_lshlrev_b32_e32 v39, 2, v39
	v_add_u32_e32 v40, -4, v38
	v_lshrrev_b32_e32 v41, 6, v36
	s_mov_b32 s30, s29
	s_waitcnt vmcnt(7)
	v_xor_b32_e32 v3, 0x80000000, v3
	v_xor_b32_e32 v5, 0x80000000, v5
	s_waitcnt vmcnt(6)
	v_xor_b32_e32 v7, 0x80000000, v7
	v_xor_b32_e32 v9, 0x80000000, v9
	;; [unrolled: 3-line block ×8, first 2 shown]
	s_branch .LBB101_2
.LBB101_1:                              ;   in Loop: Header=BB101_2 Depth=1
	s_add_i32 s30, s30, 1
	s_cmp_eq_u32 s30, 10
	s_cbranch_scc1 .LBB101_42
.LBB101_2:                              ; =>This Loop Header: Depth=1
                                        ;     Child Loop BB101_4 Depth 2
	s_mov_b64 s[24:25], 60
	s_mov_b32 s31, -4
	s_branch .LBB101_4
.LBB101_3:                              ;   in Loop: Header=BB101_4 Depth=2
	s_or_b64 exec, exec, s[20:21]
	s_waitcnt lgkmcnt(0)
	v_add_u32_e32 v36, v37, v36
	ds_bpermute_b32 v36, v39, v36
	s_add_i32 s31, s31, 4
	s_add_u32 s24, s24, -4
	s_addc_u32 s25, s25, -1
	s_cmp_lt_u32 s31, 60
	s_waitcnt lgkmcnt(0)
	v_cndmask_b32_e64 v36, v36, v37, s[4:5]
	ds_write_b32 v1, v36 offset:8
	s_waitcnt lgkmcnt(0)
	s_barrier
	s_cbranch_scc0 .LBB101_1
.LBB101_4:                              ;   Parent Loop BB101_2 Depth=1
                                        ; =>  This Inner Loop Header: Depth=2
	v_lshlrev_b64 v[36:37], s24, v[2:3]
	v_lshrrev_b32_e32 v43, 28, v37
	v_mad_u32_u24 v35, v43, 3, v41
	v_lshl_add_u32 v42, v35, 2, 8
	v_bfe_u32 v35, v37, 28, 1
	v_add_co_u32_e64 v44, s[20:21], -1, v35
	v_addc_co_u32_e64 v45, s[20:21], 0, -1, s[20:21]
	v_cmp_ne_u32_e64 s[20:21], 0, v35
	v_xor_b32_e32 v35, s21, v45
	v_and_b32_e32 v45, exec_hi, v35
	v_lshlrev_b32_e32 v35, 30, v43
	v_xor_b32_e32 v44, s20, v44
	v_cmp_gt_i64_e64 s[20:21], 0, v[34:35]
	v_not_b32_e32 v35, v35
	v_ashrrev_i32_e32 v35, 31, v35
	v_and_b32_e32 v44, exec_lo, v44
	v_xor_b32_e32 v46, s21, v35
	v_xor_b32_e32 v35, s20, v35
	v_and_b32_e32 v44, v44, v35
	v_lshlrev_b32_e32 v35, 29, v43
	v_cmp_gt_i64_e64 s[20:21], 0, v[34:35]
	v_not_b32_e32 v35, v35
	v_ashrrev_i32_e32 v35, 31, v35
	v_xor_b32_e32 v43, s21, v35
	v_xor_b32_e32 v35, s20, v35
	v_cmp_gt_i64_e64 s[20:21], 0, v[36:37]
	v_not_b32_e32 v36, v37
	v_ashrrev_i32_e32 v36, 31, v36
	v_and_b32_e32 v45, v45, v46
	v_and_b32_e32 v35, v44, v35
	v_xor_b32_e32 v37, s21, v36
	v_xor_b32_e32 v36, s20, v36
	v_and_b32_e32 v43, v45, v43
	v_and_b32_e32 v36, v35, v36
	;; [unrolled: 1-line block ×3, first 2 shown]
	v_mbcnt_lo_u32_b32 v35, v36, 0
	v_mbcnt_hi_u32_b32 v43, v37, v35
	v_cmp_eq_u32_e64 s[20:21], 0, v43
	v_cmp_ne_u64_e64 s[22:23], 0, v[36:37]
	s_and_b64 s[22:23], s[22:23], s[20:21]
	ds_write_b32 v1, v34 offset:8
	s_waitcnt lgkmcnt(0)
	s_barrier
	s_waitcnt lgkmcnt(0)
	; wave barrier
	s_and_saveexec_b64 s[20:21], s[22:23]
	s_cbranch_execz .LBB101_6
; %bb.5:                                ;   in Loop: Header=BB101_4 Depth=2
	v_bcnt_u32_b32 v35, v36, 0
	v_bcnt_u32_b32 v35, v37, v35
	ds_write_b32 v42, v35
.LBB101_6:                              ;   in Loop: Header=BB101_4 Depth=2
	s_or_b64 exec, exec, s[20:21]
	v_lshlrev_b64 v[36:37], s24, v[4:5]
	v_lshrrev_b32_e32 v46, 28, v37
	v_mul_u32_u24_e32 v35, 3, v46
	v_add_lshl_u32 v35, v41, v35, 2
	; wave barrier
	v_add_u32_e32 v45, 8, v35
	ds_read_b32 v44, v35 offset:8
	v_bfe_u32 v35, v37, 28, 1
	v_add_co_u32_e64 v47, s[20:21], -1, v35
	v_addc_co_u32_e64 v48, s[20:21], 0, -1, s[20:21]
	v_cmp_ne_u32_e64 s[20:21], 0, v35
	v_xor_b32_e32 v35, s21, v48
	v_and_b32_e32 v48, exec_hi, v35
	v_lshlrev_b32_e32 v35, 30, v46
	v_xor_b32_e32 v47, s20, v47
	v_cmp_gt_i64_e64 s[20:21], 0, v[34:35]
	v_not_b32_e32 v35, v35
	v_ashrrev_i32_e32 v35, 31, v35
	v_and_b32_e32 v47, exec_lo, v47
	v_xor_b32_e32 v49, s21, v35
	v_xor_b32_e32 v35, s20, v35
	v_and_b32_e32 v47, v47, v35
	v_lshlrev_b32_e32 v35, 29, v46
	v_cmp_gt_i64_e64 s[20:21], 0, v[34:35]
	v_not_b32_e32 v35, v35
	v_ashrrev_i32_e32 v35, 31, v35
	v_xor_b32_e32 v46, s21, v35
	v_xor_b32_e32 v35, s20, v35
	v_cmp_gt_i64_e64 s[20:21], 0, v[36:37]
	v_not_b32_e32 v36, v37
	v_ashrrev_i32_e32 v36, 31, v36
	v_and_b32_e32 v48, v48, v49
	v_and_b32_e32 v35, v47, v35
	v_xor_b32_e32 v37, s21, v36
	v_xor_b32_e32 v36, s20, v36
	v_and_b32_e32 v46, v48, v46
	v_and_b32_e32 v36, v35, v36
	;; [unrolled: 1-line block ×3, first 2 shown]
	v_mbcnt_lo_u32_b32 v35, v36, 0
	v_mbcnt_hi_u32_b32 v46, v37, v35
	v_cmp_eq_u32_e64 s[20:21], 0, v46
	v_cmp_ne_u64_e64 s[22:23], 0, v[36:37]
	s_and_b64 s[22:23], s[22:23], s[20:21]
	; wave barrier
	s_and_saveexec_b64 s[20:21], s[22:23]
	s_cbranch_execz .LBB101_8
; %bb.7:                                ;   in Loop: Header=BB101_4 Depth=2
	v_bcnt_u32_b32 v35, v36, 0
	v_bcnt_u32_b32 v35, v37, v35
	s_waitcnt lgkmcnt(0)
	v_add_u32_e32 v35, v44, v35
	ds_write_b32 v45, v35
.LBB101_8:                              ;   in Loop: Header=BB101_4 Depth=2
	s_or_b64 exec, exec, s[20:21]
	v_lshlrev_b64 v[36:37], s24, v[6:7]
	v_lshrrev_b32_e32 v49, 28, v37
	v_mul_u32_u24_e32 v35, 3, v49
	v_add_lshl_u32 v35, v41, v35, 2
	; wave barrier
	v_add_u32_e32 v48, 8, v35
	ds_read_b32 v47, v35 offset:8
	v_bfe_u32 v35, v37, 28, 1
	v_add_co_u32_e64 v50, s[20:21], -1, v35
	v_addc_co_u32_e64 v51, s[20:21], 0, -1, s[20:21]
	v_cmp_ne_u32_e64 s[20:21], 0, v35
	v_xor_b32_e32 v35, s21, v51
	v_and_b32_e32 v51, exec_hi, v35
	v_lshlrev_b32_e32 v35, 30, v49
	v_xor_b32_e32 v50, s20, v50
	v_cmp_gt_i64_e64 s[20:21], 0, v[34:35]
	v_not_b32_e32 v35, v35
	v_ashrrev_i32_e32 v35, 31, v35
	v_and_b32_e32 v50, exec_lo, v50
	v_xor_b32_e32 v52, s21, v35
	v_xor_b32_e32 v35, s20, v35
	v_and_b32_e32 v50, v50, v35
	v_lshlrev_b32_e32 v35, 29, v49
	v_cmp_gt_i64_e64 s[20:21], 0, v[34:35]
	v_not_b32_e32 v35, v35
	v_ashrrev_i32_e32 v35, 31, v35
	v_xor_b32_e32 v49, s21, v35
	v_xor_b32_e32 v35, s20, v35
	v_cmp_gt_i64_e64 s[20:21], 0, v[36:37]
	v_not_b32_e32 v36, v37
	v_ashrrev_i32_e32 v36, 31, v36
	v_and_b32_e32 v51, v51, v52
	v_and_b32_e32 v35, v50, v35
	v_xor_b32_e32 v37, s21, v36
	v_xor_b32_e32 v36, s20, v36
	v_and_b32_e32 v49, v51, v49
	v_and_b32_e32 v36, v35, v36
	;; [unrolled: 1-line block ×3, first 2 shown]
	v_mbcnt_lo_u32_b32 v35, v36, 0
	v_mbcnt_hi_u32_b32 v49, v37, v35
	v_cmp_eq_u32_e64 s[20:21], 0, v49
	v_cmp_ne_u64_e64 s[22:23], 0, v[36:37]
	s_and_b64 s[22:23], s[22:23], s[20:21]
	; wave barrier
	s_and_saveexec_b64 s[20:21], s[22:23]
	s_cbranch_execz .LBB101_10
; %bb.9:                                ;   in Loop: Header=BB101_4 Depth=2
	v_bcnt_u32_b32 v35, v36, 0
	v_bcnt_u32_b32 v35, v37, v35
	s_waitcnt lgkmcnt(0)
	v_add_u32_e32 v35, v47, v35
	ds_write_b32 v48, v35
.LBB101_10:                             ;   in Loop: Header=BB101_4 Depth=2
	s_or_b64 exec, exec, s[20:21]
	v_lshlrev_b64 v[36:37], s24, v[8:9]
	v_lshrrev_b32_e32 v52, 28, v37
	v_mul_u32_u24_e32 v35, 3, v52
	v_add_lshl_u32 v35, v41, v35, 2
	; wave barrier
	v_add_u32_e32 v51, 8, v35
	ds_read_b32 v50, v35 offset:8
	v_bfe_u32 v35, v37, 28, 1
	v_add_co_u32_e64 v53, s[20:21], -1, v35
	v_addc_co_u32_e64 v54, s[20:21], 0, -1, s[20:21]
	v_cmp_ne_u32_e64 s[20:21], 0, v35
	v_xor_b32_e32 v35, s21, v54
	v_and_b32_e32 v54, exec_hi, v35
	v_lshlrev_b32_e32 v35, 30, v52
	v_xor_b32_e32 v53, s20, v53
	v_cmp_gt_i64_e64 s[20:21], 0, v[34:35]
	v_not_b32_e32 v35, v35
	v_ashrrev_i32_e32 v35, 31, v35
	v_and_b32_e32 v53, exec_lo, v53
	v_xor_b32_e32 v55, s21, v35
	v_xor_b32_e32 v35, s20, v35
	v_and_b32_e32 v53, v53, v35
	v_lshlrev_b32_e32 v35, 29, v52
	v_cmp_gt_i64_e64 s[20:21], 0, v[34:35]
	v_not_b32_e32 v35, v35
	v_ashrrev_i32_e32 v35, 31, v35
	v_xor_b32_e32 v52, s21, v35
	v_xor_b32_e32 v35, s20, v35
	v_cmp_gt_i64_e64 s[20:21], 0, v[36:37]
	v_not_b32_e32 v36, v37
	v_ashrrev_i32_e32 v36, 31, v36
	v_and_b32_e32 v54, v54, v55
	v_and_b32_e32 v35, v53, v35
	v_xor_b32_e32 v37, s21, v36
	v_xor_b32_e32 v36, s20, v36
	v_and_b32_e32 v52, v54, v52
	v_and_b32_e32 v36, v35, v36
	v_and_b32_e32 v37, v52, v37
	v_mbcnt_lo_u32_b32 v35, v36, 0
	v_mbcnt_hi_u32_b32 v52, v37, v35
	v_cmp_eq_u32_e64 s[20:21], 0, v52
	v_cmp_ne_u64_e64 s[22:23], 0, v[36:37]
	s_and_b64 s[22:23], s[22:23], s[20:21]
	; wave barrier
	s_and_saveexec_b64 s[20:21], s[22:23]
	s_cbranch_execz .LBB101_12
; %bb.11:                               ;   in Loop: Header=BB101_4 Depth=2
	v_bcnt_u32_b32 v35, v36, 0
	v_bcnt_u32_b32 v35, v37, v35
	s_waitcnt lgkmcnt(0)
	v_add_u32_e32 v35, v50, v35
	ds_write_b32 v51, v35
.LBB101_12:                             ;   in Loop: Header=BB101_4 Depth=2
	s_or_b64 exec, exec, s[20:21]
	v_lshlrev_b64 v[36:37], s24, v[10:11]
	v_lshrrev_b32_e32 v55, 28, v37
	v_mul_u32_u24_e32 v35, 3, v55
	v_add_lshl_u32 v35, v41, v35, 2
	; wave barrier
	v_add_u32_e32 v54, 8, v35
	ds_read_b32 v53, v35 offset:8
	v_bfe_u32 v35, v37, 28, 1
	v_add_co_u32_e64 v56, s[20:21], -1, v35
	v_addc_co_u32_e64 v57, s[20:21], 0, -1, s[20:21]
	v_cmp_ne_u32_e64 s[20:21], 0, v35
	v_xor_b32_e32 v35, s21, v57
	v_and_b32_e32 v57, exec_hi, v35
	v_lshlrev_b32_e32 v35, 30, v55
	v_xor_b32_e32 v56, s20, v56
	v_cmp_gt_i64_e64 s[20:21], 0, v[34:35]
	v_not_b32_e32 v35, v35
	v_ashrrev_i32_e32 v35, 31, v35
	v_and_b32_e32 v56, exec_lo, v56
	v_xor_b32_e32 v58, s21, v35
	v_xor_b32_e32 v35, s20, v35
	v_and_b32_e32 v56, v56, v35
	v_lshlrev_b32_e32 v35, 29, v55
	v_cmp_gt_i64_e64 s[20:21], 0, v[34:35]
	v_not_b32_e32 v35, v35
	v_ashrrev_i32_e32 v35, 31, v35
	v_xor_b32_e32 v55, s21, v35
	v_xor_b32_e32 v35, s20, v35
	v_cmp_gt_i64_e64 s[20:21], 0, v[36:37]
	v_not_b32_e32 v36, v37
	v_ashrrev_i32_e32 v36, 31, v36
	v_and_b32_e32 v57, v57, v58
	v_and_b32_e32 v35, v56, v35
	v_xor_b32_e32 v37, s21, v36
	v_xor_b32_e32 v36, s20, v36
	v_and_b32_e32 v55, v57, v55
	v_and_b32_e32 v36, v35, v36
	v_and_b32_e32 v37, v55, v37
	v_mbcnt_lo_u32_b32 v35, v36, 0
	v_mbcnt_hi_u32_b32 v55, v37, v35
	v_cmp_eq_u32_e64 s[20:21], 0, v55
	v_cmp_ne_u64_e64 s[22:23], 0, v[36:37]
	s_and_b64 s[22:23], s[22:23], s[20:21]
	; wave barrier
	s_and_saveexec_b64 s[20:21], s[22:23]
	s_cbranch_execz .LBB101_14
; %bb.13:                               ;   in Loop: Header=BB101_4 Depth=2
	v_bcnt_u32_b32 v35, v36, 0
	v_bcnt_u32_b32 v35, v37, v35
	s_waitcnt lgkmcnt(0)
	v_add_u32_e32 v35, v53, v35
	ds_write_b32 v54, v35
.LBB101_14:                             ;   in Loop: Header=BB101_4 Depth=2
	s_or_b64 exec, exec, s[20:21]
	v_lshlrev_b64 v[36:37], s24, v[12:13]
	v_lshrrev_b32_e32 v58, 28, v37
	v_mul_u32_u24_e32 v35, 3, v58
	v_add_lshl_u32 v35, v41, v35, 2
	; wave barrier
	v_add_u32_e32 v57, 8, v35
	ds_read_b32 v56, v35 offset:8
	v_bfe_u32 v35, v37, 28, 1
	v_add_co_u32_e64 v59, s[20:21], -1, v35
	v_addc_co_u32_e64 v60, s[20:21], 0, -1, s[20:21]
	v_cmp_ne_u32_e64 s[20:21], 0, v35
	v_xor_b32_e32 v35, s21, v60
	v_and_b32_e32 v60, exec_hi, v35
	v_lshlrev_b32_e32 v35, 30, v58
	v_xor_b32_e32 v59, s20, v59
	v_cmp_gt_i64_e64 s[20:21], 0, v[34:35]
	v_not_b32_e32 v35, v35
	v_ashrrev_i32_e32 v35, 31, v35
	v_and_b32_e32 v59, exec_lo, v59
	v_xor_b32_e32 v61, s21, v35
	v_xor_b32_e32 v35, s20, v35
	v_and_b32_e32 v59, v59, v35
	v_lshlrev_b32_e32 v35, 29, v58
	v_cmp_gt_i64_e64 s[20:21], 0, v[34:35]
	v_not_b32_e32 v35, v35
	v_ashrrev_i32_e32 v35, 31, v35
	v_xor_b32_e32 v58, s21, v35
	v_xor_b32_e32 v35, s20, v35
	v_cmp_gt_i64_e64 s[20:21], 0, v[36:37]
	v_not_b32_e32 v36, v37
	v_ashrrev_i32_e32 v36, 31, v36
	v_and_b32_e32 v60, v60, v61
	v_and_b32_e32 v35, v59, v35
	v_xor_b32_e32 v37, s21, v36
	v_xor_b32_e32 v36, s20, v36
	v_and_b32_e32 v58, v60, v58
	v_and_b32_e32 v36, v35, v36
	v_and_b32_e32 v37, v58, v37
	v_mbcnt_lo_u32_b32 v35, v36, 0
	v_mbcnt_hi_u32_b32 v58, v37, v35
	v_cmp_eq_u32_e64 s[20:21], 0, v58
	v_cmp_ne_u64_e64 s[22:23], 0, v[36:37]
	s_and_b64 s[22:23], s[22:23], s[20:21]
	; wave barrier
	s_and_saveexec_b64 s[20:21], s[22:23]
	s_cbranch_execz .LBB101_16
; %bb.15:                               ;   in Loop: Header=BB101_4 Depth=2
	v_bcnt_u32_b32 v35, v36, 0
	v_bcnt_u32_b32 v35, v37, v35
	s_waitcnt lgkmcnt(0)
	v_add_u32_e32 v35, v56, v35
	ds_write_b32 v57, v35
.LBB101_16:                             ;   in Loop: Header=BB101_4 Depth=2
	s_or_b64 exec, exec, s[20:21]
	v_lshlrev_b64 v[36:37], s24, v[14:15]
	v_lshrrev_b32_e32 v61, 28, v37
	v_mul_u32_u24_e32 v35, 3, v61
	v_add_lshl_u32 v35, v41, v35, 2
	; wave barrier
	v_add_u32_e32 v60, 8, v35
	ds_read_b32 v59, v35 offset:8
	v_bfe_u32 v35, v37, 28, 1
	v_add_co_u32_e64 v62, s[20:21], -1, v35
	v_addc_co_u32_e64 v63, s[20:21], 0, -1, s[20:21]
	v_cmp_ne_u32_e64 s[20:21], 0, v35
	v_xor_b32_e32 v35, s21, v63
	v_and_b32_e32 v63, exec_hi, v35
	v_lshlrev_b32_e32 v35, 30, v61
	v_xor_b32_e32 v62, s20, v62
	v_cmp_gt_i64_e64 s[20:21], 0, v[34:35]
	v_not_b32_e32 v35, v35
	v_ashrrev_i32_e32 v35, 31, v35
	v_and_b32_e32 v62, exec_lo, v62
	v_xor_b32_e32 v64, s21, v35
	v_xor_b32_e32 v35, s20, v35
	v_and_b32_e32 v62, v62, v35
	v_lshlrev_b32_e32 v35, 29, v61
	v_cmp_gt_i64_e64 s[20:21], 0, v[34:35]
	v_not_b32_e32 v35, v35
	v_ashrrev_i32_e32 v35, 31, v35
	v_xor_b32_e32 v61, s21, v35
	v_xor_b32_e32 v35, s20, v35
	v_cmp_gt_i64_e64 s[20:21], 0, v[36:37]
	v_not_b32_e32 v36, v37
	v_ashrrev_i32_e32 v36, 31, v36
	v_and_b32_e32 v63, v63, v64
	v_and_b32_e32 v35, v62, v35
	v_xor_b32_e32 v37, s21, v36
	v_xor_b32_e32 v36, s20, v36
	v_and_b32_e32 v61, v63, v61
	v_and_b32_e32 v36, v35, v36
	v_and_b32_e32 v37, v61, v37
	v_mbcnt_lo_u32_b32 v35, v36, 0
	v_mbcnt_hi_u32_b32 v61, v37, v35
	v_cmp_eq_u32_e64 s[20:21], 0, v61
	v_cmp_ne_u64_e64 s[22:23], 0, v[36:37]
	s_and_b64 s[22:23], s[22:23], s[20:21]
	; wave barrier
	s_and_saveexec_b64 s[20:21], s[22:23]
	s_cbranch_execz .LBB101_18
; %bb.17:                               ;   in Loop: Header=BB101_4 Depth=2
	v_bcnt_u32_b32 v35, v36, 0
	v_bcnt_u32_b32 v35, v37, v35
	s_waitcnt lgkmcnt(0)
	v_add_u32_e32 v35, v59, v35
	ds_write_b32 v60, v35
.LBB101_18:                             ;   in Loop: Header=BB101_4 Depth=2
	s_or_b64 exec, exec, s[20:21]
	v_lshlrev_b64 v[36:37], s24, v[16:17]
	v_lshrrev_b32_e32 v64, 28, v37
	v_mul_u32_u24_e32 v35, 3, v64
	v_add_lshl_u32 v35, v41, v35, 2
	; wave barrier
	v_add_u32_e32 v63, 8, v35
	ds_read_b32 v62, v35 offset:8
	v_bfe_u32 v35, v37, 28, 1
	v_add_co_u32_e64 v65, s[20:21], -1, v35
	v_addc_co_u32_e64 v66, s[20:21], 0, -1, s[20:21]
	v_cmp_ne_u32_e64 s[20:21], 0, v35
	v_xor_b32_e32 v35, s21, v66
	v_and_b32_e32 v66, exec_hi, v35
	v_lshlrev_b32_e32 v35, 30, v64
	v_xor_b32_e32 v65, s20, v65
	v_cmp_gt_i64_e64 s[20:21], 0, v[34:35]
	v_not_b32_e32 v35, v35
	v_ashrrev_i32_e32 v35, 31, v35
	v_and_b32_e32 v65, exec_lo, v65
	v_xor_b32_e32 v67, s21, v35
	v_xor_b32_e32 v35, s20, v35
	v_and_b32_e32 v65, v65, v35
	v_lshlrev_b32_e32 v35, 29, v64
	v_cmp_gt_i64_e64 s[20:21], 0, v[34:35]
	v_not_b32_e32 v35, v35
	v_ashrrev_i32_e32 v35, 31, v35
	v_xor_b32_e32 v64, s21, v35
	v_xor_b32_e32 v35, s20, v35
	v_cmp_gt_i64_e64 s[20:21], 0, v[36:37]
	v_not_b32_e32 v36, v37
	v_ashrrev_i32_e32 v36, 31, v36
	v_and_b32_e32 v66, v66, v67
	v_and_b32_e32 v35, v65, v35
	v_xor_b32_e32 v37, s21, v36
	v_xor_b32_e32 v36, s20, v36
	v_and_b32_e32 v64, v66, v64
	v_and_b32_e32 v36, v35, v36
	v_and_b32_e32 v37, v64, v37
	v_mbcnt_lo_u32_b32 v35, v36, 0
	v_mbcnt_hi_u32_b32 v64, v37, v35
	v_cmp_eq_u32_e64 s[20:21], 0, v64
	v_cmp_ne_u64_e64 s[22:23], 0, v[36:37]
	s_and_b64 s[22:23], s[22:23], s[20:21]
	; wave barrier
	s_and_saveexec_b64 s[20:21], s[22:23]
	s_cbranch_execz .LBB101_20
; %bb.19:                               ;   in Loop: Header=BB101_4 Depth=2
	v_bcnt_u32_b32 v35, v36, 0
	v_bcnt_u32_b32 v35, v37, v35
	s_waitcnt lgkmcnt(0)
	v_add_u32_e32 v35, v62, v35
	ds_write_b32 v63, v35
.LBB101_20:                             ;   in Loop: Header=BB101_4 Depth=2
	s_or_b64 exec, exec, s[20:21]
	v_lshlrev_b64 v[36:37], s24, v[18:19]
	v_lshrrev_b32_e32 v67, 28, v37
	v_mul_u32_u24_e32 v35, 3, v67
	v_add_lshl_u32 v35, v41, v35, 2
	; wave barrier
	v_add_u32_e32 v66, 8, v35
	ds_read_b32 v65, v35 offset:8
	v_bfe_u32 v35, v37, 28, 1
	v_add_co_u32_e64 v68, s[20:21], -1, v35
	v_addc_co_u32_e64 v69, s[20:21], 0, -1, s[20:21]
	v_cmp_ne_u32_e64 s[20:21], 0, v35
	v_xor_b32_e32 v35, s21, v69
	v_and_b32_e32 v69, exec_hi, v35
	v_lshlrev_b32_e32 v35, 30, v67
	v_xor_b32_e32 v68, s20, v68
	v_cmp_gt_i64_e64 s[20:21], 0, v[34:35]
	v_not_b32_e32 v35, v35
	v_ashrrev_i32_e32 v35, 31, v35
	v_and_b32_e32 v68, exec_lo, v68
	v_xor_b32_e32 v70, s21, v35
	v_xor_b32_e32 v35, s20, v35
	v_and_b32_e32 v68, v68, v35
	v_lshlrev_b32_e32 v35, 29, v67
	v_cmp_gt_i64_e64 s[20:21], 0, v[34:35]
	v_not_b32_e32 v35, v35
	v_ashrrev_i32_e32 v35, 31, v35
	v_xor_b32_e32 v67, s21, v35
	v_xor_b32_e32 v35, s20, v35
	v_cmp_gt_i64_e64 s[20:21], 0, v[36:37]
	v_not_b32_e32 v36, v37
	v_ashrrev_i32_e32 v36, 31, v36
	v_and_b32_e32 v69, v69, v70
	v_and_b32_e32 v35, v68, v35
	v_xor_b32_e32 v37, s21, v36
	v_xor_b32_e32 v36, s20, v36
	v_and_b32_e32 v67, v69, v67
	v_and_b32_e32 v36, v35, v36
	v_and_b32_e32 v37, v67, v37
	v_mbcnt_lo_u32_b32 v35, v36, 0
	v_mbcnt_hi_u32_b32 v67, v37, v35
	v_cmp_eq_u32_e64 s[20:21], 0, v67
	v_cmp_ne_u64_e64 s[22:23], 0, v[36:37]
	s_and_b64 s[22:23], s[22:23], s[20:21]
	; wave barrier
	s_and_saveexec_b64 s[20:21], s[22:23]
	s_cbranch_execz .LBB101_22
; %bb.21:                               ;   in Loop: Header=BB101_4 Depth=2
	v_bcnt_u32_b32 v35, v36, 0
	v_bcnt_u32_b32 v35, v37, v35
	s_waitcnt lgkmcnt(0)
	v_add_u32_e32 v35, v65, v35
	ds_write_b32 v66, v35
.LBB101_22:                             ;   in Loop: Header=BB101_4 Depth=2
	s_or_b64 exec, exec, s[20:21]
	v_lshlrev_b64 v[36:37], s24, v[20:21]
	v_lshrrev_b32_e32 v70, 28, v37
	v_mul_u32_u24_e32 v35, 3, v70
	v_add_lshl_u32 v35, v41, v35, 2
	; wave barrier
	v_add_u32_e32 v69, 8, v35
	ds_read_b32 v68, v35 offset:8
	v_bfe_u32 v35, v37, 28, 1
	v_add_co_u32_e64 v71, s[20:21], -1, v35
	v_addc_co_u32_e64 v72, s[20:21], 0, -1, s[20:21]
	v_cmp_ne_u32_e64 s[20:21], 0, v35
	v_xor_b32_e32 v35, s21, v72
	v_and_b32_e32 v72, exec_hi, v35
	v_lshlrev_b32_e32 v35, 30, v70
	v_xor_b32_e32 v71, s20, v71
	v_cmp_gt_i64_e64 s[20:21], 0, v[34:35]
	v_not_b32_e32 v35, v35
	v_ashrrev_i32_e32 v35, 31, v35
	v_and_b32_e32 v71, exec_lo, v71
	v_xor_b32_e32 v73, s21, v35
	v_xor_b32_e32 v35, s20, v35
	v_and_b32_e32 v71, v71, v35
	v_lshlrev_b32_e32 v35, 29, v70
	v_cmp_gt_i64_e64 s[20:21], 0, v[34:35]
	v_not_b32_e32 v35, v35
	v_ashrrev_i32_e32 v35, 31, v35
	v_xor_b32_e32 v70, s21, v35
	v_xor_b32_e32 v35, s20, v35
	v_cmp_gt_i64_e64 s[20:21], 0, v[36:37]
	v_not_b32_e32 v36, v37
	v_ashrrev_i32_e32 v36, 31, v36
	v_and_b32_e32 v72, v72, v73
	v_and_b32_e32 v35, v71, v35
	v_xor_b32_e32 v37, s21, v36
	v_xor_b32_e32 v36, s20, v36
	v_and_b32_e32 v70, v72, v70
	v_and_b32_e32 v36, v35, v36
	v_and_b32_e32 v37, v70, v37
	v_mbcnt_lo_u32_b32 v35, v36, 0
	v_mbcnt_hi_u32_b32 v70, v37, v35
	v_cmp_eq_u32_e64 s[20:21], 0, v70
	v_cmp_ne_u64_e64 s[22:23], 0, v[36:37]
	s_and_b64 s[22:23], s[22:23], s[20:21]
	; wave barrier
	s_and_saveexec_b64 s[20:21], s[22:23]
	s_cbranch_execz .LBB101_24
; %bb.23:                               ;   in Loop: Header=BB101_4 Depth=2
	v_bcnt_u32_b32 v35, v36, 0
	v_bcnt_u32_b32 v35, v37, v35
	s_waitcnt lgkmcnt(0)
	v_add_u32_e32 v35, v68, v35
	ds_write_b32 v69, v35
.LBB101_24:                             ;   in Loop: Header=BB101_4 Depth=2
	s_or_b64 exec, exec, s[20:21]
	v_lshlrev_b64 v[36:37], s24, v[22:23]
	v_lshrrev_b32_e32 v73, 28, v37
	v_mul_u32_u24_e32 v35, 3, v73
	v_add_lshl_u32 v35, v41, v35, 2
	; wave barrier
	v_add_u32_e32 v72, 8, v35
	ds_read_b32 v71, v35 offset:8
	v_bfe_u32 v35, v37, 28, 1
	v_add_co_u32_e64 v74, s[20:21], -1, v35
	v_addc_co_u32_e64 v75, s[20:21], 0, -1, s[20:21]
	v_cmp_ne_u32_e64 s[20:21], 0, v35
	v_xor_b32_e32 v35, s21, v75
	v_and_b32_e32 v75, exec_hi, v35
	v_lshlrev_b32_e32 v35, 30, v73
	v_xor_b32_e32 v74, s20, v74
	v_cmp_gt_i64_e64 s[20:21], 0, v[34:35]
	v_not_b32_e32 v35, v35
	v_ashrrev_i32_e32 v35, 31, v35
	v_and_b32_e32 v74, exec_lo, v74
	v_xor_b32_e32 v76, s21, v35
	v_xor_b32_e32 v35, s20, v35
	v_and_b32_e32 v74, v74, v35
	v_lshlrev_b32_e32 v35, 29, v73
	v_cmp_gt_i64_e64 s[20:21], 0, v[34:35]
	v_not_b32_e32 v35, v35
	v_ashrrev_i32_e32 v35, 31, v35
	v_xor_b32_e32 v73, s21, v35
	v_xor_b32_e32 v35, s20, v35
	v_cmp_gt_i64_e64 s[20:21], 0, v[36:37]
	v_not_b32_e32 v36, v37
	v_ashrrev_i32_e32 v36, 31, v36
	v_and_b32_e32 v75, v75, v76
	v_and_b32_e32 v35, v74, v35
	v_xor_b32_e32 v37, s21, v36
	v_xor_b32_e32 v36, s20, v36
	v_and_b32_e32 v73, v75, v73
	v_and_b32_e32 v36, v35, v36
	v_and_b32_e32 v37, v73, v37
	v_mbcnt_lo_u32_b32 v35, v36, 0
	v_mbcnt_hi_u32_b32 v73, v37, v35
	v_cmp_eq_u32_e64 s[20:21], 0, v73
	v_cmp_ne_u64_e64 s[22:23], 0, v[36:37]
	s_and_b64 s[22:23], s[22:23], s[20:21]
	; wave barrier
	s_and_saveexec_b64 s[20:21], s[22:23]
	s_cbranch_execz .LBB101_26
; %bb.25:                               ;   in Loop: Header=BB101_4 Depth=2
	v_bcnt_u32_b32 v35, v36, 0
	v_bcnt_u32_b32 v35, v37, v35
	s_waitcnt lgkmcnt(0)
	v_add_u32_e32 v35, v71, v35
	ds_write_b32 v72, v35
.LBB101_26:                             ;   in Loop: Header=BB101_4 Depth=2
	s_or_b64 exec, exec, s[20:21]
	v_lshlrev_b64 v[36:37], s24, v[24:25]
	v_lshrrev_b32_e32 v76, 28, v37
	v_mul_u32_u24_e32 v35, 3, v76
	v_add_lshl_u32 v35, v41, v35, 2
	; wave barrier
	v_add_u32_e32 v75, 8, v35
	ds_read_b32 v74, v35 offset:8
	v_bfe_u32 v35, v37, 28, 1
	v_add_co_u32_e64 v77, s[20:21], -1, v35
	v_addc_co_u32_e64 v78, s[20:21], 0, -1, s[20:21]
	v_cmp_ne_u32_e64 s[20:21], 0, v35
	v_xor_b32_e32 v35, s21, v78
	v_and_b32_e32 v78, exec_hi, v35
	v_lshlrev_b32_e32 v35, 30, v76
	v_xor_b32_e32 v77, s20, v77
	v_cmp_gt_i64_e64 s[20:21], 0, v[34:35]
	v_not_b32_e32 v35, v35
	v_ashrrev_i32_e32 v35, 31, v35
	v_and_b32_e32 v77, exec_lo, v77
	v_xor_b32_e32 v79, s21, v35
	v_xor_b32_e32 v35, s20, v35
	v_and_b32_e32 v77, v77, v35
	v_lshlrev_b32_e32 v35, 29, v76
	v_cmp_gt_i64_e64 s[20:21], 0, v[34:35]
	v_not_b32_e32 v35, v35
	v_ashrrev_i32_e32 v35, 31, v35
	v_xor_b32_e32 v76, s21, v35
	v_xor_b32_e32 v35, s20, v35
	v_cmp_gt_i64_e64 s[20:21], 0, v[36:37]
	v_not_b32_e32 v36, v37
	v_ashrrev_i32_e32 v36, 31, v36
	v_and_b32_e32 v78, v78, v79
	v_and_b32_e32 v35, v77, v35
	v_xor_b32_e32 v37, s21, v36
	v_xor_b32_e32 v36, s20, v36
	v_and_b32_e32 v76, v78, v76
	v_and_b32_e32 v36, v35, v36
	v_and_b32_e32 v37, v76, v37
	v_mbcnt_lo_u32_b32 v35, v36, 0
	v_mbcnt_hi_u32_b32 v76, v37, v35
	v_cmp_eq_u32_e64 s[20:21], 0, v76
	v_cmp_ne_u64_e64 s[22:23], 0, v[36:37]
	s_and_b64 s[22:23], s[22:23], s[20:21]
	; wave barrier
	s_and_saveexec_b64 s[20:21], s[22:23]
	s_cbranch_execz .LBB101_28
; %bb.27:                               ;   in Loop: Header=BB101_4 Depth=2
	v_bcnt_u32_b32 v35, v36, 0
	v_bcnt_u32_b32 v35, v37, v35
	s_waitcnt lgkmcnt(0)
	v_add_u32_e32 v35, v74, v35
	ds_write_b32 v75, v35
.LBB101_28:                             ;   in Loop: Header=BB101_4 Depth=2
	s_or_b64 exec, exec, s[20:21]
	v_lshlrev_b64 v[36:37], s24, v[26:27]
	v_lshrrev_b32_e32 v78, 28, v37
	v_mul_u32_u24_e32 v35, 3, v78
	v_add_lshl_u32 v35, v41, v35, 2
	; wave barrier
	v_add_u32_e32 v79, 8, v35
	ds_read_b32 v77, v35 offset:8
	v_bfe_u32 v35, v37, 28, 1
	v_add_co_u32_e64 v80, s[20:21], -1, v35
	v_addc_co_u32_e64 v81, s[20:21], 0, -1, s[20:21]
	v_cmp_ne_u32_e64 s[20:21], 0, v35
	v_xor_b32_e32 v35, s21, v81
	v_and_b32_e32 v81, exec_hi, v35
	v_lshlrev_b32_e32 v35, 30, v78
	v_xor_b32_e32 v80, s20, v80
	v_cmp_gt_i64_e64 s[20:21], 0, v[34:35]
	v_not_b32_e32 v35, v35
	v_ashrrev_i32_e32 v35, 31, v35
	v_and_b32_e32 v80, exec_lo, v80
	v_xor_b32_e32 v82, s21, v35
	v_xor_b32_e32 v35, s20, v35
	v_and_b32_e32 v80, v80, v35
	v_lshlrev_b32_e32 v35, 29, v78
	v_cmp_gt_i64_e64 s[20:21], 0, v[34:35]
	v_not_b32_e32 v35, v35
	v_ashrrev_i32_e32 v35, 31, v35
	v_xor_b32_e32 v78, s21, v35
	v_xor_b32_e32 v35, s20, v35
	v_cmp_gt_i64_e64 s[20:21], 0, v[36:37]
	v_not_b32_e32 v36, v37
	v_ashrrev_i32_e32 v36, 31, v36
	v_and_b32_e32 v81, v81, v82
	v_and_b32_e32 v35, v80, v35
	v_xor_b32_e32 v37, s21, v36
	v_xor_b32_e32 v36, s20, v36
	v_and_b32_e32 v78, v81, v78
	v_and_b32_e32 v36, v35, v36
	v_and_b32_e32 v37, v78, v37
	v_mbcnt_lo_u32_b32 v35, v36, 0
	v_mbcnt_hi_u32_b32 v78, v37, v35
	v_cmp_eq_u32_e64 s[20:21], 0, v78
	v_cmp_ne_u64_e64 s[22:23], 0, v[36:37]
	s_and_b64 s[22:23], s[22:23], s[20:21]
	; wave barrier
	s_and_saveexec_b64 s[20:21], s[22:23]
	s_cbranch_execz .LBB101_30
; %bb.29:                               ;   in Loop: Header=BB101_4 Depth=2
	v_bcnt_u32_b32 v35, v36, 0
	v_bcnt_u32_b32 v35, v37, v35
	s_waitcnt lgkmcnt(0)
	v_add_u32_e32 v35, v77, v35
	ds_write_b32 v79, v35
.LBB101_30:                             ;   in Loop: Header=BB101_4 Depth=2
	s_or_b64 exec, exec, s[20:21]
	v_lshlrev_b64 v[36:37], s24, v[28:29]
	v_lshrrev_b32_e32 v81, 28, v37
	v_mul_u32_u24_e32 v35, 3, v81
	v_add_lshl_u32 v35, v41, v35, 2
	; wave barrier
	v_add_u32_e32 v82, 8, v35
	ds_read_b32 v80, v35 offset:8
	v_bfe_u32 v35, v37, 28, 1
	v_add_co_u32_e64 v83, s[20:21], -1, v35
	v_addc_co_u32_e64 v84, s[20:21], 0, -1, s[20:21]
	v_cmp_ne_u32_e64 s[20:21], 0, v35
	v_xor_b32_e32 v35, s21, v84
	v_and_b32_e32 v84, exec_hi, v35
	v_lshlrev_b32_e32 v35, 30, v81
	v_xor_b32_e32 v83, s20, v83
	v_cmp_gt_i64_e64 s[20:21], 0, v[34:35]
	v_not_b32_e32 v35, v35
	v_ashrrev_i32_e32 v35, 31, v35
	v_and_b32_e32 v83, exec_lo, v83
	v_xor_b32_e32 v85, s21, v35
	v_xor_b32_e32 v35, s20, v35
	v_and_b32_e32 v83, v83, v35
	v_lshlrev_b32_e32 v35, 29, v81
	v_cmp_gt_i64_e64 s[20:21], 0, v[34:35]
	v_not_b32_e32 v35, v35
	v_ashrrev_i32_e32 v35, 31, v35
	v_xor_b32_e32 v81, s21, v35
	v_xor_b32_e32 v35, s20, v35
	v_cmp_gt_i64_e64 s[20:21], 0, v[36:37]
	v_not_b32_e32 v36, v37
	v_ashrrev_i32_e32 v36, 31, v36
	v_and_b32_e32 v84, v84, v85
	v_and_b32_e32 v35, v83, v35
	v_xor_b32_e32 v37, s21, v36
	v_xor_b32_e32 v36, s20, v36
	v_and_b32_e32 v81, v84, v81
	v_and_b32_e32 v36, v35, v36
	v_and_b32_e32 v37, v81, v37
	v_mbcnt_lo_u32_b32 v35, v36, 0
	v_mbcnt_hi_u32_b32 v81, v37, v35
	v_cmp_eq_u32_e64 s[20:21], 0, v81
	v_cmp_ne_u64_e64 s[22:23], 0, v[36:37]
	s_and_b64 s[22:23], s[22:23], s[20:21]
	; wave barrier
	s_and_saveexec_b64 s[20:21], s[22:23]
	s_cbranch_execz .LBB101_32
; %bb.31:                               ;   in Loop: Header=BB101_4 Depth=2
	v_bcnt_u32_b32 v35, v36, 0
	v_bcnt_u32_b32 v35, v37, v35
	s_waitcnt lgkmcnt(0)
	v_add_u32_e32 v35, v80, v35
	ds_write_b32 v82, v35
.LBB101_32:                             ;   in Loop: Header=BB101_4 Depth=2
	s_or_b64 exec, exec, s[20:21]
	v_lshlrev_b64 v[36:37], s24, v[30:31]
	v_lshrrev_b32_e32 v84, 28, v37
	v_mul_u32_u24_e32 v35, 3, v84
	v_add_lshl_u32 v35, v41, v35, 2
	; wave barrier
	v_add_u32_e32 v85, 8, v35
	ds_read_b32 v83, v35 offset:8
	v_bfe_u32 v35, v37, 28, 1
	v_add_co_u32_e64 v86, s[20:21], -1, v35
	v_addc_co_u32_e64 v87, s[20:21], 0, -1, s[20:21]
	v_cmp_ne_u32_e64 s[20:21], 0, v35
	v_xor_b32_e32 v35, s21, v87
	v_and_b32_e32 v87, exec_hi, v35
	v_lshlrev_b32_e32 v35, 30, v84
	v_xor_b32_e32 v86, s20, v86
	v_cmp_gt_i64_e64 s[20:21], 0, v[34:35]
	v_not_b32_e32 v35, v35
	v_ashrrev_i32_e32 v35, 31, v35
	v_and_b32_e32 v86, exec_lo, v86
	v_xor_b32_e32 v88, s21, v35
	v_xor_b32_e32 v35, s20, v35
	v_and_b32_e32 v86, v86, v35
	v_lshlrev_b32_e32 v35, 29, v84
	v_cmp_gt_i64_e64 s[20:21], 0, v[34:35]
	v_not_b32_e32 v35, v35
	v_ashrrev_i32_e32 v35, 31, v35
	v_xor_b32_e32 v84, s21, v35
	v_xor_b32_e32 v35, s20, v35
	v_cmp_gt_i64_e64 s[20:21], 0, v[36:37]
	v_not_b32_e32 v36, v37
	v_ashrrev_i32_e32 v36, 31, v36
	v_and_b32_e32 v87, v87, v88
	v_and_b32_e32 v35, v86, v35
	v_xor_b32_e32 v37, s21, v36
	v_xor_b32_e32 v36, s20, v36
	v_and_b32_e32 v84, v87, v84
	v_and_b32_e32 v36, v35, v36
	v_and_b32_e32 v37, v84, v37
	v_mbcnt_lo_u32_b32 v35, v36, 0
	v_mbcnt_hi_u32_b32 v84, v37, v35
	v_cmp_eq_u32_e64 s[20:21], 0, v84
	v_cmp_ne_u64_e64 s[22:23], 0, v[36:37]
	s_and_b64 s[22:23], s[22:23], s[20:21]
	; wave barrier
	s_and_saveexec_b64 s[20:21], s[22:23]
	s_cbranch_execz .LBB101_34
; %bb.33:                               ;   in Loop: Header=BB101_4 Depth=2
	v_bcnt_u32_b32 v35, v36, 0
	v_bcnt_u32_b32 v35, v37, v35
	s_waitcnt lgkmcnt(0)
	v_add_u32_e32 v35, v83, v35
	ds_write_b32 v85, v35
.LBB101_34:                             ;   in Loop: Header=BB101_4 Depth=2
	s_or_b64 exec, exec, s[20:21]
	v_lshlrev_b64 v[36:37], s24, v[32:33]
	v_lshrrev_b32_e32 v88, 28, v37
	v_mul_u32_u24_e32 v35, 3, v88
	v_add_lshl_u32 v35, v41, v35, 2
	; wave barrier
	v_add_u32_e32 v87, 8, v35
	ds_read_b32 v86, v35 offset:8
	v_bfe_u32 v35, v37, 28, 1
	v_add_co_u32_e64 v89, s[20:21], -1, v35
	v_addc_co_u32_e64 v90, s[20:21], 0, -1, s[20:21]
	v_cmp_ne_u32_e64 s[20:21], 0, v35
	v_xor_b32_e32 v35, s21, v90
	v_and_b32_e32 v90, exec_hi, v35
	v_lshlrev_b32_e32 v35, 30, v88
	v_xor_b32_e32 v89, s20, v89
	v_cmp_gt_i64_e64 s[20:21], 0, v[34:35]
	v_not_b32_e32 v35, v35
	v_ashrrev_i32_e32 v35, 31, v35
	v_and_b32_e32 v89, exec_lo, v89
	v_xor_b32_e32 v91, s21, v35
	v_xor_b32_e32 v35, s20, v35
	v_and_b32_e32 v89, v89, v35
	v_lshlrev_b32_e32 v35, 29, v88
	v_cmp_gt_i64_e64 s[20:21], 0, v[34:35]
	v_not_b32_e32 v35, v35
	v_ashrrev_i32_e32 v35, 31, v35
	v_xor_b32_e32 v88, s21, v35
	v_xor_b32_e32 v35, s20, v35
	v_cmp_gt_i64_e64 s[20:21], 0, v[36:37]
	v_not_b32_e32 v36, v37
	v_ashrrev_i32_e32 v36, 31, v36
	v_and_b32_e32 v90, v90, v91
	v_and_b32_e32 v35, v89, v35
	v_xor_b32_e32 v37, s21, v36
	v_xor_b32_e32 v36, s20, v36
	v_and_b32_e32 v88, v90, v88
	v_and_b32_e32 v36, v35, v36
	v_and_b32_e32 v37, v88, v37
	v_mbcnt_lo_u32_b32 v35, v36, 0
	v_mbcnt_hi_u32_b32 v35, v37, v35
	v_cmp_eq_u32_e64 s[20:21], 0, v35
	v_cmp_ne_u64_e64 s[22:23], 0, v[36:37]
	s_and_b64 s[22:23], s[22:23], s[20:21]
	; wave barrier
	s_and_saveexec_b64 s[20:21], s[22:23]
	s_cbranch_execz .LBB101_36
; %bb.35:                               ;   in Loop: Header=BB101_4 Depth=2
	v_bcnt_u32_b32 v36, v36, 0
	v_bcnt_u32_b32 v36, v37, v36
	s_waitcnt lgkmcnt(0)
	v_add_u32_e32 v36, v86, v36
	ds_write_b32 v87, v36
.LBB101_36:                             ;   in Loop: Header=BB101_4 Depth=2
	s_or_b64 exec, exec, s[20:21]
	; wave barrier
	s_waitcnt lgkmcnt(0)
	s_barrier
	ds_read_b32 v36, v1 offset:8
	s_waitcnt lgkmcnt(0)
	s_nop 0
	v_mov_b32_dpp v37, v36 row_shr:1 row_mask:0xf bank_mask:0xf
	v_cndmask_b32_e64 v37, v37, 0, s[6:7]
	v_add_u32_e32 v36, v37, v36
	s_nop 1
	v_mov_b32_dpp v37, v36 row_shr:2 row_mask:0xf bank_mask:0xf
	v_cndmask_b32_e64 v37, 0, v37, s[8:9]
	v_add_u32_e32 v36, v36, v37
	;; [unrolled: 4-line block ×4, first 2 shown]
	s_nop 1
	v_mov_b32_dpp v37, v36 row_bcast:15 row_mask:0xf bank_mask:0xf
	v_cndmask_b32_e64 v37, v37, 0, s[14:15]
	v_add_u32_e32 v36, v36, v37
	s_nop 1
	v_mov_b32_dpp v37, v36 row_bcast:31 row_mask:0xf bank_mask:0xf
	v_cndmask_b32_e32 v37, 0, v37, vcc
	v_add_u32_e32 v36, v36, v37
	s_and_saveexec_b64 s[20:21], s[16:17]
	s_xor_b64 s[20:21], exec, s[20:21]
	s_cbranch_execz .LBB101_38
; %bb.37:                               ;   in Loop: Header=BB101_4 Depth=2
	ds_write_b32 v38, v36
.LBB101_38:                             ;   in Loop: Header=BB101_4 Depth=2
	s_or_b64 exec, exec, s[20:21]
	s_waitcnt lgkmcnt(0)
	s_barrier
	s_and_saveexec_b64 s[20:21], s[0:1]
	s_cbranch_execz .LBB101_40
; %bb.39:                               ;   in Loop: Header=BB101_4 Depth=2
	ds_read_b32 v37, v1
	s_waitcnt lgkmcnt(0)
	s_nop 0
	v_mov_b32_dpp v88, v37 row_shr:1 row_mask:0xf bank_mask:0xf
	v_cndmask_b32_e64 v88, v88, 0, s[18:19]
	v_add_u32_e32 v37, v88, v37
	ds_write_b32 v1, v37
.LBB101_40:                             ;   in Loop: Header=BB101_4 Depth=2
	s_or_b64 exec, exec, s[20:21]
	v_mov_b32_e32 v37, 0
	s_waitcnt lgkmcnt(0)
	s_barrier
	s_and_saveexec_b64 s[20:21], s[2:3]
	s_cbranch_execz .LBB101_3
; %bb.41:                               ;   in Loop: Header=BB101_4 Depth=2
	ds_read_b32 v37, v40
	s_branch .LBB101_3
.LBB101_42:
	ds_read_b32 v4, v87
	ds_read_b32 v5, v85
	;; [unrolled: 1-line block ×16, first 2 shown]
	s_lshl_b64 s[0:1], s[28:29], 2
	s_add_u32 s0, s26, s0
	s_addc_u32 s1, s27, s1
	v_lshlrev_b32_e32 v17, 2, v0
	s_waitcnt lgkmcnt(1)
	v_add3_u32 v1, v46, v44, v1
	s_waitcnt lgkmcnt(0)
	v_add_u32_e32 v0, v3, v43
	v_add3_u32 v3, v52, v50, v2
	v_add3_u32 v2, v49, v47, v16
	global_store_dwordx4 v17, v[0:3], s[0:1]
	s_nop 0
	v_add3_u32 v1, v58, v56, v14
	v_add3_u32 v0, v55, v53, v15
	v_add3_u32 v3, v64, v62, v12
	v_add3_u32 v2, v61, v59, v13
	global_store_dwordx4 v17, v[0:3], s[0:1] offset:16
	s_nop 0
	v_add3_u32 v1, v70, v68, v10
	v_add3_u32 v0, v67, v65, v11
	v_add3_u32 v3, v76, v74, v8
	v_add3_u32 v2, v73, v71, v9
	global_store_dwordx4 v17, v[0:3], s[0:1] offset:32
	;; [unrolled: 6-line block ×3, first 2 shown]
	s_endpgm
	.section	.rodata,"a",@progbits
	.p2align	6, 0x0
	.amdhsa_kernel _Z11rank_kernelIxLj4ELb0EL18RadixRankAlgorithm2ELj128ELj16ELj10EEvPKT_Pi
		.amdhsa_group_segment_fixed_size 520
		.amdhsa_private_segment_fixed_size 0
		.amdhsa_kernarg_size 272
		.amdhsa_user_sgpr_count 6
		.amdhsa_user_sgpr_private_segment_buffer 1
		.amdhsa_user_sgpr_dispatch_ptr 0
		.amdhsa_user_sgpr_queue_ptr 0
		.amdhsa_user_sgpr_kernarg_segment_ptr 1
		.amdhsa_user_sgpr_dispatch_id 0
		.amdhsa_user_sgpr_flat_scratch_init 0
		.amdhsa_user_sgpr_kernarg_preload_length 0
		.amdhsa_user_sgpr_kernarg_preload_offset 0
		.amdhsa_user_sgpr_private_segment_size 0
		.amdhsa_uses_dynamic_stack 0
		.amdhsa_system_sgpr_private_segment_wavefront_offset 0
		.amdhsa_system_sgpr_workgroup_id_x 1
		.amdhsa_system_sgpr_workgroup_id_y 0
		.amdhsa_system_sgpr_workgroup_id_z 0
		.amdhsa_system_sgpr_workgroup_info 0
		.amdhsa_system_vgpr_workitem_id 2
		.amdhsa_next_free_vgpr 92
		.amdhsa_next_free_sgpr 32
		.amdhsa_accum_offset 92
		.amdhsa_reserve_vcc 1
		.amdhsa_reserve_flat_scratch 0
		.amdhsa_float_round_mode_32 0
		.amdhsa_float_round_mode_16_64 0
		.amdhsa_float_denorm_mode_32 3
		.amdhsa_float_denorm_mode_16_64 3
		.amdhsa_dx10_clamp 1
		.amdhsa_ieee_mode 1
		.amdhsa_fp16_overflow 0
		.amdhsa_tg_split 0
		.amdhsa_exception_fp_ieee_invalid_op 0
		.amdhsa_exception_fp_denorm_src 0
		.amdhsa_exception_fp_ieee_div_zero 0
		.amdhsa_exception_fp_ieee_overflow 0
		.amdhsa_exception_fp_ieee_underflow 0
		.amdhsa_exception_fp_ieee_inexact 0
		.amdhsa_exception_int_div_zero 0
	.end_amdhsa_kernel
	.section	.text._Z11rank_kernelIxLj4ELb0EL18RadixRankAlgorithm2ELj128ELj16ELj10EEvPKT_Pi,"axG",@progbits,_Z11rank_kernelIxLj4ELb0EL18RadixRankAlgorithm2ELj128ELj16ELj10EEvPKT_Pi,comdat
.Lfunc_end101:
	.size	_Z11rank_kernelIxLj4ELb0EL18RadixRankAlgorithm2ELj128ELj16ELj10EEvPKT_Pi, .Lfunc_end101-_Z11rank_kernelIxLj4ELb0EL18RadixRankAlgorithm2ELj128ELj16ELj10EEvPKT_Pi
                                        ; -- End function
	.section	.AMDGPU.csdata,"",@progbits
; Kernel info:
; codeLenInByte = 5488
; NumSgprs: 36
; NumVgprs: 92
; NumAgprs: 0
; TotalNumVgprs: 92
; ScratchSize: 0
; MemoryBound: 0
; FloatMode: 240
; IeeeMode: 1
; LDSByteSize: 520 bytes/workgroup (compile time only)
; SGPRBlocks: 4
; VGPRBlocks: 11
; NumSGPRsForWavesPerEU: 36
; NumVGPRsForWavesPerEU: 92
; AccumOffset: 92
; Occupancy: 5
; WaveLimiterHint : 0
; COMPUTE_PGM_RSRC2:SCRATCH_EN: 0
; COMPUTE_PGM_RSRC2:USER_SGPR: 6
; COMPUTE_PGM_RSRC2:TRAP_HANDLER: 0
; COMPUTE_PGM_RSRC2:TGID_X_EN: 1
; COMPUTE_PGM_RSRC2:TGID_Y_EN: 0
; COMPUTE_PGM_RSRC2:TGID_Z_EN: 0
; COMPUTE_PGM_RSRC2:TIDIG_COMP_CNT: 2
; COMPUTE_PGM_RSRC3_GFX90A:ACCUM_OFFSET: 22
; COMPUTE_PGM_RSRC3_GFX90A:TG_SPLIT: 0
	.section	.text._Z11rank_kernelIxLj4ELb0EL18RadixRankAlgorithm0ELj128ELj32ELj10EEvPKT_Pi,"axG",@progbits,_Z11rank_kernelIxLj4ELb0EL18RadixRankAlgorithm0ELj128ELj32ELj10EEvPKT_Pi,comdat
	.protected	_Z11rank_kernelIxLj4ELb0EL18RadixRankAlgorithm0ELj128ELj32ELj10EEvPKT_Pi ; -- Begin function _Z11rank_kernelIxLj4ELb0EL18RadixRankAlgorithm0ELj128ELj32ELj10EEvPKT_Pi
	.globl	_Z11rank_kernelIxLj4ELb0EL18RadixRankAlgorithm0ELj128ELj32ELj10EEvPKT_Pi
	.p2align	8
	.type	_Z11rank_kernelIxLj4ELb0EL18RadixRankAlgorithm0ELj128ELj32ELj10EEvPKT_Pi,@function
_Z11rank_kernelIxLj4ELb0EL18RadixRankAlgorithm0ELj128ELj32ELj10EEvPKT_Pi: ; @_Z11rank_kernelIxLj4ELb0EL18RadixRankAlgorithm0ELj128ELj32ELj10EEvPKT_Pi
; %bb.0:
	s_load_dwordx4 s[20:23], s[4:5], 0x0
	s_lshl_b32 s24, s6, 12
	s_mov_b32 s25, 0
	s_lshl_b64 s[0:1], s[24:25], 3
	v_lshlrev_b32_e32 v1, 8, v0
	s_waitcnt lgkmcnt(0)
	s_add_u32 s0, s20, s0
	s_addc_u32 s1, s21, s1
	global_load_dwordx4 v[2:5], v1, s[0:1]
	global_load_dwordx4 v[6:9], v1, s[0:1] offset:16
	global_load_dwordx4 v[10:13], v1, s[0:1] offset:32
	;; [unrolled: 1-line block ×15, first 2 shown]
	v_mbcnt_lo_u32_b32 v1, -1, 0
	v_mbcnt_hi_u32_b32 v66, -1, v1
	v_or_b32_e32 v68, 63, v0
	v_cmp_eq_u32_e64 s[4:5], v68, v0
	v_add_u32_e32 v68, -1, v66
	v_and_b32_e32 v74, 64, v66
	v_lshrrev_b32_e32 v69, 4, v0
	v_cmp_lt_i32_e64 s[18:19], v68, v74
	v_and_b32_e32 v72, 15, v66
	v_and_b32_e32 v73, 16, v66
	v_cmp_lt_u32_e64 s[2:3], 31, v66
	v_cmp_eq_u32_e64 s[6:7], 0, v66
	v_and_b32_e32 v71, 4, v69
	v_and_b32_e32 v69, 1, v66
	v_cndmask_b32_e64 v66, v68, v66, s[18:19]
	s_movk_i32 s30, 0x380
	v_mov_b32_e32 v67, 0
	v_cmp_gt_u32_e32 vcc, 2, v0
	v_cmp_lt_u32_e64 s[0:1], 63, v0
	v_or_b32_e32 v1, 0x80, v0
	s_mov_b32 s31, s25
	v_lshlrev_b32_e32 v70, 2, v0
	v_cmp_eq_u32_e64 s[8:9], 0, v72
	v_cmp_lt_u32_e64 s[10:11], 1, v72
	v_cmp_lt_u32_e64 s[12:13], 3, v72
	;; [unrolled: 1-line block ×3, first 2 shown]
	v_cmp_eq_u32_e64 s[16:17], 0, v73
	v_cmp_eq_u32_e64 s[18:19], 0, v69
	v_lshlrev_b32_e32 v72, 2, v66
	v_lshlrev_b32_e32 v66, 5, v0
	s_waitcnt vmcnt(15)
	v_xor_b32_e32 v3, 0x80000000, v3
	v_xor_b32_e32 v5, 0x80000000, v5
	s_waitcnt vmcnt(14)
	v_xor_b32_e32 v7, 0x80000000, v7
	v_xor_b32_e32 v9, 0x80000000, v9
	;; [unrolled: 3-line block ×16, first 2 shown]
	s_branch .LBB102_2
.LBB102_1:                              ;   in Loop: Header=BB102_2 Depth=1
	s_add_i32 s31, s31, 1
	s_cmp_eq_u32 s31, 10
	s_cbranch_scc1 .LBB102_16
.LBB102_2:                              ; =>This Loop Header: Depth=1
                                        ;     Child Loop BB102_4 Depth 2
                                        ;       Child Loop BB102_6 Depth 3
	s_mov_b32 s33, 0
	s_branch .LBB102_4
.LBB102_3:                              ;   in Loop: Header=BB102_4 Depth=2
	s_or_b64 exec, exec, s[20:21]
	s_waitcnt lgkmcnt(0)
	v_add_u32_e32 v135, v136, v135
	ds_bpermute_b32 v135, v72, v135
	ds_read_b32 v138, v67 offset:4100
	s_add_i32 s20, s33, 4
	s_cmp_lt_u32 s33, 60
	s_mov_b32 s33, s20
	s_waitcnt lgkmcnt(1)
	v_cndmask_b32_e64 v135, v135, v136, s[6:7]
	ds_read2_b32 v[136:137], v66 offset1:1
	s_waitcnt lgkmcnt(1)
	v_lshl_add_u32 v135, v138, 16, v135
	ds_read2_b32 v[138:139], v66 offset0:2 offset1:3
	ds_read2_b32 v[140:141], v66 offset0:4 offset1:5
	ds_read_b32 v142, v66 offset:24
	s_waitcnt lgkmcnt(3)
	v_add_u32_e32 v136, v135, v136
	ds_write2_b32 v66, v135, v136 offset1:1
	v_add_u32_e32 v135, v137, v136
	s_waitcnt lgkmcnt(3)
	v_add_u32_e32 v136, v138, v135
	ds_write2_b32 v66, v135, v136 offset0:2 offset1:3
	v_add_u32_e32 v135, v139, v136
	s_waitcnt lgkmcnt(3)
	v_add_u32_e32 v136, v140, v135
	ds_write2_b32 v66, v135, v136 offset0:4 offset1:5
	;; [unrolled: 4-line block ×3, first 2 shown]
	s_waitcnt lgkmcnt(0)
	s_barrier
	s_cbranch_scc0 .LBB102_1
.LBB102_4:                              ;   Parent Loop BB102_2 Depth=1
                                        ; =>  This Loop Header: Depth=2
                                        ;       Child Loop BB102_6 Depth 3
	s_mov_b32 s34, 0
	s_mov_b64 s[20:21], 0
	v_pk_mov_b32 v[68:69], v[0:1], v[0:1] op_sel:[0,1]
	s_branch .LBB102_6
.LBB102_5:                              ;   in Loop: Header=BB102_6 Depth=3
	s_or_b64 exec, exec, s[28:29]
	s_add_i32 s34, s34, 2
	v_cmp_eq_u32_e64 s[26:27], 8, s34
	v_add_u32_e32 v69, 0x100, v69
	s_or_b64 s[20:21], s[26:27], s[20:21]
	v_add_u32_e32 v68, 0x100, v68
	s_andn2_b64 exec, exec, s[20:21]
	s_cbranch_execz .LBB102_10
.LBB102_6:                              ;   Parent Loop BB102_2 Depth=1
                                        ;     Parent Loop BB102_4 Depth=2
                                        ; =>    This Inner Loop Header: Depth=3
	s_or_b32 s26, s34, 1
	v_cmp_le_u32_e64 s[26:27], s26, 7
	v_cmp_le_u32_e64 s[36:37], s34, 7
	s_and_saveexec_b64 s[28:29], s[36:37]
	s_cbranch_execz .LBB102_8
; %bb.7:                                ;   in Loop: Header=BB102_6 Depth=3
	v_lshlrev_b32_e32 v73, 2, v68
	ds_write_b32 v73, v67
.LBB102_8:                              ;   in Loop: Header=BB102_6 Depth=3
	s_or_b64 exec, exec, s[28:29]
	s_and_saveexec_b64 s[28:29], s[26:27]
	s_cbranch_execz .LBB102_5
; %bb.9:                                ;   in Loop: Header=BB102_6 Depth=3
	v_lshlrev_b32_e32 v73, 2, v69
	ds_write_b32 v73, v67
	s_branch .LBB102_5
.LBB102_10:                             ;   in Loop: Header=BB102_4 Depth=2
	s_or_b64 exec, exec, s[20:21]
	s_sub_i32 s20, 60, s33
	v_lshlrev_b64 v[68:69], s20, v[2:3]
	v_lshrrev_b32_e32 v68, 21, v69
	v_lshrrev_b32_e32 v69, 30, v69
	v_and_or_b32 v68, v68, s30, v0
	v_and_b32_e32 v69, 2, v69
	v_lshl_or_b32 v69, v68, 2, v69
	ds_read_u16 v68, v69
	v_lshlrev_b64 v[74:75], s20, v[4:5]
	v_lshrrev_b32_e32 v73, 21, v75
	v_and_or_b32 v73, v73, s30, v0
	v_lshlrev_b64 v[76:77], s20, v[6:7]
	s_waitcnt lgkmcnt(0)
	v_add_u16_e32 v74, 1, v68
	ds_write_b16 v69, v74
	v_lshrrev_b32_e32 v74, 30, v75
	v_and_b32_e32 v74, 2, v74
	v_lshl_or_b32 v75, v73, 2, v74
	ds_read_u16 v73, v75
	v_lshrrev_b32_e32 v76, 30, v77
	v_and_b32_e32 v76, 2, v76
	v_lshlrev_b64 v[78:79], s20, v[8:9]
	v_lshrrev_b32_e32 v78, 30, v79
	s_waitcnt lgkmcnt(0)
	v_add_u16_e32 v74, 1, v73
	ds_write_b16 v75, v74
	v_lshrrev_b32_e32 v74, 21, v77
	v_and_or_b32 v74, v74, s30, v0
	v_lshl_or_b32 v77, v74, 2, v76
	ds_read_u16 v74, v77
	v_and_b32_e32 v78, 2, v78
	v_lshlrev_b64 v[80:81], s20, v[10:11]
	v_lshrrev_b32_e32 v80, 30, v81
	v_and_b32_e32 v80, 2, v80
	s_waitcnt lgkmcnt(0)
	v_add_u16_e32 v76, 1, v74
	ds_write_b16 v77, v76
	v_lshrrev_b32_e32 v76, 21, v79
	v_and_or_b32 v76, v76, s30, v0
	v_lshl_or_b32 v79, v76, 2, v78
	ds_read_u16 v76, v79
	v_lshlrev_b64 v[82:83], s20, v[12:13]
	v_lshrrev_b32_e32 v82, 30, v83
	v_and_b32_e32 v82, 2, v82
	v_lshlrev_b64 v[84:85], s20, v[14:15]
	s_waitcnt lgkmcnt(0)
	v_add_u16_e32 v78, 1, v76
	ds_write_b16 v79, v78
	v_lshrrev_b32_e32 v78, 21, v81
	v_and_or_b32 v78, v78, s30, v0
	v_lshl_or_b32 v81, v78, 2, v80
	ds_read_u16 v78, v81
	v_lshrrev_b32_e32 v84, 30, v85
	v_and_b32_e32 v84, 2, v84
	v_lshlrev_b64 v[90:91], s20, v[18:19]
	v_lshrrev_b32_e32 v87, 30, v91
	s_waitcnt lgkmcnt(0)
	v_add_u16_e32 v80, 1, v78
	ds_write_b16 v81, v80
	v_lshrrev_b32_e32 v80, 21, v83
	v_and_or_b32 v80, v80, s30, v0
	v_lshl_or_b32 v83, v80, 2, v82
	ds_read_u16 v80, v83
	v_and_b32_e32 v87, 2, v87
	v_lshlrev_b64 v[92:93], s20, v[22:23]
	v_lshrrev_b32_e32 v92, 30, v93
	v_and_b32_e32 v92, 2, v92
	s_waitcnt lgkmcnt(0)
	v_add_u16_e32 v82, 1, v80
	ds_write_b16 v83, v82
	v_lshrrev_b32_e32 v82, 21, v85
	v_and_or_b32 v82, v82, s30, v0
	v_lshl_or_b32 v86, v82, 2, v84
	ds_read_u16 v82, v86
	v_lshlrev_b64 v[94:95], s20, v[24:25]
	v_lshrrev_b32_e32 v94, 30, v95
	v_and_b32_e32 v94, 2, v94
	v_lshlrev_b64 v[96:97], s20, v[26:27]
	s_waitcnt lgkmcnt(0)
	v_add_u16_e32 v84, 1, v82
	ds_write_b16 v86, v84
	v_lshlrev_b64 v[84:85], s20, v[16:17]
	v_lshrrev_b32_e32 v84, 21, v85
	v_lshrrev_b32_e32 v85, 30, v85
	v_and_or_b32 v84, v84, s30, v0
	v_and_b32_e32 v85, 2, v85
	v_lshl_or_b32 v89, v84, 2, v85
	ds_read_u16 v84, v89
	v_lshrrev_b32_e32 v96, 30, v97
	v_and_b32_e32 v96, 2, v96
	v_lshlrev_b64 v[98:99], s20, v[28:29]
	v_lshrrev_b32_e32 v98, 30, v99
	s_waitcnt lgkmcnt(0)
	v_add_u16_e32 v85, 1, v84
	ds_write_b16 v89, v85
	v_lshrrev_b32_e32 v85, 21, v91
	v_and_or_b32 v85, v85, s30, v0
	v_lshl_or_b32 v87, v85, 2, v87
	ds_read_u16 v85, v87
	v_lshlrev_b64 v[90:91], s20, v[20:21]
	v_lshrrev_b32_e32 v90, 30, v91
	v_and_b32_e32 v90, 2, v90
	v_and_b32_e32 v98, 2, v98
	s_waitcnt lgkmcnt(0)
	v_add_u16_e32 v88, 1, v85
	ds_write_b16 v87, v88
	v_lshrrev_b32_e32 v88, 21, v91
	v_and_or_b32 v88, v88, s30, v0
	v_lshl_or_b32 v91, v88, 2, v90
	ds_read_u16 v88, v91
	v_lshlrev_b64 v[100:101], s20, v[30:31]
	v_lshrrev_b32_e32 v100, 30, v101
	v_and_b32_e32 v100, 2, v100
	v_lshlrev_b64 v[106:107], s20, v[34:35]
	s_waitcnt lgkmcnt(0)
	v_add_u16_e32 v90, 1, v88
	ds_write_b16 v91, v90
	v_lshrrev_b32_e32 v90, 21, v93
	v_and_or_b32 v90, v90, s30, v0
	v_lshl_or_b32 v93, v90, 2, v92
	ds_read_u16 v90, v93
	v_lshrrev_b32_e32 v103, 30, v107
	v_and_b32_e32 v103, 2, v103
	v_lshlrev_b64 v[116:117], s20, v[42:43]
	v_lshrrev_b32_e32 v109, 30, v117
	s_waitcnt lgkmcnt(0)
	v_add_u16_e32 v92, 1, v90
	ds_write_b16 v93, v92
	v_lshrrev_b32_e32 v92, 21, v95
	v_and_or_b32 v92, v92, s30, v0
	v_lshl_or_b32 v95, v92, 2, v94
	ds_read_u16 v92, v95
	v_and_b32_e32 v109, 2, v109
	v_lshlrev_b64 v[118:119], s20, v[44:45]
	v_lshrrev_b32_e32 v111, 30, v119
	v_and_b32_e32 v111, 2, v111
	s_waitcnt lgkmcnt(0)
	v_add_u16_e32 v94, 1, v92
	ds_write_b16 v95, v94
	v_lshrrev_b32_e32 v94, 21, v97
	v_and_or_b32 v94, v94, s30, v0
	v_lshl_or_b32 v97, v94, 2, v96
	ds_read_u16 v94, v97
	v_lshlrev_b64 v[120:121], s20, v[46:47]
	v_lshrrev_b32_e32 v113, 30, v121
	v_and_b32_e32 v113, 2, v113
	v_lshlrev_b64 v[122:123], s20, v[48:49]
	s_waitcnt lgkmcnt(0)
	v_add_u16_e32 v96, 1, v94
	ds_write_b16 v97, v96
	v_lshrrev_b32_e32 v96, 21, v99
	v_and_or_b32 v96, v96, s30, v0
	v_lshl_or_b32 v99, v96, 2, v98
	ds_read_u16 v96, v99
	v_lshrrev_b32_e32 v114, 30, v123
	v_and_b32_e32 v114, 2, v114
	v_lshlrev_b64 v[124:125], s20, v[50:51]
	v_lshrrev_b32_e32 v116, 30, v125
	s_waitcnt lgkmcnt(0)
	v_add_u16_e32 v98, 1, v96
	ds_write_b16 v99, v98
	v_lshrrev_b32_e32 v98, 21, v101
	v_and_or_b32 v98, v98, s30, v0
	v_lshl_or_b32 v102, v98, 2, v100
	ds_read_u16 v98, v102
	v_and_b32_e32 v116, 2, v116
	v_lshlrev_b64 v[134:135], s20, v[62:63]
	v_lshrrev_b32_e32 v127, 30, v135
	v_and_b32_e32 v127, 2, v127
	s_waitcnt lgkmcnt(0)
	v_add_u16_e32 v100, 1, v98
	ds_write_b16 v102, v100
	v_lshlrev_b64 v[100:101], s20, v[32:33]
	v_lshrrev_b32_e32 v100, 21, v101
	v_lshrrev_b32_e32 v101, 30, v101
	v_and_or_b32 v100, v100, s30, v0
	v_and_b32_e32 v101, 2, v101
	v_lshl_or_b32 v104, v100, 2, v101
	ds_read_u16 v100, v104
	s_waitcnt lgkmcnt(0)
	v_add_u16_e32 v101, 1, v100
	ds_write_b16 v104, v101
	v_lshrrev_b32_e32 v101, 21, v107
	v_and_or_b32 v101, v101, s30, v0
	v_lshl_or_b32 v108, v101, 2, v103
	ds_read_u16 v101, v108
	v_lshlrev_b64 v[106:107], s20, v[36:37]
	v_lshrrev_b32_e32 v105, 30, v107
	v_and_b32_e32 v105, 2, v105
	s_waitcnt lgkmcnt(0)
	v_add_u16_e32 v103, 1, v101
	ds_write_b16 v108, v103
	v_lshrrev_b32_e32 v103, 21, v107
	v_and_or_b32 v103, v103, s30, v0
	v_lshl_or_b32 v110, v103, 2, v105
	ds_read_u16 v103, v110
	v_lshlrev_b64 v[106:107], s20, v[38:39]
	v_lshrrev_b32_e32 v106, 30, v107
	v_and_b32_e32 v106, 2, v106
	s_waitcnt lgkmcnt(0)
	v_add_u16_e32 v105, 1, v103
	ds_write_b16 v110, v105
	v_lshrrev_b32_e32 v105, 21, v107
	v_and_or_b32 v105, v105, s30, v0
	v_lshl_or_b32 v112, v105, 2, v106
	ds_read_u16 v105, v112
	s_waitcnt lgkmcnt(0)
	v_add_u16_e32 v106, 1, v105
	ds_write_b16 v112, v106
	v_lshlrev_b64 v[106:107], s20, v[40:41]
	v_lshrrev_b32_e32 v106, 21, v107
	v_lshrrev_b32_e32 v107, 30, v107
	v_and_or_b32 v106, v106, s30, v0
	v_and_b32_e32 v107, 2, v107
	v_lshl_or_b32 v115, v106, 2, v107
	ds_read_u16 v106, v115
	s_waitcnt lgkmcnt(0)
	v_add_u16_e32 v107, 1, v106
	ds_write_b16 v115, v107
	v_lshrrev_b32_e32 v107, 21, v117
	v_and_or_b32 v107, v107, s30, v0
	v_lshl_or_b32 v117, v107, 2, v109
	ds_read_u16 v107, v117
	s_waitcnt lgkmcnt(0)
	v_add_u16_e32 v109, 1, v107
	ds_write_b16 v117, v109
	v_lshrrev_b32_e32 v109, 21, v119
	v_and_or_b32 v109, v109, s30, v0
	;; [unrolled: 7-line block ×5, first 2 shown]
	v_lshl_or_b32 v126, v114, 2, v116
	ds_read_u16 v114, v126
	v_lshlrev_b64 v[124:125], s20, v[52:53]
	v_lshrrev_b32_e32 v118, 30, v125
	v_and_b32_e32 v118, 2, v118
	s_waitcnt lgkmcnt(0)
	v_add_u16_e32 v116, 1, v114
	ds_write_b16 v126, v116
	v_lshrrev_b32_e32 v116, 21, v125
	v_and_or_b32 v116, v116, s30, v0
	v_lshl_or_b32 v128, v116, 2, v118
	ds_read_u16 v116, v128
	v_lshlrev_b64 v[124:125], s20, v[54:55]
	v_lshrrev_b32_e32 v120, 30, v125
	v_and_b32_e32 v120, 2, v120
	s_waitcnt lgkmcnt(0)
	v_add_u16_e32 v118, 1, v116
	ds_write_b16 v128, v118
	v_lshrrev_b32_e32 v118, 21, v125
	v_and_or_b32 v118, v118, s30, v0
	;; [unrolled: 10-line block ×4, first 2 shown]
	v_lshl_or_b32 v131, v122, 2, v124
	ds_read_u16 v122, v131
	s_waitcnt lgkmcnt(0)
	v_add_u16_e32 v124, 1, v122
	ds_write_b16 v131, v124
	v_lshlrev_b64 v[124:125], s20, v[60:61]
	v_lshrrev_b32_e32 v124, 21, v125
	v_lshrrev_b32_e32 v125, 30, v125
	v_and_or_b32 v124, v124, s30, v0
	v_and_b32_e32 v125, 2, v125
	v_lshl_or_b32 v132, v124, 2, v125
	ds_read_u16 v124, v132
	s_waitcnt lgkmcnt(0)
	v_add_u16_e32 v125, 1, v124
	ds_write_b16 v132, v125
	v_lshrrev_b32_e32 v125, 21, v135
	v_and_or_b32 v125, v125, s30, v0
	v_lshl_or_b32 v133, v125, 2, v127
	ds_read_u16 v125, v133
	v_lshlrev_b64 v[134:135], s20, v[64:65]
	v_lshrrev_b32_e32 v134, 30, v135
	v_and_b32_e32 v134, 2, v134
	s_waitcnt lgkmcnt(0)
	v_add_u16_e32 v127, 1, v125
	ds_write_b16 v133, v127
	v_lshrrev_b32_e32 v127, 21, v135
	v_and_or_b32 v127, v127, s30, v0
	v_lshl_or_b32 v134, v127, 2, v134
	ds_read_u16 v127, v134
	s_waitcnt lgkmcnt(0)
	v_add_u16_e32 v135, 1, v127
	ds_write_b16 v134, v135
	s_waitcnt lgkmcnt(0)
	s_barrier
	ds_read2_b32 v[136:137], v66 offset1:1
	ds_read2_b32 v[138:139], v66 offset0:2 offset1:3
	ds_read2_b32 v[140:141], v66 offset0:4 offset1:5
	;; [unrolled: 1-line block ×3, first 2 shown]
	s_waitcnt lgkmcnt(3)
	v_add_u32_e32 v135, v137, v136
	s_waitcnt lgkmcnt(2)
	v_add3_u32 v135, v135, v138, v139
	s_waitcnt lgkmcnt(1)
	v_add3_u32 v135, v135, v140, v141
	;; [unrolled: 2-line block ×3, first 2 shown]
	s_nop 1
	v_mov_b32_dpp v136, v135 row_shr:1 row_mask:0xf bank_mask:0xf
	v_cndmask_b32_e64 v136, v136, 0, s[8:9]
	v_add_u32_e32 v135, v136, v135
	s_nop 1
	v_mov_b32_dpp v136, v135 row_shr:2 row_mask:0xf bank_mask:0xf
	v_cndmask_b32_e64 v136, 0, v136, s[10:11]
	v_add_u32_e32 v135, v135, v136
	;; [unrolled: 4-line block ×4, first 2 shown]
	s_nop 1
	v_mov_b32_dpp v136, v135 row_bcast:15 row_mask:0xf bank_mask:0xf
	v_cndmask_b32_e64 v136, v136, 0, s[16:17]
	v_add_u32_e32 v135, v135, v136
	s_nop 1
	v_mov_b32_dpp v136, v135 row_bcast:31 row_mask:0xf bank_mask:0xf
	v_cndmask_b32_e64 v136, 0, v136, s[2:3]
	v_add_u32_e32 v135, v135, v136
	s_and_saveexec_b64 s[20:21], s[4:5]
	s_cbranch_execz .LBB102_12
; %bb.11:                               ;   in Loop: Header=BB102_4 Depth=2
	ds_write_b32 v71, v135 offset:4096
.LBB102_12:                             ;   in Loop: Header=BB102_4 Depth=2
	s_or_b64 exec, exec, s[20:21]
	s_waitcnt lgkmcnt(0)
	s_barrier
	s_and_saveexec_b64 s[20:21], vcc
	s_cbranch_execz .LBB102_14
; %bb.13:                               ;   in Loop: Header=BB102_4 Depth=2
	ds_read_b32 v136, v70 offset:4096
	s_waitcnt lgkmcnt(0)
	s_nop 0
	v_mov_b32_dpp v137, v136 row_shr:1 row_mask:0xf bank_mask:0xf
	v_cndmask_b32_e64 v137, v137, 0, s[18:19]
	v_add_u32_e32 v136, v137, v136
	ds_write_b32 v70, v136 offset:4096
.LBB102_14:                             ;   in Loop: Header=BB102_4 Depth=2
	s_or_b64 exec, exec, s[20:21]
	v_mov_b32_e32 v136, 0
	s_waitcnt lgkmcnt(0)
	s_barrier
	s_and_saveexec_b64 s[20:21], s[0:1]
	s_cbranch_execz .LBB102_3
; %bb.15:                               ;   in Loop: Header=BB102_4 Depth=2
	ds_read_b32 v136, v71 offset:4092
	s_branch .LBB102_3
.LBB102_16:
	ds_read_u16 v31, v134
	ds_read_u16 v30, v133
	;; [unrolled: 1-line block ×32, first 2 shown]
	s_lshl_b64 s[0:1], s[24:25], 2
	s_add_u32 s0, s22, s0
	s_waitcnt lgkmcnt(8)
	v_add_u32_sdwa v0, v0, v68 dst_sel:DWORD dst_unused:UNUSED_PAD src0_sel:DWORD src1_sel:WORD_0
	v_add_u32_sdwa v1, v1, v73 dst_sel:DWORD dst_unused:UNUSED_PAD src0_sel:DWORD src1_sel:WORD_0
	v_add_u32_sdwa v2, v2, v74 dst_sel:DWORD dst_unused:UNUSED_PAD src0_sel:DWORD src1_sel:WORD_0
	v_add_u32_sdwa v3, v3, v76 dst_sel:DWORD dst_unused:UNUSED_PAD src0_sel:DWORD src1_sel:WORD_0
	s_addc_u32 s1, s23, s1
	v_lshlrev_b32_e32 v32, 2, v66
	v_add_u32_sdwa v4, v4, v78 dst_sel:DWORD dst_unused:UNUSED_PAD src0_sel:DWORD src1_sel:WORD_0
	v_add_u32_sdwa v5, v5, v80 dst_sel:DWORD dst_unused:UNUSED_PAD src0_sel:DWORD src1_sel:WORD_0
	;; [unrolled: 1-line block ×4, first 2 shown]
	s_waitcnt lgkmcnt(0)
	v_add_u32_sdwa v8, v8, v85 dst_sel:DWORD dst_unused:UNUSED_PAD src0_sel:DWORD src1_sel:WORD_0
	v_add_u32_sdwa v9, v9, v88 dst_sel:DWORD dst_unused:UNUSED_PAD src0_sel:DWORD src1_sel:WORD_0
	;; [unrolled: 1-line block ×24, first 2 shown]
	global_store_dwordx4 v32, v[0:3], s[0:1]
	global_store_dwordx4 v32, v[4:7], s[0:1] offset:16
	global_store_dwordx4 v32, v[8:11], s[0:1] offset:32
	;; [unrolled: 1-line block ×7, first 2 shown]
	s_endpgm
	.section	.rodata,"a",@progbits
	.p2align	6, 0x0
	.amdhsa_kernel _Z11rank_kernelIxLj4ELb0EL18RadixRankAlgorithm0ELj128ELj32ELj10EEvPKT_Pi
		.amdhsa_group_segment_fixed_size 4104
		.amdhsa_private_segment_fixed_size 0
		.amdhsa_kernarg_size 16
		.amdhsa_user_sgpr_count 6
		.amdhsa_user_sgpr_private_segment_buffer 1
		.amdhsa_user_sgpr_dispatch_ptr 0
		.amdhsa_user_sgpr_queue_ptr 0
		.amdhsa_user_sgpr_kernarg_segment_ptr 1
		.amdhsa_user_sgpr_dispatch_id 0
		.amdhsa_user_sgpr_flat_scratch_init 0
		.amdhsa_user_sgpr_kernarg_preload_length 0
		.amdhsa_user_sgpr_kernarg_preload_offset 0
		.amdhsa_user_sgpr_private_segment_size 0
		.amdhsa_uses_dynamic_stack 0
		.amdhsa_system_sgpr_private_segment_wavefront_offset 0
		.amdhsa_system_sgpr_workgroup_id_x 1
		.amdhsa_system_sgpr_workgroup_id_y 0
		.amdhsa_system_sgpr_workgroup_id_z 0
		.amdhsa_system_sgpr_workgroup_info 0
		.amdhsa_system_vgpr_workitem_id 0
		.amdhsa_next_free_vgpr 144
		.amdhsa_next_free_sgpr 38
		.amdhsa_accum_offset 144
		.amdhsa_reserve_vcc 1
		.amdhsa_reserve_flat_scratch 0
		.amdhsa_float_round_mode_32 0
		.amdhsa_float_round_mode_16_64 0
		.amdhsa_float_denorm_mode_32 3
		.amdhsa_float_denorm_mode_16_64 3
		.amdhsa_dx10_clamp 1
		.amdhsa_ieee_mode 1
		.amdhsa_fp16_overflow 0
		.amdhsa_tg_split 0
		.amdhsa_exception_fp_ieee_invalid_op 0
		.amdhsa_exception_fp_denorm_src 0
		.amdhsa_exception_fp_ieee_div_zero 0
		.amdhsa_exception_fp_ieee_overflow 0
		.amdhsa_exception_fp_ieee_underflow 0
		.amdhsa_exception_fp_ieee_inexact 0
		.amdhsa_exception_int_div_zero 0
	.end_amdhsa_kernel
	.section	.text._Z11rank_kernelIxLj4ELb0EL18RadixRankAlgorithm0ELj128ELj32ELj10EEvPKT_Pi,"axG",@progbits,_Z11rank_kernelIxLj4ELb0EL18RadixRankAlgorithm0ELj128ELj32ELj10EEvPKT_Pi,comdat
.Lfunc_end102:
	.size	_Z11rank_kernelIxLj4ELb0EL18RadixRankAlgorithm0ELj128ELj32ELj10EEvPKT_Pi, .Lfunc_end102-_Z11rank_kernelIxLj4ELb0EL18RadixRankAlgorithm0ELj128ELj32ELj10EEvPKT_Pi
                                        ; -- End function
	.section	.AMDGPU.csdata,"",@progbits
; Kernel info:
; codeLenInByte = 3880
; NumSgprs: 42
; NumVgprs: 144
; NumAgprs: 0
; TotalNumVgprs: 144
; ScratchSize: 0
; MemoryBound: 0
; FloatMode: 240
; IeeeMode: 1
; LDSByteSize: 4104 bytes/workgroup (compile time only)
; SGPRBlocks: 5
; VGPRBlocks: 17
; NumSGPRsForWavesPerEU: 42
; NumVGPRsForWavesPerEU: 144
; AccumOffset: 144
; Occupancy: 3
; WaveLimiterHint : 0
; COMPUTE_PGM_RSRC2:SCRATCH_EN: 0
; COMPUTE_PGM_RSRC2:USER_SGPR: 6
; COMPUTE_PGM_RSRC2:TRAP_HANDLER: 0
; COMPUTE_PGM_RSRC2:TGID_X_EN: 1
; COMPUTE_PGM_RSRC2:TGID_Y_EN: 0
; COMPUTE_PGM_RSRC2:TGID_Z_EN: 0
; COMPUTE_PGM_RSRC2:TIDIG_COMP_CNT: 0
; COMPUTE_PGM_RSRC3_GFX90A:ACCUM_OFFSET: 35
; COMPUTE_PGM_RSRC3_GFX90A:TG_SPLIT: 0
	.section	.text._Z11rank_kernelIxLj4ELb0EL18RadixRankAlgorithm1ELj128ELj32ELj10EEvPKT_Pi,"axG",@progbits,_Z11rank_kernelIxLj4ELb0EL18RadixRankAlgorithm1ELj128ELj32ELj10EEvPKT_Pi,comdat
	.protected	_Z11rank_kernelIxLj4ELb0EL18RadixRankAlgorithm1ELj128ELj32ELj10EEvPKT_Pi ; -- Begin function _Z11rank_kernelIxLj4ELb0EL18RadixRankAlgorithm1ELj128ELj32ELj10EEvPKT_Pi
	.globl	_Z11rank_kernelIxLj4ELb0EL18RadixRankAlgorithm1ELj128ELj32ELj10EEvPKT_Pi
	.p2align	8
	.type	_Z11rank_kernelIxLj4ELb0EL18RadixRankAlgorithm1ELj128ELj32ELj10EEvPKT_Pi,@function
_Z11rank_kernelIxLj4ELb0EL18RadixRankAlgorithm1ELj128ELj32ELj10EEvPKT_Pi: ; @_Z11rank_kernelIxLj4ELb0EL18RadixRankAlgorithm1ELj128ELj32ELj10EEvPKT_Pi
; %bb.0:
	s_load_dwordx4 s[20:23], s[4:5], 0x0
	s_lshl_b32 s24, s6, 12
	s_mov_b32 s25, 0
	s_lshl_b64 s[0:1], s[24:25], 3
	v_lshlrev_b32_e32 v1, 8, v0
	s_waitcnt lgkmcnt(0)
	s_add_u32 s0, s20, s0
	s_addc_u32 s1, s21, s1
	global_load_dwordx4 v[2:5], v1, s[0:1]
	global_load_dwordx4 v[6:9], v1, s[0:1] offset:16
	global_load_dwordx4 v[10:13], v1, s[0:1] offset:32
	;; [unrolled: 1-line block ×15, first 2 shown]
	v_mbcnt_lo_u32_b32 v1, -1, 0
	v_mbcnt_hi_u32_b32 v66, -1, v1
	v_or_b32_e32 v68, 63, v0
	v_cmp_eq_u32_e64 s[4:5], v68, v0
	v_add_u32_e32 v68, -1, v66
	v_and_b32_e32 v72, 64, v66
	v_lshrrev_b32_e32 v69, 4, v0
	v_cmp_lt_i32_e64 s[18:19], v68, v72
	v_and_b32_e32 v70, 15, v66
	v_and_b32_e32 v71, 16, v66
	v_cmp_lt_u32_e64 s[2:3], 31, v66
	v_cmp_eq_u32_e64 s[6:7], 0, v66
	v_and_b32_e32 v77, 4, v69
	v_and_b32_e32 v69, 1, v66
	v_cndmask_b32_e64 v66, v68, v66, s[18:19]
	s_movk_i32 s30, 0x380
	v_mov_b32_e32 v67, 0
	v_cmp_gt_u32_e32 vcc, 2, v0
	v_cmp_lt_u32_e64 s[0:1], 63, v0
	v_or_b32_e32 v1, 0x80, v0
	s_mov_b32 s31, s25
	v_lshlrev_b32_e32 v76, 2, v0
	v_cmp_eq_u32_e64 s[8:9], 0, v70
	v_cmp_lt_u32_e64 s[10:11], 1, v70
	v_cmp_lt_u32_e64 s[12:13], 3, v70
	;; [unrolled: 1-line block ×3, first 2 shown]
	v_cmp_eq_u32_e64 s[16:17], 0, v71
	v_cmp_eq_u32_e64 s[18:19], 0, v69
	v_lshlrev_b32_e32 v78, 2, v66
	v_lshlrev_b32_e32 v66, 5, v0
	s_waitcnt vmcnt(15)
	v_xor_b32_e32 v3, 0x80000000, v3
	v_xor_b32_e32 v5, 0x80000000, v5
	s_waitcnt vmcnt(14)
	v_xor_b32_e32 v7, 0x80000000, v7
	v_xor_b32_e32 v9, 0x80000000, v9
	;; [unrolled: 3-line block ×16, first 2 shown]
	s_branch .LBB103_2
.LBB103_1:                              ;   in Loop: Header=BB103_2 Depth=1
	s_add_i32 s31, s31, 1
	s_cmp_eq_u32 s31, 10
	s_cbranch_scc1 .LBB103_16
.LBB103_2:                              ; =>This Loop Header: Depth=1
                                        ;     Child Loop BB103_4 Depth 2
                                        ;       Child Loop BB103_6 Depth 3
	s_mov_b32 s33, 0
	s_branch .LBB103_4
.LBB103_3:                              ;   in Loop: Header=BB103_4 Depth=2
	s_or_b64 exec, exec, s[20:21]
	s_waitcnt lgkmcnt(0)
	v_add_u32_e32 v71, v143, v71
	ds_bpermute_b32 v71, v78, v71
	ds_read_b32 v144, v67 offset:4100
	s_add_i32 s20, s33, 4
	s_cmp_lt_u32 s33, 60
	s_mov_b32 s33, s20
	s_waitcnt lgkmcnt(1)
	v_cndmask_b32_e64 v71, v71, v143, s[6:7]
	s_waitcnt lgkmcnt(0)
	v_lshl_add_u32 v71, v144, 16, v71
	v_add_u32_e32 v74, v71, v74
	v_add_u32_e32 v75, v74, v75
	ds_write2_b32 v66, v71, v74 offset1:1
	v_add_u32_e32 v71, v75, v72
	v_add_u32_e32 v72, v71, v73
	;; [unrolled: 1-line block ×4, first 2 shown]
	ds_write2_b32 v66, v72, v68 offset0:4 offset1:5
	v_add_u32_e32 v68, v69, v70
	ds_write2_b32 v66, v75, v71 offset0:2 offset1:3
	ds_write2_b32 v66, v69, v68 offset0:6 offset1:7
	s_waitcnt lgkmcnt(0)
	s_barrier
	s_cbranch_scc0 .LBB103_1
.LBB103_4:                              ;   Parent Loop BB103_2 Depth=1
                                        ; =>  This Loop Header: Depth=2
                                        ;       Child Loop BB103_6 Depth 3
	s_mov_b32 s34, 0
	s_mov_b64 s[20:21], 0
	v_pk_mov_b32 v[68:69], v[0:1], v[0:1] op_sel:[0,1]
	s_branch .LBB103_6
.LBB103_5:                              ;   in Loop: Header=BB103_6 Depth=3
	s_or_b64 exec, exec, s[28:29]
	s_add_i32 s34, s34, 2
	v_cmp_eq_u32_e64 s[26:27], 8, s34
	v_add_u32_e32 v69, 0x100, v69
	s_or_b64 s[20:21], s[26:27], s[20:21]
	v_add_u32_e32 v68, 0x100, v68
	s_andn2_b64 exec, exec, s[20:21]
	s_cbranch_execz .LBB103_10
.LBB103_6:                              ;   Parent Loop BB103_2 Depth=1
                                        ;     Parent Loop BB103_4 Depth=2
                                        ; =>    This Inner Loop Header: Depth=3
	s_or_b32 s26, s34, 1
	v_cmp_le_u32_e64 s[26:27], s26, 7
	v_cmp_le_u32_e64 s[36:37], s34, 7
	s_and_saveexec_b64 s[28:29], s[36:37]
	s_cbranch_execz .LBB103_8
; %bb.7:                                ;   in Loop: Header=BB103_6 Depth=3
	v_lshlrev_b32_e32 v70, 2, v68
	ds_write_b32 v70, v67
.LBB103_8:                              ;   in Loop: Header=BB103_6 Depth=3
	s_or_b64 exec, exec, s[28:29]
	s_and_saveexec_b64 s[28:29], s[26:27]
	s_cbranch_execz .LBB103_5
; %bb.9:                                ;   in Loop: Header=BB103_6 Depth=3
	v_lshlrev_b32_e32 v70, 2, v69
	ds_write_b32 v70, v67
	s_branch .LBB103_5
.LBB103_10:                             ;   in Loop: Header=BB103_4 Depth=2
	s_or_b64 exec, exec, s[20:21]
	s_sub_i32 s20, 60, s33
	v_lshlrev_b64 v[68:69], s20, v[2:3]
	v_lshrrev_b32_e32 v68, 21, v69
	v_lshrrev_b32_e32 v69, 30, v69
	v_and_or_b32 v68, v68, s30, v0
	v_and_b32_e32 v69, 2, v69
	v_lshl_or_b32 v80, v68, 2, v69
	ds_read_u16 v79, v80
	v_lshlrev_b64 v[68:69], s20, v[4:5]
	v_lshrrev_b32_e32 v68, 21, v69
	v_lshrrev_b32_e32 v69, 30, v69
	v_and_or_b32 v68, v68, s30, v0
	s_waitcnt lgkmcnt(0)
	v_add_u16_e32 v70, 1, v79
	v_and_b32_e32 v69, 2, v69
	ds_write_b16 v80, v70
	v_lshl_or_b32 v83, v68, 2, v69
	ds_read_u16 v81, v83
	s_waitcnt lgkmcnt(0)
	v_add_u16_e32 v68, 1, v81
	ds_write_b16 v83, v68
	v_lshlrev_b64 v[68:69], s20, v[6:7]
	v_lshrrev_b32_e32 v68, 21, v69
	v_lshrrev_b32_e32 v69, 30, v69
	v_and_or_b32 v68, v68, s30, v0
	v_and_b32_e32 v69, 2, v69
	v_lshl_or_b32 v85, v68, 2, v69
	ds_read_u16 v82, v85
	s_waitcnt lgkmcnt(0)
	v_add_u16_e32 v68, 1, v82
	ds_write_b16 v85, v68
	v_lshlrev_b64 v[68:69], s20, v[8:9]
	v_lshrrev_b32_e32 v68, 21, v69
	v_lshrrev_b32_e32 v69, 30, v69
	v_and_or_b32 v68, v68, s30, v0
	v_and_b32_e32 v69, 2, v69
	;; [unrolled: 10-line block ×30, first 2 shown]
	v_lshl_or_b32 v142, v68, 2, v69
	ds_read_u16 v135, v142
	s_waitcnt lgkmcnt(0)
	v_add_u16_e32 v68, 1, v135
	ds_write_b16 v142, v68
	s_waitcnt lgkmcnt(0)
	s_barrier
	ds_read2_b32 v[74:75], v66 offset1:1
	ds_read2_b32 v[72:73], v66 offset0:2 offset1:3
	ds_read2_b32 v[68:69], v66 offset0:4 offset1:5
	;; [unrolled: 1-line block ×3, first 2 shown]
	s_waitcnt lgkmcnt(3)
	v_add_u32_e32 v143, v75, v74
	s_waitcnt lgkmcnt(2)
	v_add3_u32 v143, v143, v72, v73
	s_waitcnt lgkmcnt(1)
	v_add3_u32 v143, v143, v68, v69
	;; [unrolled: 2-line block ×3, first 2 shown]
	s_nop 1
	v_mov_b32_dpp v143, v71 row_shr:1 row_mask:0xf bank_mask:0xf
	v_cndmask_b32_e64 v143, v143, 0, s[8:9]
	v_add_u32_e32 v71, v143, v71
	s_nop 1
	v_mov_b32_dpp v143, v71 row_shr:2 row_mask:0xf bank_mask:0xf
	v_cndmask_b32_e64 v143, 0, v143, s[10:11]
	v_add_u32_e32 v71, v71, v143
	;; [unrolled: 4-line block ×4, first 2 shown]
	s_nop 1
	v_mov_b32_dpp v143, v71 row_bcast:15 row_mask:0xf bank_mask:0xf
	v_cndmask_b32_e64 v143, v143, 0, s[16:17]
	v_add_u32_e32 v71, v71, v143
	s_nop 1
	v_mov_b32_dpp v143, v71 row_bcast:31 row_mask:0xf bank_mask:0xf
	v_cndmask_b32_e64 v143, 0, v143, s[2:3]
	v_add_u32_e32 v71, v71, v143
	s_and_saveexec_b64 s[20:21], s[4:5]
	s_cbranch_execz .LBB103_12
; %bb.11:                               ;   in Loop: Header=BB103_4 Depth=2
	ds_write_b32 v77, v71 offset:4096
.LBB103_12:                             ;   in Loop: Header=BB103_4 Depth=2
	s_or_b64 exec, exec, s[20:21]
	s_waitcnt lgkmcnt(0)
	s_barrier
	s_and_saveexec_b64 s[20:21], vcc
	s_cbranch_execz .LBB103_14
; %bb.13:                               ;   in Loop: Header=BB103_4 Depth=2
	ds_read_b32 v143, v76 offset:4096
	s_waitcnt lgkmcnt(0)
	s_nop 0
	v_mov_b32_dpp v144, v143 row_shr:1 row_mask:0xf bank_mask:0xf
	v_cndmask_b32_e64 v144, v144, 0, s[18:19]
	v_add_u32_e32 v143, v144, v143
	ds_write_b32 v76, v143 offset:4096
.LBB103_14:                             ;   in Loop: Header=BB103_4 Depth=2
	s_or_b64 exec, exec, s[20:21]
	v_mov_b32_e32 v143, 0
	s_waitcnt lgkmcnt(0)
	s_barrier
	s_and_saveexec_b64 s[20:21], s[0:1]
	s_cbranch_execz .LBB103_3
; %bb.15:                               ;   in Loop: Header=BB103_4 Depth=2
	ds_read_b32 v143, v77 offset:4092
	s_branch .LBB103_3
.LBB103_16:
	ds_read_u16 v31, v142
	ds_read_u16 v30, v141
	;; [unrolled: 1-line block ×32, first 2 shown]
	s_lshl_b64 s[0:1], s[24:25], 2
	s_add_u32 s0, s22, s0
	s_waitcnt lgkmcnt(8)
	v_add_u32_sdwa v0, v0, v79 dst_sel:DWORD dst_unused:UNUSED_PAD src0_sel:DWORD src1_sel:WORD_0
	v_add_u32_sdwa v1, v1, v81 dst_sel:DWORD dst_unused:UNUSED_PAD src0_sel:DWORD src1_sel:WORD_0
	;; [unrolled: 1-line block ×4, first 2 shown]
	s_addc_u32 s1, s23, s1
	v_lshlrev_b32_e32 v32, 2, v66
	v_add_u32_sdwa v4, v4, v86 dst_sel:DWORD dst_unused:UNUSED_PAD src0_sel:DWORD src1_sel:WORD_0
	v_add_u32_sdwa v5, v5, v88 dst_sel:DWORD dst_unused:UNUSED_PAD src0_sel:DWORD src1_sel:WORD_0
	;; [unrolled: 1-line block ×4, first 2 shown]
	s_waitcnt lgkmcnt(0)
	v_add_u32_sdwa v8, v8, v93 dst_sel:DWORD dst_unused:UNUSED_PAD src0_sel:DWORD src1_sel:WORD_0
	v_add_u32_sdwa v9, v9, v96 dst_sel:DWORD dst_unused:UNUSED_PAD src0_sel:DWORD src1_sel:WORD_0
	;; [unrolled: 1-line block ×24, first 2 shown]
	global_store_dwordx4 v32, v[0:3], s[0:1]
	global_store_dwordx4 v32, v[4:7], s[0:1] offset:16
	global_store_dwordx4 v32, v[8:11], s[0:1] offset:32
	;; [unrolled: 1-line block ×7, first 2 shown]
	s_endpgm
	.section	.rodata,"a",@progbits
	.p2align	6, 0x0
	.amdhsa_kernel _Z11rank_kernelIxLj4ELb0EL18RadixRankAlgorithm1ELj128ELj32ELj10EEvPKT_Pi
		.amdhsa_group_segment_fixed_size 4104
		.amdhsa_private_segment_fixed_size 0
		.amdhsa_kernarg_size 16
		.amdhsa_user_sgpr_count 6
		.amdhsa_user_sgpr_private_segment_buffer 1
		.amdhsa_user_sgpr_dispatch_ptr 0
		.amdhsa_user_sgpr_queue_ptr 0
		.amdhsa_user_sgpr_kernarg_segment_ptr 1
		.amdhsa_user_sgpr_dispatch_id 0
		.amdhsa_user_sgpr_flat_scratch_init 0
		.amdhsa_user_sgpr_kernarg_preload_length 0
		.amdhsa_user_sgpr_kernarg_preload_offset 0
		.amdhsa_user_sgpr_private_segment_size 0
		.amdhsa_uses_dynamic_stack 0
		.amdhsa_system_sgpr_private_segment_wavefront_offset 0
		.amdhsa_system_sgpr_workgroup_id_x 1
		.amdhsa_system_sgpr_workgroup_id_y 0
		.amdhsa_system_sgpr_workgroup_id_z 0
		.amdhsa_system_sgpr_workgroup_info 0
		.amdhsa_system_vgpr_workitem_id 0
		.amdhsa_next_free_vgpr 145
		.amdhsa_next_free_sgpr 38
		.amdhsa_accum_offset 148
		.amdhsa_reserve_vcc 1
		.amdhsa_reserve_flat_scratch 0
		.amdhsa_float_round_mode_32 0
		.amdhsa_float_round_mode_16_64 0
		.amdhsa_float_denorm_mode_32 3
		.amdhsa_float_denorm_mode_16_64 3
		.amdhsa_dx10_clamp 1
		.amdhsa_ieee_mode 1
		.amdhsa_fp16_overflow 0
		.amdhsa_tg_split 0
		.amdhsa_exception_fp_ieee_invalid_op 0
		.amdhsa_exception_fp_denorm_src 0
		.amdhsa_exception_fp_ieee_div_zero 0
		.amdhsa_exception_fp_ieee_overflow 0
		.amdhsa_exception_fp_ieee_underflow 0
		.amdhsa_exception_fp_ieee_inexact 0
		.amdhsa_exception_int_div_zero 0
	.end_amdhsa_kernel
	.section	.text._Z11rank_kernelIxLj4ELb0EL18RadixRankAlgorithm1ELj128ELj32ELj10EEvPKT_Pi,"axG",@progbits,_Z11rank_kernelIxLj4ELb0EL18RadixRankAlgorithm1ELj128ELj32ELj10EEvPKT_Pi,comdat
.Lfunc_end103:
	.size	_Z11rank_kernelIxLj4ELb0EL18RadixRankAlgorithm1ELj128ELj32ELj10EEvPKT_Pi, .Lfunc_end103-_Z11rank_kernelIxLj4ELb0EL18RadixRankAlgorithm1ELj128ELj32ELj10EEvPKT_Pi
                                        ; -- End function
	.section	.AMDGPU.csdata,"",@progbits
; Kernel info:
; codeLenInByte = 3832
; NumSgprs: 42
; NumVgprs: 145
; NumAgprs: 0
; TotalNumVgprs: 145
; ScratchSize: 0
; MemoryBound: 0
; FloatMode: 240
; IeeeMode: 1
; LDSByteSize: 4104 bytes/workgroup (compile time only)
; SGPRBlocks: 5
; VGPRBlocks: 18
; NumSGPRsForWavesPerEU: 42
; NumVGPRsForWavesPerEU: 145
; AccumOffset: 148
; Occupancy: 3
; WaveLimiterHint : 0
; COMPUTE_PGM_RSRC2:SCRATCH_EN: 0
; COMPUTE_PGM_RSRC2:USER_SGPR: 6
; COMPUTE_PGM_RSRC2:TRAP_HANDLER: 0
; COMPUTE_PGM_RSRC2:TGID_X_EN: 1
; COMPUTE_PGM_RSRC2:TGID_Y_EN: 0
; COMPUTE_PGM_RSRC2:TGID_Z_EN: 0
; COMPUTE_PGM_RSRC2:TIDIG_COMP_CNT: 0
; COMPUTE_PGM_RSRC3_GFX90A:ACCUM_OFFSET: 36
; COMPUTE_PGM_RSRC3_GFX90A:TG_SPLIT: 0
	.section	.text._Z11rank_kernelIxLj4ELb0EL18RadixRankAlgorithm2ELj128ELj32ELj10EEvPKT_Pi,"axG",@progbits,_Z11rank_kernelIxLj4ELb0EL18RadixRankAlgorithm2ELj128ELj32ELj10EEvPKT_Pi,comdat
	.protected	_Z11rank_kernelIxLj4ELb0EL18RadixRankAlgorithm2ELj128ELj32ELj10EEvPKT_Pi ; -- Begin function _Z11rank_kernelIxLj4ELb0EL18RadixRankAlgorithm2ELj128ELj32ELj10EEvPKT_Pi
	.globl	_Z11rank_kernelIxLj4ELb0EL18RadixRankAlgorithm2ELj128ELj32ELj10EEvPKT_Pi
	.p2align	8
	.type	_Z11rank_kernelIxLj4ELb0EL18RadixRankAlgorithm2ELj128ELj32ELj10EEvPKT_Pi,@function
_Z11rank_kernelIxLj4ELb0EL18RadixRankAlgorithm2ELj128ELj32ELj10EEvPKT_Pi: ; @_Z11rank_kernelIxLj4ELb0EL18RadixRankAlgorithm2ELj128ELj32ELj10EEvPKT_Pi
; %bb.0:
	s_load_dwordx4 s[24:27], s[4:5], 0x0
	s_load_dword s20, s[4:5], 0x1c
	s_lshl_b32 s28, s6, 12
	s_mov_b32 s29, 0
	s_lshl_b64 s[0:1], s[28:29], 3
	s_waitcnt lgkmcnt(0)
	s_add_u32 s0, s24, s0
	v_and_b32_e32 v66, 0x3ff, v0
	s_addc_u32 s1, s25, s1
	v_lshlrev_b32_e32 v1, 8, v66
	global_load_dwordx4 v[2:5], v1, s[0:1]
	global_load_dwordx4 v[6:9], v1, s[0:1] offset:16
	global_load_dwordx4 v[10:13], v1, s[0:1] offset:32
	;; [unrolled: 1-line block ×15, first 2 shown]
	v_mbcnt_lo_u32_b32 v1, -1, 0
	v_mbcnt_hi_u32_b32 v69, -1, v1
	v_bfe_u32 v67, v0, 10, 10
	v_bfe_u32 v68, v0, 20, 10
	v_add_u32_e32 v73, -1, v69
	v_and_b32_e32 v74, 64, v69
	s_lshr_b32 s21, s20, 16
	v_or_b32_e32 v72, 63, v66
	v_lshrrev_b32_e32 v76, 4, v66
	v_cmp_lt_i32_e64 s[18:19], v73, v74
	s_and_b32 s20, s20, 0xffff
	v_mad_u32_u24 v67, v68, s21, v67
	v_and_b32_e32 v70, 15, v69
	v_and_b32_e32 v71, 16, v69
	v_lshlrev_b32_e32 v1, 2, v66
	v_cmp_lt_u32_e32 vcc, 31, v69
	v_cmp_gt_u32_e64 s[0:1], 2, v66
	v_cmp_lt_u32_e64 s[2:3], 63, v66
	v_cmp_eq_u32_e64 s[4:5], 0, v69
	v_and_b32_e32 v75, 1, v69
	v_lshlrev_b32_e32 v0, 5, v66
	v_cmp_eq_u32_e64 s[16:17], v72, v66
	v_cndmask_b32_e64 v69, v73, v69, s[18:19]
	v_mad_u64_u32 v[66:67], s[20:21], v67, s20, v[66:67]
	v_and_b32_e32 v74, 4, v76
	v_cmp_eq_u32_e64 s[6:7], 0, v70
	v_cmp_lt_u32_e64 s[8:9], 1, v70
	v_cmp_lt_u32_e64 s[10:11], 3, v70
	;; [unrolled: 1-line block ×3, first 2 shown]
	v_cmp_eq_u32_e64 s[14:15], 0, v71
	v_cmp_eq_u32_e64 s[18:19], 0, v75
	v_lshrrev_b32_e32 v71, 6, v66
	v_lshlrev_b32_e32 v73, 2, v69
	s_mov_b32 s30, s29
	v_add_u32_e32 v75, -4, v74
	v_mov_b32_e32 v66, 0
	s_waitcnt vmcnt(15)
	v_xor_b32_e32 v3, 0x80000000, v3
	v_xor_b32_e32 v5, 0x80000000, v5
	s_waitcnt vmcnt(14)
	v_xor_b32_e32 v7, 0x80000000, v7
	v_xor_b32_e32 v9, 0x80000000, v9
	;; [unrolled: 3-line block ×16, first 2 shown]
	s_branch .LBB104_2
.LBB104_1:                              ;   in Loop: Header=BB104_2 Depth=1
	s_add_i32 s30, s30, 1
	s_cmp_eq_u32 s30, 10
	s_cbranch_scc1 .LBB104_74
.LBB104_2:                              ; =>This Loop Header: Depth=1
                                        ;     Child Loop BB104_4 Depth 2
	s_mov_b64 s[24:25], 60
	s_mov_b32 s31, -4
	s_branch .LBB104_4
.LBB104_3:                              ;   in Loop: Header=BB104_4 Depth=2
	s_or_b64 exec, exec, s[20:21]
	s_waitcnt lgkmcnt(0)
	v_add_u32_e32 v68, v69, v68
	ds_bpermute_b32 v68, v73, v68
	s_add_i32 s31, s31, 4
	s_add_u32 s24, s24, -4
	s_addc_u32 s25, s25, -1
	s_cmp_lt_u32 s31, 60
	s_waitcnt lgkmcnt(0)
	v_cndmask_b32_e64 v68, v68, v69, s[4:5]
	ds_write_b32 v1, v68 offset:8
	s_waitcnt lgkmcnt(0)
	s_barrier
	s_cbranch_scc0 .LBB104_1
.LBB104_4:                              ;   Parent Loop BB104_2 Depth=1
                                        ; =>  This Inner Loop Header: Depth=2
	v_lshlrev_b64 v[68:69], s24, v[2:3]
	v_lshrrev_b32_e32 v72, 28, v69
	v_mad_u32_u24 v67, v72, 3, v71
	v_lshl_add_u32 v70, v67, 2, 8
	v_bfe_u32 v67, v69, 28, 1
	v_add_co_u32_e64 v76, s[20:21], -1, v67
	v_addc_co_u32_e64 v77, s[20:21], 0, -1, s[20:21]
	v_cmp_ne_u32_e64 s[20:21], 0, v67
	v_xor_b32_e32 v67, s21, v77
	v_and_b32_e32 v77, exec_hi, v67
	v_lshlrev_b32_e32 v67, 30, v72
	v_xor_b32_e32 v76, s20, v76
	v_cmp_gt_i64_e64 s[20:21], 0, v[66:67]
	v_not_b32_e32 v67, v67
	v_ashrrev_i32_e32 v67, 31, v67
	v_and_b32_e32 v76, exec_lo, v76
	v_xor_b32_e32 v78, s21, v67
	v_xor_b32_e32 v67, s20, v67
	v_and_b32_e32 v76, v76, v67
	v_lshlrev_b32_e32 v67, 29, v72
	v_cmp_gt_i64_e64 s[20:21], 0, v[66:67]
	v_not_b32_e32 v67, v67
	v_ashrrev_i32_e32 v67, 31, v67
	v_xor_b32_e32 v72, s21, v67
	v_xor_b32_e32 v67, s20, v67
	v_cmp_gt_i64_e64 s[20:21], 0, v[68:69]
	v_not_b32_e32 v68, v69
	v_ashrrev_i32_e32 v68, 31, v68
	v_and_b32_e32 v77, v77, v78
	v_and_b32_e32 v67, v76, v67
	v_xor_b32_e32 v69, s21, v68
	v_xor_b32_e32 v68, s20, v68
	v_and_b32_e32 v72, v77, v72
	v_and_b32_e32 v68, v67, v68
	;; [unrolled: 1-line block ×3, first 2 shown]
	v_mbcnt_lo_u32_b32 v67, v68, 0
	v_mbcnt_hi_u32_b32 v72, v69, v67
	v_cmp_eq_u32_e64 s[20:21], 0, v72
	v_cmp_ne_u64_e64 s[22:23], 0, v[68:69]
	s_and_b64 s[22:23], s[22:23], s[20:21]
	ds_write_b32 v1, v66 offset:8
	s_waitcnt lgkmcnt(0)
	s_barrier
	s_waitcnt lgkmcnt(0)
	; wave barrier
	s_and_saveexec_b64 s[20:21], s[22:23]
	s_cbranch_execz .LBB104_6
; %bb.5:                                ;   in Loop: Header=BB104_4 Depth=2
	v_bcnt_u32_b32 v67, v68, 0
	v_bcnt_u32_b32 v67, v69, v67
	ds_write_b32 v70, v67
.LBB104_6:                              ;   in Loop: Header=BB104_4 Depth=2
	s_or_b64 exec, exec, s[20:21]
	v_lshlrev_b64 v[68:69], s24, v[4:5]
	v_lshrrev_b32_e32 v78, 28, v69
	v_mul_u32_u24_e32 v67, 3, v78
	v_add_lshl_u32 v67, v67, v71, 2
	; wave barrier
	v_add_u32_e32 v77, 8, v67
	ds_read_b32 v76, v67 offset:8
	v_bfe_u32 v67, v69, 28, 1
	v_add_co_u32_e64 v79, s[20:21], -1, v67
	v_addc_co_u32_e64 v80, s[20:21], 0, -1, s[20:21]
	v_cmp_ne_u32_e64 s[20:21], 0, v67
	v_xor_b32_e32 v67, s21, v80
	v_and_b32_e32 v80, exec_hi, v67
	v_lshlrev_b32_e32 v67, 30, v78
	v_xor_b32_e32 v79, s20, v79
	v_cmp_gt_i64_e64 s[20:21], 0, v[66:67]
	v_not_b32_e32 v67, v67
	v_ashrrev_i32_e32 v67, 31, v67
	v_and_b32_e32 v79, exec_lo, v79
	v_xor_b32_e32 v81, s21, v67
	v_xor_b32_e32 v67, s20, v67
	v_and_b32_e32 v79, v79, v67
	v_lshlrev_b32_e32 v67, 29, v78
	v_cmp_gt_i64_e64 s[20:21], 0, v[66:67]
	v_not_b32_e32 v67, v67
	v_ashrrev_i32_e32 v67, 31, v67
	v_xor_b32_e32 v78, s21, v67
	v_xor_b32_e32 v67, s20, v67
	v_cmp_gt_i64_e64 s[20:21], 0, v[68:69]
	v_not_b32_e32 v68, v69
	v_ashrrev_i32_e32 v68, 31, v68
	v_and_b32_e32 v80, v80, v81
	v_and_b32_e32 v67, v79, v67
	v_xor_b32_e32 v69, s21, v68
	v_xor_b32_e32 v68, s20, v68
	v_and_b32_e32 v78, v80, v78
	v_and_b32_e32 v68, v67, v68
	;; [unrolled: 1-line block ×3, first 2 shown]
	v_mbcnt_lo_u32_b32 v67, v68, 0
	v_mbcnt_hi_u32_b32 v78, v69, v67
	v_cmp_eq_u32_e64 s[20:21], 0, v78
	v_cmp_ne_u64_e64 s[22:23], 0, v[68:69]
	s_and_b64 s[22:23], s[22:23], s[20:21]
	; wave barrier
	s_and_saveexec_b64 s[20:21], s[22:23]
	s_cbranch_execz .LBB104_8
; %bb.7:                                ;   in Loop: Header=BB104_4 Depth=2
	v_bcnt_u32_b32 v67, v68, 0
	v_bcnt_u32_b32 v67, v69, v67
	s_waitcnt lgkmcnt(0)
	v_add_u32_e32 v67, v76, v67
	ds_write_b32 v77, v67
.LBB104_8:                              ;   in Loop: Header=BB104_4 Depth=2
	s_or_b64 exec, exec, s[20:21]
	v_lshlrev_b64 v[68:69], s24, v[6:7]
	v_lshrrev_b32_e32 v81, 28, v69
	v_mul_u32_u24_e32 v67, 3, v81
	v_add_lshl_u32 v67, v67, v71, 2
	; wave barrier
	v_add_u32_e32 v80, 8, v67
	ds_read_b32 v79, v67 offset:8
	v_bfe_u32 v67, v69, 28, 1
	v_add_co_u32_e64 v82, s[20:21], -1, v67
	v_addc_co_u32_e64 v83, s[20:21], 0, -1, s[20:21]
	v_cmp_ne_u32_e64 s[20:21], 0, v67
	v_xor_b32_e32 v67, s21, v83
	v_and_b32_e32 v83, exec_hi, v67
	v_lshlrev_b32_e32 v67, 30, v81
	v_xor_b32_e32 v82, s20, v82
	v_cmp_gt_i64_e64 s[20:21], 0, v[66:67]
	v_not_b32_e32 v67, v67
	v_ashrrev_i32_e32 v67, 31, v67
	v_and_b32_e32 v82, exec_lo, v82
	v_xor_b32_e32 v84, s21, v67
	v_xor_b32_e32 v67, s20, v67
	v_and_b32_e32 v82, v82, v67
	v_lshlrev_b32_e32 v67, 29, v81
	v_cmp_gt_i64_e64 s[20:21], 0, v[66:67]
	v_not_b32_e32 v67, v67
	v_ashrrev_i32_e32 v67, 31, v67
	v_xor_b32_e32 v81, s21, v67
	v_xor_b32_e32 v67, s20, v67
	v_cmp_gt_i64_e64 s[20:21], 0, v[68:69]
	v_not_b32_e32 v68, v69
	v_ashrrev_i32_e32 v68, 31, v68
	v_and_b32_e32 v83, v83, v84
	v_and_b32_e32 v67, v82, v67
	v_xor_b32_e32 v69, s21, v68
	v_xor_b32_e32 v68, s20, v68
	v_and_b32_e32 v81, v83, v81
	v_and_b32_e32 v68, v67, v68
	;; [unrolled: 1-line block ×3, first 2 shown]
	v_mbcnt_lo_u32_b32 v67, v68, 0
	v_mbcnt_hi_u32_b32 v81, v69, v67
	v_cmp_eq_u32_e64 s[20:21], 0, v81
	v_cmp_ne_u64_e64 s[22:23], 0, v[68:69]
	s_and_b64 s[22:23], s[22:23], s[20:21]
	; wave barrier
	s_and_saveexec_b64 s[20:21], s[22:23]
	s_cbranch_execz .LBB104_10
; %bb.9:                                ;   in Loop: Header=BB104_4 Depth=2
	v_bcnt_u32_b32 v67, v68, 0
	v_bcnt_u32_b32 v67, v69, v67
	s_waitcnt lgkmcnt(0)
	v_add_u32_e32 v67, v79, v67
	ds_write_b32 v80, v67
.LBB104_10:                             ;   in Loop: Header=BB104_4 Depth=2
	s_or_b64 exec, exec, s[20:21]
	v_lshlrev_b64 v[68:69], s24, v[8:9]
	v_lshrrev_b32_e32 v84, 28, v69
	v_mul_u32_u24_e32 v67, 3, v84
	v_add_lshl_u32 v67, v67, v71, 2
	; wave barrier
	v_add_u32_e32 v83, 8, v67
	ds_read_b32 v82, v67 offset:8
	v_bfe_u32 v67, v69, 28, 1
	v_add_co_u32_e64 v85, s[20:21], -1, v67
	v_addc_co_u32_e64 v86, s[20:21], 0, -1, s[20:21]
	v_cmp_ne_u32_e64 s[20:21], 0, v67
	v_xor_b32_e32 v67, s21, v86
	v_and_b32_e32 v86, exec_hi, v67
	v_lshlrev_b32_e32 v67, 30, v84
	v_xor_b32_e32 v85, s20, v85
	v_cmp_gt_i64_e64 s[20:21], 0, v[66:67]
	v_not_b32_e32 v67, v67
	v_ashrrev_i32_e32 v67, 31, v67
	v_and_b32_e32 v85, exec_lo, v85
	v_xor_b32_e32 v87, s21, v67
	v_xor_b32_e32 v67, s20, v67
	v_and_b32_e32 v85, v85, v67
	v_lshlrev_b32_e32 v67, 29, v84
	v_cmp_gt_i64_e64 s[20:21], 0, v[66:67]
	v_not_b32_e32 v67, v67
	v_ashrrev_i32_e32 v67, 31, v67
	v_xor_b32_e32 v84, s21, v67
	v_xor_b32_e32 v67, s20, v67
	v_cmp_gt_i64_e64 s[20:21], 0, v[68:69]
	v_not_b32_e32 v68, v69
	v_ashrrev_i32_e32 v68, 31, v68
	v_and_b32_e32 v86, v86, v87
	v_and_b32_e32 v67, v85, v67
	v_xor_b32_e32 v69, s21, v68
	v_xor_b32_e32 v68, s20, v68
	v_and_b32_e32 v84, v86, v84
	v_and_b32_e32 v68, v67, v68
	v_and_b32_e32 v69, v84, v69
	v_mbcnt_lo_u32_b32 v67, v68, 0
	v_mbcnt_hi_u32_b32 v84, v69, v67
	v_cmp_eq_u32_e64 s[20:21], 0, v84
	v_cmp_ne_u64_e64 s[22:23], 0, v[68:69]
	s_and_b64 s[22:23], s[22:23], s[20:21]
	; wave barrier
	s_and_saveexec_b64 s[20:21], s[22:23]
	s_cbranch_execz .LBB104_12
; %bb.11:                               ;   in Loop: Header=BB104_4 Depth=2
	v_bcnt_u32_b32 v67, v68, 0
	v_bcnt_u32_b32 v67, v69, v67
	s_waitcnt lgkmcnt(0)
	v_add_u32_e32 v67, v82, v67
	ds_write_b32 v83, v67
.LBB104_12:                             ;   in Loop: Header=BB104_4 Depth=2
	s_or_b64 exec, exec, s[20:21]
	v_lshlrev_b64 v[68:69], s24, v[10:11]
	v_lshrrev_b32_e32 v87, 28, v69
	v_mul_u32_u24_e32 v67, 3, v87
	v_add_lshl_u32 v67, v67, v71, 2
	; wave barrier
	v_add_u32_e32 v86, 8, v67
	ds_read_b32 v85, v67 offset:8
	v_bfe_u32 v67, v69, 28, 1
	v_add_co_u32_e64 v88, s[20:21], -1, v67
	v_addc_co_u32_e64 v89, s[20:21], 0, -1, s[20:21]
	v_cmp_ne_u32_e64 s[20:21], 0, v67
	v_xor_b32_e32 v67, s21, v89
	v_and_b32_e32 v89, exec_hi, v67
	v_lshlrev_b32_e32 v67, 30, v87
	v_xor_b32_e32 v88, s20, v88
	v_cmp_gt_i64_e64 s[20:21], 0, v[66:67]
	v_not_b32_e32 v67, v67
	v_ashrrev_i32_e32 v67, 31, v67
	v_and_b32_e32 v88, exec_lo, v88
	v_xor_b32_e32 v90, s21, v67
	v_xor_b32_e32 v67, s20, v67
	v_and_b32_e32 v88, v88, v67
	v_lshlrev_b32_e32 v67, 29, v87
	v_cmp_gt_i64_e64 s[20:21], 0, v[66:67]
	v_not_b32_e32 v67, v67
	v_ashrrev_i32_e32 v67, 31, v67
	v_xor_b32_e32 v87, s21, v67
	v_xor_b32_e32 v67, s20, v67
	v_cmp_gt_i64_e64 s[20:21], 0, v[68:69]
	v_not_b32_e32 v68, v69
	v_ashrrev_i32_e32 v68, 31, v68
	v_and_b32_e32 v89, v89, v90
	v_and_b32_e32 v67, v88, v67
	v_xor_b32_e32 v69, s21, v68
	v_xor_b32_e32 v68, s20, v68
	v_and_b32_e32 v87, v89, v87
	v_and_b32_e32 v68, v67, v68
	v_and_b32_e32 v69, v87, v69
	v_mbcnt_lo_u32_b32 v67, v68, 0
	v_mbcnt_hi_u32_b32 v87, v69, v67
	v_cmp_eq_u32_e64 s[20:21], 0, v87
	v_cmp_ne_u64_e64 s[22:23], 0, v[68:69]
	s_and_b64 s[22:23], s[22:23], s[20:21]
	; wave barrier
	s_and_saveexec_b64 s[20:21], s[22:23]
	s_cbranch_execz .LBB104_14
; %bb.13:                               ;   in Loop: Header=BB104_4 Depth=2
	v_bcnt_u32_b32 v67, v68, 0
	v_bcnt_u32_b32 v67, v69, v67
	s_waitcnt lgkmcnt(0)
	v_add_u32_e32 v67, v85, v67
	ds_write_b32 v86, v67
.LBB104_14:                             ;   in Loop: Header=BB104_4 Depth=2
	;; [unrolled: 54-line block ×29, first 2 shown]
	s_or_b64 exec, exec, s[20:21]
	; wave barrier
	s_waitcnt lgkmcnt(0)
	s_barrier
	ds_read_b32 v68, v1 offset:8
	s_waitcnt lgkmcnt(0)
	s_nop 0
	v_mov_b32_dpp v69, v68 row_shr:1 row_mask:0xf bank_mask:0xf
	v_cndmask_b32_e64 v69, v69, 0, s[6:7]
	v_add_u32_e32 v68, v69, v68
	s_nop 1
	v_mov_b32_dpp v69, v68 row_shr:2 row_mask:0xf bank_mask:0xf
	v_cndmask_b32_e64 v69, 0, v69, s[8:9]
	v_add_u32_e32 v68, v68, v69
	s_nop 1
	v_mov_b32_dpp v69, v68 row_shr:4 row_mask:0xf bank_mask:0xf
	v_cndmask_b32_e64 v69, 0, v69, s[10:11]
	v_add_u32_e32 v68, v68, v69
	s_nop 1
	v_mov_b32_dpp v69, v68 row_shr:8 row_mask:0xf bank_mask:0xf
	v_cndmask_b32_e64 v69, 0, v69, s[12:13]
	v_add_u32_e32 v68, v68, v69
	s_nop 1
	v_mov_b32_dpp v69, v68 row_bcast:15 row_mask:0xf bank_mask:0xf
	v_cndmask_b32_e64 v69, v69, 0, s[14:15]
	v_add_u32_e32 v68, v68, v69
	s_nop 1
	v_mov_b32_dpp v69, v68 row_bcast:31 row_mask:0xf bank_mask:0xf
	v_cndmask_b32_e32 v69, 0, v69, vcc
	v_add_u32_e32 v68, v68, v69
	s_and_saveexec_b64 s[20:21], s[16:17]
	s_xor_b64 s[20:21], exec, s[20:21]
	s_cbranch_execz .LBB104_70
; %bb.69:                               ;   in Loop: Header=BB104_4 Depth=2
	ds_write_b32 v74, v68
.LBB104_70:                             ;   in Loop: Header=BB104_4 Depth=2
	s_or_b64 exec, exec, s[20:21]
	s_waitcnt lgkmcnt(0)
	s_barrier
	s_and_saveexec_b64 s[20:21], s[0:1]
	s_cbranch_execz .LBB104_72
; %bb.71:                               ;   in Loop: Header=BB104_4 Depth=2
	ds_read_b32 v69, v1
	s_waitcnt lgkmcnt(0)
	s_nop 0
	v_mov_b32_dpp v168, v69 row_shr:1 row_mask:0xf bank_mask:0xf
	v_cndmask_b32_e64 v168, v168, 0, s[18:19]
	v_add_u32_e32 v69, v168, v69
	ds_write_b32 v1, v69
.LBB104_72:                             ;   in Loop: Header=BB104_4 Depth=2
	s_or_b64 exec, exec, s[20:21]
	v_mov_b32_e32 v69, 0
	s_waitcnt lgkmcnt(0)
	s_barrier
	s_and_saveexec_b64 s[20:21], s[2:3]
	s_cbranch_execz .LBB104_3
; %bb.73:                               ;   in Loop: Header=BB104_4 Depth=2
	ds_read_b32 v69, v75
	s_branch .LBB104_3
.LBB104_74:
	ds_read_b32 v1, v77
	ds_read_b32 v6, v92
	;; [unrolled: 1-line block ×8, first 2 shown]
	s_lshl_b64 s[0:1], s[28:29], 2
	s_add_u32 s0, s26, s0
	s_waitcnt lgkmcnt(7)
	v_add3_u32 v3, v78, v76, v1
	s_waitcnt lgkmcnt(3)
	v_add3_u32 v5, v84, v82, v2
	;; [unrolled: 2-line block ×3, first 2 shown]
	s_waitcnt lgkmcnt(1)
	v_add_u32_e32 v2, v9, v72
	v_lshlrev_b32_e32 v9, 2, v0
	s_addc_u32 s1, s27, s1
	global_store_dwordx4 v9, v[2:5], s[0:1]
	v_add3_u32 v1, v91, v88, v7
	v_add3_u32 v0, v87, v85, v8
	ds_read_b32 v4, v119
	ds_read_b32 v5, v116
	;; [unrolled: 1-line block ×8, first 2 shown]
	s_waitcnt lgkmcnt(8)
	v_add3_u32 v3, v96, v94, v10
	v_add3_u32 v2, v93, v90, v6
	global_store_dwordx4 v9, v[0:3], s[0:1] offset:16
	s_waitcnt lgkmcnt(1)
	v_add3_u32 v1, v102, v100, v13
	s_waitcnt lgkmcnt(0)
	v_add3_u32 v0, v99, v97, v14
	v_add3_u32 v3, v108, v106, v11
	ds_read_b32 v6, v167
	ds_read_b32 v10, v165
	;; [unrolled: 1-line block ×16, first 2 shown]
	v_add3_u32 v2, v105, v103, v12
	global_store_dwordx4 v9, v[0:3], s[0:1] offset:32
	s_nop 0
	v_add3_u32 v1, v114, v112, v7
	v_add3_u32 v0, v111, v109, v8
	;; [unrolled: 1-line block ×4, first 2 shown]
	global_store_dwordx4 v9, v[0:3], s[0:1] offset:48
	s_waitcnt lgkmcnt(1)
	v_add3_u32 v1, v126, v124, v24
	s_waitcnt lgkmcnt(0)
	v_add3_u32 v0, v123, v121, v25
	v_add3_u32 v3, v132, v130, v22
	v_add3_u32 v2, v129, v127, v23
	global_store_dwordx4 v9, v[0:3], s[0:1] offset:64
	s_nop 0
	v_add3_u32 v1, v138, v136, v20
	v_add3_u32 v0, v135, v133, v21
	v_add3_u32 v3, v144, v142, v18
	v_add3_u32 v2, v141, v139, v19
	global_store_dwordx4 v9, v[0:3], s[0:1] offset:80
	s_nop 0
	v_add3_u32 v1, v150, v148, v16
	;; [unrolled: 6-line block ×3, first 2 shown]
	v_add3_u32 v0, v158, v157, v13
	v_add3_u32 v3, v67, v166, v6
	;; [unrolled: 1-line block ×3, first 2 shown]
	global_store_dwordx4 v9, v[0:3], s[0:1] offset:112
	s_endpgm
	.section	.rodata,"a",@progbits
	.p2align	6, 0x0
	.amdhsa_kernel _Z11rank_kernelIxLj4ELb0EL18RadixRankAlgorithm2ELj128ELj32ELj10EEvPKT_Pi
		.amdhsa_group_segment_fixed_size 520
		.amdhsa_private_segment_fixed_size 0
		.amdhsa_kernarg_size 272
		.amdhsa_user_sgpr_count 6
		.amdhsa_user_sgpr_private_segment_buffer 1
		.amdhsa_user_sgpr_dispatch_ptr 0
		.amdhsa_user_sgpr_queue_ptr 0
		.amdhsa_user_sgpr_kernarg_segment_ptr 1
		.amdhsa_user_sgpr_dispatch_id 0
		.amdhsa_user_sgpr_flat_scratch_init 0
		.amdhsa_user_sgpr_kernarg_preload_length 0
		.amdhsa_user_sgpr_kernarg_preload_offset 0
		.amdhsa_user_sgpr_private_segment_size 0
		.amdhsa_uses_dynamic_stack 0
		.amdhsa_system_sgpr_private_segment_wavefront_offset 0
		.amdhsa_system_sgpr_workgroup_id_x 1
		.amdhsa_system_sgpr_workgroup_id_y 0
		.amdhsa_system_sgpr_workgroup_id_z 0
		.amdhsa_system_sgpr_workgroup_info 0
		.amdhsa_system_vgpr_workitem_id 2
		.amdhsa_next_free_vgpr 172
		.amdhsa_next_free_sgpr 32
		.amdhsa_accum_offset 172
		.amdhsa_reserve_vcc 1
		.amdhsa_reserve_flat_scratch 0
		.amdhsa_float_round_mode_32 0
		.amdhsa_float_round_mode_16_64 0
		.amdhsa_float_denorm_mode_32 3
		.amdhsa_float_denorm_mode_16_64 3
		.amdhsa_dx10_clamp 1
		.amdhsa_ieee_mode 1
		.amdhsa_fp16_overflow 0
		.amdhsa_tg_split 0
		.amdhsa_exception_fp_ieee_invalid_op 0
		.amdhsa_exception_fp_denorm_src 0
		.amdhsa_exception_fp_ieee_div_zero 0
		.amdhsa_exception_fp_ieee_overflow 0
		.amdhsa_exception_fp_ieee_underflow 0
		.amdhsa_exception_fp_ieee_inexact 0
		.amdhsa_exception_int_div_zero 0
	.end_amdhsa_kernel
	.section	.text._Z11rank_kernelIxLj4ELb0EL18RadixRankAlgorithm2ELj128ELj32ELj10EEvPKT_Pi,"axG",@progbits,_Z11rank_kernelIxLj4ELb0EL18RadixRankAlgorithm2ELj128ELj32ELj10EEvPKT_Pi,comdat
.Lfunc_end104:
	.size	_Z11rank_kernelIxLj4ELb0EL18RadixRankAlgorithm2ELj128ELj32ELj10EEvPKT_Pi, .Lfunc_end104-_Z11rank_kernelIxLj4ELb0EL18RadixRankAlgorithm2ELj128ELj32ELj10EEvPKT_Pi
                                        ; -- End function
	.section	.AMDGPU.csdata,"",@progbits
; Kernel info:
; codeLenInByte = 10320
; NumSgprs: 36
; NumVgprs: 172
; NumAgprs: 0
; TotalNumVgprs: 172
; ScratchSize: 0
; MemoryBound: 0
; FloatMode: 240
; IeeeMode: 1
; LDSByteSize: 520 bytes/workgroup (compile time only)
; SGPRBlocks: 4
; VGPRBlocks: 21
; NumSGPRsForWavesPerEU: 36
; NumVGPRsForWavesPerEU: 172
; AccumOffset: 172
; Occupancy: 2
; WaveLimiterHint : 0
; COMPUTE_PGM_RSRC2:SCRATCH_EN: 0
; COMPUTE_PGM_RSRC2:USER_SGPR: 6
; COMPUTE_PGM_RSRC2:TRAP_HANDLER: 0
; COMPUTE_PGM_RSRC2:TGID_X_EN: 1
; COMPUTE_PGM_RSRC2:TGID_Y_EN: 0
; COMPUTE_PGM_RSRC2:TGID_Z_EN: 0
; COMPUTE_PGM_RSRC2:TIDIG_COMP_CNT: 2
; COMPUTE_PGM_RSRC3_GFX90A:ACCUM_OFFSET: 42
; COMPUTE_PGM_RSRC3_GFX90A:TG_SPLIT: 0
	.section	.text._Z11rank_kernelIxLj4ELb0EL18RadixRankAlgorithm0ELj256ELj1ELj10EEvPKT_Pi,"axG",@progbits,_Z11rank_kernelIxLj4ELb0EL18RadixRankAlgorithm0ELj256ELj1ELj10EEvPKT_Pi,comdat
	.protected	_Z11rank_kernelIxLj4ELb0EL18RadixRankAlgorithm0ELj256ELj1ELj10EEvPKT_Pi ; -- Begin function _Z11rank_kernelIxLj4ELb0EL18RadixRankAlgorithm0ELj256ELj1ELj10EEvPKT_Pi
	.globl	_Z11rank_kernelIxLj4ELb0EL18RadixRankAlgorithm0ELj256ELj1ELj10EEvPKT_Pi
	.p2align	8
	.type	_Z11rank_kernelIxLj4ELb0EL18RadixRankAlgorithm0ELj256ELj1ELj10EEvPKT_Pi,@function
_Z11rank_kernelIxLj4ELb0EL18RadixRankAlgorithm0ELj256ELj1ELj10EEvPKT_Pi: ; @_Z11rank_kernelIxLj4ELb0EL18RadixRankAlgorithm0ELj256ELj1ELj10EEvPKT_Pi
; %bb.0:
	s_load_dwordx4 s[20:23], s[4:5], 0x0
	s_lshl_b32 s24, s6, 8
	s_mov_b32 s25, 0
	s_lshl_b64 s[0:1], s[24:25], 3
	v_lshlrev_b32_e32 v1, 3, v0
	s_waitcnt lgkmcnt(0)
	s_add_u32 s0, s20, s0
	s_addc_u32 s1, s21, s1
	global_load_dwordx2 v[2:3], v1, s[0:1]
	v_mbcnt_lo_u32_b32 v1, -1, 0
	v_mbcnt_hi_u32_b32 v4, -1, v1
	v_or_b32_e32 v5, 63, v0
	v_cmp_eq_u32_e64 s[4:5], v5, v0
	v_add_u32_e32 v5, -1, v4
	v_and_b32_e32 v12, 64, v4
	v_cmp_lt_i32_e64 s[18:19], v5, v12
	v_lshrrev_b32_e32 v9, 4, v0
	v_and_b32_e32 v10, 15, v4
	v_and_b32_e32 v11, 16, v4
	v_cmp_lt_u32_e64 s[2:3], 31, v4
	v_cmp_eq_u32_e64 s[6:7], 0, v4
	v_and_b32_e32 v13, 3, v4
	v_cndmask_b32_e64 v4, v5, v4, s[18:19]
	v_mov_b32_e32 v6, 0
	s_movk_i32 s33, 0x700
	v_lshlrev_b32_e32 v7, 5, v0
	v_cmp_gt_u32_e32 vcc, 4, v0
	v_cmp_lt_u32_e64 s[0:1], 63, v0
	v_lshlrev_b32_e32 v8, 2, v0
	v_or_b32_e32 v1, 0x100, v0
	v_and_b32_e32 v9, 12, v9
	v_cmp_eq_u32_e64 s[8:9], 0, v10
	v_cmp_lt_u32_e64 s[10:11], 1, v10
	v_cmp_lt_u32_e64 s[12:13], 3, v10
	;; [unrolled: 1-line block ×3, first 2 shown]
	v_cmp_eq_u32_e64 s[16:17], 0, v11
	v_cmp_eq_u32_e64 s[18:19], 0, v13
	v_cmp_lt_u32_e64 s[20:21], 1, v13
	v_lshlrev_b32_e32 v10, 2, v4
	s_mov_b32 s34, s25
	s_waitcnt vmcnt(0)
	v_xor_b32_e32 v3, 0x80000000, v3
	s_branch .LBB105_2
.LBB105_1:                              ;   in Loop: Header=BB105_2 Depth=1
	s_add_i32 s34, s34, 1
	s_cmp_eq_u32 s34, 10
	s_cbranch_scc1 .LBB105_16
.LBB105_2:                              ; =>This Loop Header: Depth=1
                                        ;     Child Loop BB105_4 Depth 2
                                        ;       Child Loop BB105_6 Depth 3
	s_mov_b32 s35, 0
	s_branch .LBB105_4
.LBB105_3:                              ;   in Loop: Header=BB105_4 Depth=2
	s_or_b64 exec, exec, s[26:27]
	s_waitcnt lgkmcnt(0)
	v_add_u32_e32 v11, v12, v11
	ds_bpermute_b32 v11, v10, v11
	ds_read_b32 v14, v6 offset:8204
	s_add_i32 s26, s35, 4
	s_cmp_lt_u32 s35, 60
	s_mov_b32 s35, s26
	s_waitcnt lgkmcnt(1)
	v_cndmask_b32_e64 v11, v11, v12, s[6:7]
	ds_read2_b32 v[12:13], v7 offset1:1
	s_waitcnt lgkmcnt(1)
	v_lshl_add_u32 v11, v14, 16, v11
	ds_read2_b32 v[14:15], v7 offset0:2 offset1:3
	ds_read2_b32 v[16:17], v7 offset0:4 offset1:5
	ds_read_b32 v18, v7 offset:24
	s_waitcnt lgkmcnt(3)
	v_add_u32_e32 v12, v11, v12
	ds_write2_b32 v7, v11, v12 offset1:1
	v_add_u32_e32 v11, v13, v12
	s_waitcnt lgkmcnt(3)
	v_add_u32_e32 v12, v14, v11
	ds_write2_b32 v7, v11, v12 offset0:2 offset1:3
	v_add_u32_e32 v11, v15, v12
	s_waitcnt lgkmcnt(3)
	v_add_u32_e32 v12, v16, v11
	ds_write2_b32 v7, v11, v12 offset0:4 offset1:5
	;; [unrolled: 4-line block ×3, first 2 shown]
	s_waitcnt lgkmcnt(0)
	s_barrier
	s_cbranch_scc0 .LBB105_1
.LBB105_4:                              ;   Parent Loop BB105_2 Depth=1
                                        ; =>  This Loop Header: Depth=2
                                        ;       Child Loop BB105_6 Depth 3
	s_mov_b32 s36, 0
	s_mov_b64 s[26:27], 0
	v_pk_mov_b32 v[4:5], v[0:1], v[0:1] op_sel:[0,1]
	s_branch .LBB105_6
.LBB105_5:                              ;   in Loop: Header=BB105_6 Depth=3
	s_or_b64 exec, exec, s[30:31]
	s_add_i32 s36, s36, 2
	v_cmp_eq_u32_e64 s[28:29], 8, s36
	v_add_u32_e32 v5, 0x200, v5
	s_or_b64 s[26:27], s[28:29], s[26:27]
	v_add_u32_e32 v4, 0x200, v4
	s_andn2_b64 exec, exec, s[26:27]
	s_cbranch_execz .LBB105_10
.LBB105_6:                              ;   Parent Loop BB105_2 Depth=1
                                        ;     Parent Loop BB105_4 Depth=2
                                        ; =>    This Inner Loop Header: Depth=3
	s_or_b32 s28, s36, 1
	v_cmp_le_u32_e64 s[28:29], s28, 7
	v_cmp_le_u32_e64 s[38:39], s36, 7
	s_and_saveexec_b64 s[30:31], s[38:39]
	s_cbranch_execz .LBB105_8
; %bb.7:                                ;   in Loop: Header=BB105_6 Depth=3
	v_lshlrev_b32_e32 v11, 2, v4
	ds_write_b32 v11, v6
.LBB105_8:                              ;   in Loop: Header=BB105_6 Depth=3
	s_or_b64 exec, exec, s[30:31]
	s_and_saveexec_b64 s[30:31], s[28:29]
	s_cbranch_execz .LBB105_5
; %bb.9:                                ;   in Loop: Header=BB105_6 Depth=3
	v_lshlrev_b32_e32 v11, 2, v5
	ds_write_b32 v11, v6
	s_branch .LBB105_5
.LBB105_10:                             ;   in Loop: Header=BB105_4 Depth=2
	s_or_b64 exec, exec, s[26:27]
	s_sub_i32 s26, 60, s35
	v_lshlrev_b64 v[4:5], s26, v[2:3]
	v_lshrrev_b32_e32 v4, 20, v5
	v_lshrrev_b32_e32 v5, 30, v5
	v_and_or_b32 v4, v4, s33, v0
	v_and_b32_e32 v5, 2, v5
	v_lshl_or_b32 v5, v4, 2, v5
	ds_read_u16 v4, v5
	s_waitcnt lgkmcnt(0)
	v_add_u16_e32 v11, 1, v4
	ds_write_b16 v5, v11
	s_waitcnt lgkmcnt(0)
	s_barrier
	ds_read2_b32 v[12:13], v7 offset1:1
	ds_read2_b32 v[14:15], v7 offset0:2 offset1:3
	ds_read2_b32 v[16:17], v7 offset0:4 offset1:5
	;; [unrolled: 1-line block ×3, first 2 shown]
	s_waitcnt lgkmcnt(3)
	v_add_u32_e32 v11, v13, v12
	s_waitcnt lgkmcnt(2)
	v_add3_u32 v11, v11, v14, v15
	s_waitcnt lgkmcnt(1)
	v_add3_u32 v11, v11, v16, v17
	s_waitcnt lgkmcnt(0)
	v_add3_u32 v11, v11, v18, v19
	s_nop 1
	v_mov_b32_dpp v12, v11 row_shr:1 row_mask:0xf bank_mask:0xf
	v_cndmask_b32_e64 v12, v12, 0, s[8:9]
	v_add_u32_e32 v11, v12, v11
	s_nop 1
	v_mov_b32_dpp v12, v11 row_shr:2 row_mask:0xf bank_mask:0xf
	v_cndmask_b32_e64 v12, 0, v12, s[10:11]
	v_add_u32_e32 v11, v11, v12
	;; [unrolled: 4-line block ×4, first 2 shown]
	s_nop 1
	v_mov_b32_dpp v12, v11 row_bcast:15 row_mask:0xf bank_mask:0xf
	v_cndmask_b32_e64 v12, v12, 0, s[16:17]
	v_add_u32_e32 v11, v11, v12
	s_nop 1
	v_mov_b32_dpp v12, v11 row_bcast:31 row_mask:0xf bank_mask:0xf
	v_cndmask_b32_e64 v12, 0, v12, s[2:3]
	v_add_u32_e32 v11, v11, v12
	s_and_saveexec_b64 s[26:27], s[4:5]
	s_cbranch_execz .LBB105_12
; %bb.11:                               ;   in Loop: Header=BB105_4 Depth=2
	ds_write_b32 v9, v11 offset:8192
.LBB105_12:                             ;   in Loop: Header=BB105_4 Depth=2
	s_or_b64 exec, exec, s[26:27]
	s_waitcnt lgkmcnt(0)
	s_barrier
	s_and_saveexec_b64 s[26:27], vcc
	s_cbranch_execz .LBB105_14
; %bb.13:                               ;   in Loop: Header=BB105_4 Depth=2
	ds_read_b32 v12, v8 offset:8192
	s_waitcnt lgkmcnt(0)
	s_nop 0
	v_mov_b32_dpp v13, v12 row_shr:1 row_mask:0xf bank_mask:0xf
	v_cndmask_b32_e64 v13, v13, 0, s[18:19]
	v_add_u32_e32 v12, v13, v12
	s_nop 1
	v_mov_b32_dpp v13, v12 row_shr:2 row_mask:0xf bank_mask:0xf
	v_cndmask_b32_e64 v13, 0, v13, s[20:21]
	v_add_u32_e32 v12, v12, v13
	ds_write_b32 v8, v12 offset:8192
.LBB105_14:                             ;   in Loop: Header=BB105_4 Depth=2
	s_or_b64 exec, exec, s[26:27]
	v_mov_b32_e32 v12, 0
	s_waitcnt lgkmcnt(0)
	s_barrier
	s_and_saveexec_b64 s[26:27], s[0:1]
	s_cbranch_execz .LBB105_3
; %bb.15:                               ;   in Loop: Header=BB105_4 Depth=2
	ds_read_b32 v12, v9 offset:8188
	s_branch .LBB105_3
.LBB105_16:
	ds_read_u16 v1, v5
	s_lshl_b64 s[0:1], s[24:25], 2
	s_add_u32 s0, s22, s0
	s_addc_u32 s1, s23, s1
	v_lshlrev_b32_e32 v0, 2, v0
	s_waitcnt lgkmcnt(0)
	v_add_u32_sdwa v1, v1, v4 dst_sel:DWORD dst_unused:UNUSED_PAD src0_sel:DWORD src1_sel:WORD_0
	global_store_dword v0, v1, s[0:1]
	s_endpgm
	.section	.rodata,"a",@progbits
	.p2align	6, 0x0
	.amdhsa_kernel _Z11rank_kernelIxLj4ELb0EL18RadixRankAlgorithm0ELj256ELj1ELj10EEvPKT_Pi
		.amdhsa_group_segment_fixed_size 8208
		.amdhsa_private_segment_fixed_size 0
		.amdhsa_kernarg_size 16
		.amdhsa_user_sgpr_count 6
		.amdhsa_user_sgpr_private_segment_buffer 1
		.amdhsa_user_sgpr_dispatch_ptr 0
		.amdhsa_user_sgpr_queue_ptr 0
		.amdhsa_user_sgpr_kernarg_segment_ptr 1
		.amdhsa_user_sgpr_dispatch_id 0
		.amdhsa_user_sgpr_flat_scratch_init 0
		.amdhsa_user_sgpr_kernarg_preload_length 0
		.amdhsa_user_sgpr_kernarg_preload_offset 0
		.amdhsa_user_sgpr_private_segment_size 0
		.amdhsa_uses_dynamic_stack 0
		.amdhsa_system_sgpr_private_segment_wavefront_offset 0
		.amdhsa_system_sgpr_workgroup_id_x 1
		.amdhsa_system_sgpr_workgroup_id_y 0
		.amdhsa_system_sgpr_workgroup_id_z 0
		.amdhsa_system_sgpr_workgroup_info 0
		.amdhsa_system_vgpr_workitem_id 0
		.amdhsa_next_free_vgpr 20
		.amdhsa_next_free_sgpr 40
		.amdhsa_accum_offset 20
		.amdhsa_reserve_vcc 1
		.amdhsa_reserve_flat_scratch 0
		.amdhsa_float_round_mode_32 0
		.amdhsa_float_round_mode_16_64 0
		.amdhsa_float_denorm_mode_32 3
		.amdhsa_float_denorm_mode_16_64 3
		.amdhsa_dx10_clamp 1
		.amdhsa_ieee_mode 1
		.amdhsa_fp16_overflow 0
		.amdhsa_tg_split 0
		.amdhsa_exception_fp_ieee_invalid_op 0
		.amdhsa_exception_fp_denorm_src 0
		.amdhsa_exception_fp_ieee_div_zero 0
		.amdhsa_exception_fp_ieee_overflow 0
		.amdhsa_exception_fp_ieee_underflow 0
		.amdhsa_exception_fp_ieee_inexact 0
		.amdhsa_exception_int_div_zero 0
	.end_amdhsa_kernel
	.section	.text._Z11rank_kernelIxLj4ELb0EL18RadixRankAlgorithm0ELj256ELj1ELj10EEvPKT_Pi,"axG",@progbits,_Z11rank_kernelIxLj4ELb0EL18RadixRankAlgorithm0ELj256ELj1ELj10EEvPKT_Pi,comdat
.Lfunc_end105:
	.size	_Z11rank_kernelIxLj4ELb0EL18RadixRankAlgorithm0ELj256ELj1ELj10EEvPKT_Pi, .Lfunc_end105-_Z11rank_kernelIxLj4ELb0EL18RadixRankAlgorithm0ELj256ELj1ELj10EEvPKT_Pi
                                        ; -- End function
	.section	.AMDGPU.csdata,"",@progbits
; Kernel info:
; codeLenInByte = 1068
; NumSgprs: 44
; NumVgprs: 20
; NumAgprs: 0
; TotalNumVgprs: 20
; ScratchSize: 0
; MemoryBound: 0
; FloatMode: 240
; IeeeMode: 1
; LDSByteSize: 8208 bytes/workgroup (compile time only)
; SGPRBlocks: 5
; VGPRBlocks: 2
; NumSGPRsForWavesPerEU: 44
; NumVGPRsForWavesPerEU: 20
; AccumOffset: 20
; Occupancy: 7
; WaveLimiterHint : 0
; COMPUTE_PGM_RSRC2:SCRATCH_EN: 0
; COMPUTE_PGM_RSRC2:USER_SGPR: 6
; COMPUTE_PGM_RSRC2:TRAP_HANDLER: 0
; COMPUTE_PGM_RSRC2:TGID_X_EN: 1
; COMPUTE_PGM_RSRC2:TGID_Y_EN: 0
; COMPUTE_PGM_RSRC2:TGID_Z_EN: 0
; COMPUTE_PGM_RSRC2:TIDIG_COMP_CNT: 0
; COMPUTE_PGM_RSRC3_GFX90A:ACCUM_OFFSET: 4
; COMPUTE_PGM_RSRC3_GFX90A:TG_SPLIT: 0
	.section	.text._Z11rank_kernelIxLj4ELb0EL18RadixRankAlgorithm1ELj256ELj1ELj10EEvPKT_Pi,"axG",@progbits,_Z11rank_kernelIxLj4ELb0EL18RadixRankAlgorithm1ELj256ELj1ELj10EEvPKT_Pi,comdat
	.protected	_Z11rank_kernelIxLj4ELb0EL18RadixRankAlgorithm1ELj256ELj1ELj10EEvPKT_Pi ; -- Begin function _Z11rank_kernelIxLj4ELb0EL18RadixRankAlgorithm1ELj256ELj1ELj10EEvPKT_Pi
	.globl	_Z11rank_kernelIxLj4ELb0EL18RadixRankAlgorithm1ELj256ELj1ELj10EEvPKT_Pi
	.p2align	8
	.type	_Z11rank_kernelIxLj4ELb0EL18RadixRankAlgorithm1ELj256ELj1ELj10EEvPKT_Pi,@function
_Z11rank_kernelIxLj4ELb0EL18RadixRankAlgorithm1ELj256ELj1ELj10EEvPKT_Pi: ; @_Z11rank_kernelIxLj4ELb0EL18RadixRankAlgorithm1ELj256ELj1ELj10EEvPKT_Pi
; %bb.0:
	s_load_dwordx4 s[20:23], s[4:5], 0x0
	s_lshl_b32 s24, s6, 8
	s_mov_b32 s25, 0
	s_lshl_b64 s[0:1], s[24:25], 3
	v_lshlrev_b32_e32 v1, 3, v0
	s_waitcnt lgkmcnt(0)
	s_add_u32 s0, s20, s0
	s_addc_u32 s1, s21, s1
	global_load_dwordx2 v[2:3], v1, s[0:1]
	v_mbcnt_lo_u32_b32 v1, -1, 0
	v_mbcnt_hi_u32_b32 v4, -1, v1
	v_or_b32_e32 v5, 63, v0
	v_cmp_eq_u32_e64 s[4:5], v5, v0
	v_add_u32_e32 v5, -1, v4
	v_and_b32_e32 v9, 64, v4
	v_lshrrev_b32_e32 v6, 4, v0
	v_cmp_lt_i32_e64 s[18:19], v5, v9
	v_and_b32_e32 v7, 15, v4
	v_and_b32_e32 v8, 16, v4
	v_cmp_lt_u32_e64 s[2:3], 31, v4
	v_cmp_eq_u32_e64 s[6:7], 0, v4
	v_and_b32_e32 v15, 12, v6
	v_and_b32_e32 v6, 3, v4
	v_cndmask_b32_e64 v4, v5, v4, s[18:19]
	v_mov_b32_e32 v12, 0
	s_movk_i32 s33, 0x700
	v_lshlrev_b32_e32 v13, 5, v0
	v_cmp_gt_u32_e32 vcc, 4, v0
	v_cmp_lt_u32_e64 s[0:1], 63, v0
	v_lshlrev_b32_e32 v14, 2, v0
	v_or_b32_e32 v1, 0x100, v0
	v_cmp_eq_u32_e64 s[8:9], 0, v7
	v_cmp_lt_u32_e64 s[10:11], 1, v7
	v_cmp_lt_u32_e64 s[12:13], 3, v7
	;; [unrolled: 1-line block ×3, first 2 shown]
	v_cmp_eq_u32_e64 s[16:17], 0, v8
	v_cmp_eq_u32_e64 s[18:19], 0, v6
	v_cmp_lt_u32_e64 s[20:21], 1, v6
	v_lshlrev_b32_e32 v16, 2, v4
	s_mov_b32 s34, s25
	s_waitcnt vmcnt(0)
	v_xor_b32_e32 v3, 0x80000000, v3
	s_branch .LBB106_2
.LBB106_1:                              ;   in Loop: Header=BB106_2 Depth=1
	s_add_i32 s34, s34, 1
	s_cmp_eq_u32 s34, 10
	s_cbranch_scc1 .LBB106_16
.LBB106_2:                              ; =>This Loop Header: Depth=1
                                        ;     Child Loop BB106_4 Depth 2
                                        ;       Child Loop BB106_6 Depth 3
	s_mov_b32 s35, 0
	s_branch .LBB106_4
.LBB106_3:                              ;   in Loop: Header=BB106_4 Depth=2
	s_or_b64 exec, exec, s[26:27]
	s_waitcnt lgkmcnt(0)
	v_add_u32_e32 v5, v19, v5
	ds_bpermute_b32 v5, v16, v5
	ds_read_b32 v20, v12 offset:8204
	s_add_i32 s26, s35, 4
	s_cmp_lt_u32 s35, 60
	s_mov_b32 s35, s26
	s_waitcnt lgkmcnt(1)
	v_cndmask_b32_e64 v5, v5, v19, s[6:7]
	s_waitcnt lgkmcnt(0)
	v_lshl_add_u32 v5, v20, 16, v5
	v_add_u32_e32 v10, v5, v10
	v_add_u32_e32 v11, v10, v11
	ds_write2_b32 v13, v5, v10 offset1:1
	v_add_u32_e32 v5, v11, v8
	v_add_u32_e32 v8, v5, v9
	ds_write2_b32 v13, v11, v5 offset0:2 offset1:3
	v_add_u32_e32 v5, v8, v6
	v_add_u32_e32 v6, v5, v7
	;; [unrolled: 1-line block ×3, first 2 shown]
	ds_write2_b32 v13, v8, v5 offset0:4 offset1:5
	ds_write2_b32 v13, v6, v4 offset0:6 offset1:7
	s_waitcnt lgkmcnt(0)
	s_barrier
	s_cbranch_scc0 .LBB106_1
.LBB106_4:                              ;   Parent Loop BB106_2 Depth=1
                                        ; =>  This Loop Header: Depth=2
                                        ;       Child Loop BB106_6 Depth 3
	s_mov_b32 s36, 0
	s_mov_b64 s[26:27], 0
	v_pk_mov_b32 v[4:5], v[0:1], v[0:1] op_sel:[0,1]
	s_branch .LBB106_6
.LBB106_5:                              ;   in Loop: Header=BB106_6 Depth=3
	s_or_b64 exec, exec, s[30:31]
	s_add_i32 s36, s36, 2
	v_cmp_eq_u32_e64 s[28:29], 8, s36
	v_add_u32_e32 v5, 0x200, v5
	s_or_b64 s[26:27], s[28:29], s[26:27]
	v_add_u32_e32 v4, 0x200, v4
	s_andn2_b64 exec, exec, s[26:27]
	s_cbranch_execz .LBB106_10
.LBB106_6:                              ;   Parent Loop BB106_2 Depth=1
                                        ;     Parent Loop BB106_4 Depth=2
                                        ; =>    This Inner Loop Header: Depth=3
	s_or_b32 s28, s36, 1
	v_cmp_le_u32_e64 s[28:29], s28, 7
	v_cmp_le_u32_e64 s[38:39], s36, 7
	s_and_saveexec_b64 s[30:31], s[38:39]
	s_cbranch_execz .LBB106_8
; %bb.7:                                ;   in Loop: Header=BB106_6 Depth=3
	v_lshlrev_b32_e32 v6, 2, v4
	ds_write_b32 v6, v12
.LBB106_8:                              ;   in Loop: Header=BB106_6 Depth=3
	s_or_b64 exec, exec, s[30:31]
	s_and_saveexec_b64 s[30:31], s[28:29]
	s_cbranch_execz .LBB106_5
; %bb.9:                                ;   in Loop: Header=BB106_6 Depth=3
	v_lshlrev_b32_e32 v6, 2, v5
	ds_write_b32 v6, v12
	s_branch .LBB106_5
.LBB106_10:                             ;   in Loop: Header=BB106_4 Depth=2
	s_or_b64 exec, exec, s[26:27]
	s_sub_i32 s26, 60, s35
	v_lshlrev_b64 v[4:5], s26, v[2:3]
	v_lshrrev_b32_e32 v4, 20, v5
	v_lshrrev_b32_e32 v5, 30, v5
	v_and_or_b32 v4, v4, s33, v0
	v_and_b32_e32 v5, 2, v5
	v_lshl_or_b32 v18, v4, 2, v5
	ds_read_u16 v17, v18
	s_waitcnt lgkmcnt(0)
	v_add_u16_e32 v4, 1, v17
	ds_write_b16 v18, v4
	s_waitcnt lgkmcnt(0)
	s_barrier
	ds_read2_b32 v[10:11], v13 offset1:1
	ds_read2_b32 v[8:9], v13 offset0:2 offset1:3
	ds_read2_b32 v[6:7], v13 offset0:4 offset1:5
	;; [unrolled: 1-line block ×3, first 2 shown]
	s_waitcnt lgkmcnt(3)
	v_add_u32_e32 v19, v11, v10
	s_waitcnt lgkmcnt(2)
	v_add3_u32 v19, v19, v8, v9
	s_waitcnt lgkmcnt(1)
	v_add3_u32 v19, v19, v6, v7
	;; [unrolled: 2-line block ×3, first 2 shown]
	s_nop 1
	v_mov_b32_dpp v19, v5 row_shr:1 row_mask:0xf bank_mask:0xf
	v_cndmask_b32_e64 v19, v19, 0, s[8:9]
	v_add_u32_e32 v5, v19, v5
	s_nop 1
	v_mov_b32_dpp v19, v5 row_shr:2 row_mask:0xf bank_mask:0xf
	v_cndmask_b32_e64 v19, 0, v19, s[10:11]
	v_add_u32_e32 v5, v5, v19
	;; [unrolled: 4-line block ×4, first 2 shown]
	s_nop 1
	v_mov_b32_dpp v19, v5 row_bcast:15 row_mask:0xf bank_mask:0xf
	v_cndmask_b32_e64 v19, v19, 0, s[16:17]
	v_add_u32_e32 v5, v5, v19
	s_nop 1
	v_mov_b32_dpp v19, v5 row_bcast:31 row_mask:0xf bank_mask:0xf
	v_cndmask_b32_e64 v19, 0, v19, s[2:3]
	v_add_u32_e32 v5, v5, v19
	s_and_saveexec_b64 s[26:27], s[4:5]
	s_cbranch_execz .LBB106_12
; %bb.11:                               ;   in Loop: Header=BB106_4 Depth=2
	ds_write_b32 v15, v5 offset:8192
.LBB106_12:                             ;   in Loop: Header=BB106_4 Depth=2
	s_or_b64 exec, exec, s[26:27]
	s_waitcnt lgkmcnt(0)
	s_barrier
	s_and_saveexec_b64 s[26:27], vcc
	s_cbranch_execz .LBB106_14
; %bb.13:                               ;   in Loop: Header=BB106_4 Depth=2
	ds_read_b32 v19, v14 offset:8192
	s_waitcnt lgkmcnt(0)
	s_nop 0
	v_mov_b32_dpp v20, v19 row_shr:1 row_mask:0xf bank_mask:0xf
	v_cndmask_b32_e64 v20, v20, 0, s[18:19]
	v_add_u32_e32 v19, v20, v19
	s_nop 1
	v_mov_b32_dpp v20, v19 row_shr:2 row_mask:0xf bank_mask:0xf
	v_cndmask_b32_e64 v20, 0, v20, s[20:21]
	v_add_u32_e32 v19, v19, v20
	ds_write_b32 v14, v19 offset:8192
.LBB106_14:                             ;   in Loop: Header=BB106_4 Depth=2
	s_or_b64 exec, exec, s[26:27]
	v_mov_b32_e32 v19, 0
	s_waitcnt lgkmcnt(0)
	s_barrier
	s_and_saveexec_b64 s[26:27], s[0:1]
	s_cbranch_execz .LBB106_3
; %bb.15:                               ;   in Loop: Header=BB106_4 Depth=2
	ds_read_b32 v19, v15 offset:8188
	s_branch .LBB106_3
.LBB106_16:
	ds_read_u16 v1, v18
	s_lshl_b64 s[0:1], s[24:25], 2
	s_add_u32 s0, s22, s0
	s_addc_u32 s1, s23, s1
	v_lshlrev_b32_e32 v0, 2, v0
	s_waitcnt lgkmcnt(0)
	v_add_u32_sdwa v1, v1, v17 dst_sel:DWORD dst_unused:UNUSED_PAD src0_sel:DWORD src1_sel:WORD_0
	global_store_dword v0, v1, s[0:1]
	s_endpgm
	.section	.rodata,"a",@progbits
	.p2align	6, 0x0
	.amdhsa_kernel _Z11rank_kernelIxLj4ELb0EL18RadixRankAlgorithm1ELj256ELj1ELj10EEvPKT_Pi
		.amdhsa_group_segment_fixed_size 8208
		.amdhsa_private_segment_fixed_size 0
		.amdhsa_kernarg_size 16
		.amdhsa_user_sgpr_count 6
		.amdhsa_user_sgpr_private_segment_buffer 1
		.amdhsa_user_sgpr_dispatch_ptr 0
		.amdhsa_user_sgpr_queue_ptr 0
		.amdhsa_user_sgpr_kernarg_segment_ptr 1
		.amdhsa_user_sgpr_dispatch_id 0
		.amdhsa_user_sgpr_flat_scratch_init 0
		.amdhsa_user_sgpr_kernarg_preload_length 0
		.amdhsa_user_sgpr_kernarg_preload_offset 0
		.amdhsa_user_sgpr_private_segment_size 0
		.amdhsa_uses_dynamic_stack 0
		.amdhsa_system_sgpr_private_segment_wavefront_offset 0
		.amdhsa_system_sgpr_workgroup_id_x 1
		.amdhsa_system_sgpr_workgroup_id_y 0
		.amdhsa_system_sgpr_workgroup_id_z 0
		.amdhsa_system_sgpr_workgroup_info 0
		.amdhsa_system_vgpr_workitem_id 0
		.amdhsa_next_free_vgpr 21
		.amdhsa_next_free_sgpr 40
		.amdhsa_accum_offset 24
		.amdhsa_reserve_vcc 1
		.amdhsa_reserve_flat_scratch 0
		.amdhsa_float_round_mode_32 0
		.amdhsa_float_round_mode_16_64 0
		.amdhsa_float_denorm_mode_32 3
		.amdhsa_float_denorm_mode_16_64 3
		.amdhsa_dx10_clamp 1
		.amdhsa_ieee_mode 1
		.amdhsa_fp16_overflow 0
		.amdhsa_tg_split 0
		.amdhsa_exception_fp_ieee_invalid_op 0
		.amdhsa_exception_fp_denorm_src 0
		.amdhsa_exception_fp_ieee_div_zero 0
		.amdhsa_exception_fp_ieee_overflow 0
		.amdhsa_exception_fp_ieee_underflow 0
		.amdhsa_exception_fp_ieee_inexact 0
		.amdhsa_exception_int_div_zero 0
	.end_amdhsa_kernel
	.section	.text._Z11rank_kernelIxLj4ELb0EL18RadixRankAlgorithm1ELj256ELj1ELj10EEvPKT_Pi,"axG",@progbits,_Z11rank_kernelIxLj4ELb0EL18RadixRankAlgorithm1ELj256ELj1ELj10EEvPKT_Pi,comdat
.Lfunc_end106:
	.size	_Z11rank_kernelIxLj4ELb0EL18RadixRankAlgorithm1ELj256ELj1ELj10EEvPKT_Pi, .Lfunc_end106-_Z11rank_kernelIxLj4ELb0EL18RadixRankAlgorithm1ELj256ELj1ELj10EEvPKT_Pi
                                        ; -- End function
	.section	.AMDGPU.csdata,"",@progbits
; Kernel info:
; codeLenInByte = 1020
; NumSgprs: 44
; NumVgprs: 21
; NumAgprs: 0
; TotalNumVgprs: 21
; ScratchSize: 0
; MemoryBound: 0
; FloatMode: 240
; IeeeMode: 1
; LDSByteSize: 8208 bytes/workgroup (compile time only)
; SGPRBlocks: 5
; VGPRBlocks: 2
; NumSGPRsForWavesPerEU: 44
; NumVGPRsForWavesPerEU: 21
; AccumOffset: 24
; Occupancy: 7
; WaveLimiterHint : 0
; COMPUTE_PGM_RSRC2:SCRATCH_EN: 0
; COMPUTE_PGM_RSRC2:USER_SGPR: 6
; COMPUTE_PGM_RSRC2:TRAP_HANDLER: 0
; COMPUTE_PGM_RSRC2:TGID_X_EN: 1
; COMPUTE_PGM_RSRC2:TGID_Y_EN: 0
; COMPUTE_PGM_RSRC2:TGID_Z_EN: 0
; COMPUTE_PGM_RSRC2:TIDIG_COMP_CNT: 0
; COMPUTE_PGM_RSRC3_GFX90A:ACCUM_OFFSET: 5
; COMPUTE_PGM_RSRC3_GFX90A:TG_SPLIT: 0
	.section	.text._Z11rank_kernelIxLj4ELb0EL18RadixRankAlgorithm2ELj256ELj1ELj10EEvPKT_Pi,"axG",@progbits,_Z11rank_kernelIxLj4ELb0EL18RadixRankAlgorithm2ELj256ELj1ELj10EEvPKT_Pi,comdat
	.protected	_Z11rank_kernelIxLj4ELb0EL18RadixRankAlgorithm2ELj256ELj1ELj10EEvPKT_Pi ; -- Begin function _Z11rank_kernelIxLj4ELb0EL18RadixRankAlgorithm2ELj256ELj1ELj10EEvPKT_Pi
	.globl	_Z11rank_kernelIxLj4ELb0EL18RadixRankAlgorithm2ELj256ELj1ELj10EEvPKT_Pi
	.p2align	8
	.type	_Z11rank_kernelIxLj4ELb0EL18RadixRankAlgorithm2ELj256ELj1ELj10EEvPKT_Pi,@function
_Z11rank_kernelIxLj4ELb0EL18RadixRankAlgorithm2ELj256ELj1ELj10EEvPKT_Pi: ; @_Z11rank_kernelIxLj4ELb0EL18RadixRankAlgorithm2ELj256ELj1ELj10EEvPKT_Pi
; %bb.0:
	s_load_dwordx4 s[24:27], s[4:5], 0x0
	s_load_dword s22, s[4:5], 0x1c
	s_lshl_b32 s28, s6, 8
	s_mov_b32 s29, 0
	s_lshl_b64 s[0:1], s[28:29], 3
	s_waitcnt lgkmcnt(0)
	s_add_u32 s0, s24, s0
	v_and_b32_e32 v2, 0x3ff, v0
	s_addc_u32 s1, s25, s1
	v_lshlrev_b32_e32 v1, 3, v2
	global_load_dwordx2 v[4:5], v1, s[0:1]
	v_mbcnt_lo_u32_b32 v1, -1, 0
	v_mbcnt_hi_u32_b32 v1, -1, v1
	v_add_u32_e32 v11, -1, v1
	v_and_b32_e32 v12, 64, v1
	v_bfe_u32 v7, v0, 10, 10
	v_bfe_u32 v0, v0, 20, 10
	v_cmp_lt_i32_e64 s[18:19], v11, v12
	s_lshr_b32 s23, s22, 16
	v_lshlrev_b32_e32 v3, 2, v2
	v_and_b32_e32 v8, 15, v1
	v_and_b32_e32 v9, 16, v1
	v_cmp_lt_u32_e32 vcc, 31, v1
	v_cmp_eq_u32_e64 s[4:5], 0, v1
	v_lshrrev_b32_e32 v13, 4, v2
	v_and_b32_e32 v14, 3, v1
	v_cndmask_b32_e64 v1, v11, v1, s[18:19]
	s_and_b32 s22, s22, 0xffff
	v_mad_u32_u24 v0, v0, s23, v7
	v_or_b32_e32 v10, 63, v2
	v_cmp_eq_u32_e64 s[6:7], 0, v8
	v_cmp_lt_u32_e64 s[8:9], 1, v8
	v_cmp_lt_u32_e64 s[10:11], 3, v8
	;; [unrolled: 1-line block ×3, first 2 shown]
	v_cmp_eq_u32_e64 s[14:15], 0, v9
	v_and_b32_e32 v8, 12, v13
	v_lshlrev_b32_e32 v9, 2, v1
	v_mad_u64_u32 v[0:1], s[22:23], v0, s22, v[2:3]
	v_mov_b32_e32 v6, 0
	v_cmp_gt_u32_e64 s[0:1], 4, v2
	v_cmp_lt_u32_e64 s[2:3], 63, v2
	v_cmp_eq_u32_e64 s[16:17], v10, v2
	v_cmp_eq_u32_e64 s[18:19], 0, v14
	v_cmp_lt_u32_e64 s[20:21], 1, v14
	v_add_u32_e32 v10, -4, v8
	v_lshrrev_b32_e32 v11, 6, v0
	s_mov_b32 s33, s29
	s_waitcnt vmcnt(0)
	v_xor_b32_e32 v5, 0x80000000, v5
	s_branch .LBB107_2
.LBB107_1:                              ;   in Loop: Header=BB107_2 Depth=1
	s_add_i32 s33, s33, 1
	s_cmp_eq_u32 s33, 10
	s_cbranch_scc1 .LBB107_12
.LBB107_2:                              ; =>This Loop Header: Depth=1
                                        ;     Child Loop BB107_4 Depth 2
	s_mov_b64 s[30:31], 60
	s_mov_b32 s34, -4
	s_branch .LBB107_4
.LBB107_3:                              ;   in Loop: Header=BB107_4 Depth=2
	s_or_b64 exec, exec, s[22:23]
	s_waitcnt lgkmcnt(0)
	v_add_u32_e32 v0, v1, v0
	ds_bpermute_b32 v0, v9, v0
	s_add_i32 s34, s34, 4
	s_add_u32 s30, s30, -4
	s_addc_u32 s31, s31, -1
	s_cmp_lt_u32 s34, 60
	s_waitcnt lgkmcnt(0)
	v_cndmask_b32_e64 v0, v0, v1, s[4:5]
	ds_write_b32 v3, v0 offset:16
	s_waitcnt lgkmcnt(0)
	s_barrier
	s_cbranch_scc0 .LBB107_1
.LBB107_4:                              ;   Parent Loop BB107_2 Depth=1
                                        ; =>  This Inner Loop Header: Depth=2
	v_lshlrev_b64 v[0:1], s30, v[4:5]
	v_lshrrev_b32_e32 v13, 28, v1
	v_mad_u32_u24 v7, v13, 5, v11
	v_lshl_add_u32 v12, v7, 2, 16
	v_bfe_u32 v7, v1, 28, 1
	v_add_co_u32_e64 v14, s[22:23], -1, v7
	v_addc_co_u32_e64 v15, s[22:23], 0, -1, s[22:23]
	v_cmp_ne_u32_e64 s[22:23], 0, v7
	v_xor_b32_e32 v7, s23, v15
	v_and_b32_e32 v15, exec_hi, v7
	v_lshlrev_b32_e32 v7, 30, v13
	v_xor_b32_e32 v14, s22, v14
	v_cmp_gt_i64_e64 s[22:23], 0, v[6:7]
	v_not_b32_e32 v7, v7
	v_ashrrev_i32_e32 v7, 31, v7
	v_and_b32_e32 v14, exec_lo, v14
	v_xor_b32_e32 v16, s23, v7
	v_xor_b32_e32 v7, s22, v7
	v_and_b32_e32 v14, v14, v7
	v_lshlrev_b32_e32 v7, 29, v13
	v_cmp_gt_i64_e64 s[22:23], 0, v[6:7]
	v_not_b32_e32 v7, v7
	v_ashrrev_i32_e32 v7, 31, v7
	v_xor_b32_e32 v13, s23, v7
	v_xor_b32_e32 v7, s22, v7
	v_cmp_gt_i64_e64 s[22:23], 0, v[0:1]
	v_not_b32_e32 v0, v1
	v_ashrrev_i32_e32 v0, 31, v0
	v_and_b32_e32 v15, v15, v16
	v_and_b32_e32 v7, v14, v7
	v_xor_b32_e32 v1, s23, v0
	v_xor_b32_e32 v0, s22, v0
	v_and_b32_e32 v13, v15, v13
	v_and_b32_e32 v0, v7, v0
	;; [unrolled: 1-line block ×3, first 2 shown]
	v_mbcnt_lo_u32_b32 v7, v0, 0
	v_mbcnt_hi_u32_b32 v7, v1, v7
	v_cmp_eq_u32_e64 s[22:23], 0, v7
	v_cmp_ne_u64_e64 s[24:25], 0, v[0:1]
	s_and_b64 s[24:25], s[24:25], s[22:23]
	ds_write_b32 v3, v6 offset:16
	s_waitcnt lgkmcnt(0)
	s_barrier
	s_waitcnt lgkmcnt(0)
	; wave barrier
	s_and_saveexec_b64 s[22:23], s[24:25]
	s_cbranch_execz .LBB107_6
; %bb.5:                                ;   in Loop: Header=BB107_4 Depth=2
	v_bcnt_u32_b32 v0, v0, 0
	v_bcnt_u32_b32 v0, v1, v0
	ds_write_b32 v12, v0
.LBB107_6:                              ;   in Loop: Header=BB107_4 Depth=2
	s_or_b64 exec, exec, s[22:23]
	; wave barrier
	s_waitcnt lgkmcnt(0)
	s_barrier
	ds_read_b32 v0, v3 offset:16
	s_waitcnt lgkmcnt(0)
	s_nop 0
	v_mov_b32_dpp v1, v0 row_shr:1 row_mask:0xf bank_mask:0xf
	v_cndmask_b32_e64 v1, v1, 0, s[6:7]
	v_add_u32_e32 v0, v1, v0
	s_nop 1
	v_mov_b32_dpp v1, v0 row_shr:2 row_mask:0xf bank_mask:0xf
	v_cndmask_b32_e64 v1, 0, v1, s[8:9]
	v_add_u32_e32 v0, v0, v1
	s_nop 1
	v_mov_b32_dpp v1, v0 row_shr:4 row_mask:0xf bank_mask:0xf
	v_cndmask_b32_e64 v1, 0, v1, s[10:11]
	v_add_u32_e32 v0, v0, v1
	s_nop 1
	v_mov_b32_dpp v1, v0 row_shr:8 row_mask:0xf bank_mask:0xf
	v_cndmask_b32_e64 v1, 0, v1, s[12:13]
	v_add_u32_e32 v0, v0, v1
	s_nop 1
	v_mov_b32_dpp v1, v0 row_bcast:15 row_mask:0xf bank_mask:0xf
	v_cndmask_b32_e64 v1, v1, 0, s[14:15]
	v_add_u32_e32 v0, v0, v1
	s_nop 1
	v_mov_b32_dpp v1, v0 row_bcast:31 row_mask:0xf bank_mask:0xf
	v_cndmask_b32_e32 v1, 0, v1, vcc
	v_add_u32_e32 v0, v0, v1
	s_and_saveexec_b64 s[22:23], s[16:17]
	s_cbranch_execz .LBB107_8
; %bb.7:                                ;   in Loop: Header=BB107_4 Depth=2
	ds_write_b32 v8, v0
.LBB107_8:                              ;   in Loop: Header=BB107_4 Depth=2
	s_or_b64 exec, exec, s[22:23]
	s_waitcnt lgkmcnt(0)
	s_barrier
	s_and_saveexec_b64 s[22:23], s[0:1]
	s_cbranch_execz .LBB107_10
; %bb.9:                                ;   in Loop: Header=BB107_4 Depth=2
	ds_read_b32 v1, v3
	s_waitcnt lgkmcnt(0)
	s_nop 0
	v_mov_b32_dpp v13, v1 row_shr:1 row_mask:0xf bank_mask:0xf
	v_cndmask_b32_e64 v13, v13, 0, s[18:19]
	v_add_u32_e32 v1, v13, v1
	s_nop 1
	v_mov_b32_dpp v13, v1 row_shr:2 row_mask:0xf bank_mask:0xf
	v_cndmask_b32_e64 v13, 0, v13, s[20:21]
	v_add_u32_e32 v1, v1, v13
	ds_write_b32 v3, v1
.LBB107_10:                             ;   in Loop: Header=BB107_4 Depth=2
	s_or_b64 exec, exec, s[22:23]
	v_mov_b32_e32 v1, 0
	s_waitcnt lgkmcnt(0)
	s_barrier
	s_and_saveexec_b64 s[22:23], s[2:3]
	s_cbranch_execz .LBB107_3
; %bb.11:                               ;   in Loop: Header=BB107_4 Depth=2
	ds_read_b32 v1, v10
	s_branch .LBB107_3
.LBB107_12:
	ds_read_b32 v0, v12
	s_lshl_b64 s[0:1], s[28:29], 2
	s_add_u32 s0, s26, s0
	s_addc_u32 s1, s27, s1
	v_lshlrev_b32_e32 v1, 2, v2
	s_waitcnt lgkmcnt(0)
	v_add_u32_e32 v0, v0, v7
	global_store_dword v1, v0, s[0:1]
	s_endpgm
	.section	.rodata,"a",@progbits
	.p2align	6, 0x0
	.amdhsa_kernel _Z11rank_kernelIxLj4ELb0EL18RadixRankAlgorithm2ELj256ELj1ELj10EEvPKT_Pi
		.amdhsa_group_segment_fixed_size 1040
		.amdhsa_private_segment_fixed_size 0
		.amdhsa_kernarg_size 272
		.amdhsa_user_sgpr_count 6
		.amdhsa_user_sgpr_private_segment_buffer 1
		.amdhsa_user_sgpr_dispatch_ptr 0
		.amdhsa_user_sgpr_queue_ptr 0
		.amdhsa_user_sgpr_kernarg_segment_ptr 1
		.amdhsa_user_sgpr_dispatch_id 0
		.amdhsa_user_sgpr_flat_scratch_init 0
		.amdhsa_user_sgpr_kernarg_preload_length 0
		.amdhsa_user_sgpr_kernarg_preload_offset 0
		.amdhsa_user_sgpr_private_segment_size 0
		.amdhsa_uses_dynamic_stack 0
		.amdhsa_system_sgpr_private_segment_wavefront_offset 0
		.amdhsa_system_sgpr_workgroup_id_x 1
		.amdhsa_system_sgpr_workgroup_id_y 0
		.amdhsa_system_sgpr_workgroup_id_z 0
		.amdhsa_system_sgpr_workgroup_info 0
		.amdhsa_system_vgpr_workitem_id 2
		.amdhsa_next_free_vgpr 17
		.amdhsa_next_free_sgpr 35
		.amdhsa_accum_offset 20
		.amdhsa_reserve_vcc 1
		.amdhsa_reserve_flat_scratch 0
		.amdhsa_float_round_mode_32 0
		.amdhsa_float_round_mode_16_64 0
		.amdhsa_float_denorm_mode_32 3
		.amdhsa_float_denorm_mode_16_64 3
		.amdhsa_dx10_clamp 1
		.amdhsa_ieee_mode 1
		.amdhsa_fp16_overflow 0
		.amdhsa_tg_split 0
		.amdhsa_exception_fp_ieee_invalid_op 0
		.amdhsa_exception_fp_denorm_src 0
		.amdhsa_exception_fp_ieee_div_zero 0
		.amdhsa_exception_fp_ieee_overflow 0
		.amdhsa_exception_fp_ieee_underflow 0
		.amdhsa_exception_fp_ieee_inexact 0
		.amdhsa_exception_int_div_zero 0
	.end_amdhsa_kernel
	.section	.text._Z11rank_kernelIxLj4ELb0EL18RadixRankAlgorithm2ELj256ELj1ELj10EEvPKT_Pi,"axG",@progbits,_Z11rank_kernelIxLj4ELb0EL18RadixRankAlgorithm2ELj256ELj1ELj10EEvPKT_Pi,comdat
.Lfunc_end107:
	.size	_Z11rank_kernelIxLj4ELb0EL18RadixRankAlgorithm2ELj256ELj1ELj10EEvPKT_Pi, .Lfunc_end107-_Z11rank_kernelIxLj4ELb0EL18RadixRankAlgorithm2ELj256ELj1ELj10EEvPKT_Pi
                                        ; -- End function
	.section	.AMDGPU.csdata,"",@progbits
; Kernel info:
; codeLenInByte = 1008
; NumSgprs: 39
; NumVgprs: 17
; NumAgprs: 0
; TotalNumVgprs: 17
; ScratchSize: 0
; MemoryBound: 0
; FloatMode: 240
; IeeeMode: 1
; LDSByteSize: 1040 bytes/workgroup (compile time only)
; SGPRBlocks: 4
; VGPRBlocks: 2
; NumSGPRsForWavesPerEU: 39
; NumVGPRsForWavesPerEU: 17
; AccumOffset: 20
; Occupancy: 8
; WaveLimiterHint : 0
; COMPUTE_PGM_RSRC2:SCRATCH_EN: 0
; COMPUTE_PGM_RSRC2:USER_SGPR: 6
; COMPUTE_PGM_RSRC2:TRAP_HANDLER: 0
; COMPUTE_PGM_RSRC2:TGID_X_EN: 1
; COMPUTE_PGM_RSRC2:TGID_Y_EN: 0
; COMPUTE_PGM_RSRC2:TGID_Z_EN: 0
; COMPUTE_PGM_RSRC2:TIDIG_COMP_CNT: 2
; COMPUTE_PGM_RSRC3_GFX90A:ACCUM_OFFSET: 4
; COMPUTE_PGM_RSRC3_GFX90A:TG_SPLIT: 0
	.section	.text._Z11rank_kernelIxLj4ELb0EL18RadixRankAlgorithm0ELj256ELj4ELj10EEvPKT_Pi,"axG",@progbits,_Z11rank_kernelIxLj4ELb0EL18RadixRankAlgorithm0ELj256ELj4ELj10EEvPKT_Pi,comdat
	.protected	_Z11rank_kernelIxLj4ELb0EL18RadixRankAlgorithm0ELj256ELj4ELj10EEvPKT_Pi ; -- Begin function _Z11rank_kernelIxLj4ELb0EL18RadixRankAlgorithm0ELj256ELj4ELj10EEvPKT_Pi
	.globl	_Z11rank_kernelIxLj4ELb0EL18RadixRankAlgorithm0ELj256ELj4ELj10EEvPKT_Pi
	.p2align	8
	.type	_Z11rank_kernelIxLj4ELb0EL18RadixRankAlgorithm0ELj256ELj4ELj10EEvPKT_Pi,@function
_Z11rank_kernelIxLj4ELb0EL18RadixRankAlgorithm0ELj256ELj4ELj10EEvPKT_Pi: ; @_Z11rank_kernelIxLj4ELb0EL18RadixRankAlgorithm0ELj256ELj4ELj10EEvPKT_Pi
; %bb.0:
	s_load_dwordx4 s[20:23], s[4:5], 0x0
	s_lshl_b32 s24, s6, 10
	s_mov_b32 s25, 0
	s_lshl_b64 s[0:1], s[24:25], 3
	v_lshlrev_b32_e32 v11, 5, v0
	s_waitcnt lgkmcnt(0)
	s_add_u32 s0, s20, s0
	s_addc_u32 s1, s21, s1
	global_load_dwordx4 v[2:5], v11, s[0:1]
	global_load_dwordx4 v[6:9], v11, s[0:1] offset:16
	v_mbcnt_lo_u32_b32 v1, -1, 0
	v_mbcnt_hi_u32_b32 v12, -1, v1
	v_or_b32_e32 v13, 63, v0
	v_cmp_eq_u32_e64 s[4:5], v13, v0
	v_add_u32_e32 v13, -1, v12
	v_and_b32_e32 v18, 64, v12
	v_cmp_lt_i32_e64 s[18:19], v13, v18
	v_lshrrev_b32_e32 v15, 4, v0
	v_and_b32_e32 v16, 15, v12
	v_and_b32_e32 v17, 16, v12
	v_cmp_lt_u32_e64 s[2:3], 31, v12
	v_cmp_eq_u32_e64 s[6:7], 0, v12
	v_and_b32_e32 v19, 3, v12
	v_cndmask_b32_e64 v12, v13, v12, s[18:19]
	v_mov_b32_e32 v14, 0
	s_movk_i32 s33, 0x700
	v_lshlrev_b32_e32 v10, 2, v0
	v_cmp_gt_u32_e32 vcc, 4, v0
	v_cmp_lt_u32_e64 s[0:1], 63, v0
	v_or_b32_e32 v1, 0x100, v0
	v_and_b32_e32 v15, 12, v15
	v_cmp_eq_u32_e64 s[8:9], 0, v16
	v_cmp_lt_u32_e64 s[10:11], 1, v16
	v_cmp_lt_u32_e64 s[12:13], 3, v16
	;; [unrolled: 1-line block ×3, first 2 shown]
	v_cmp_eq_u32_e64 s[16:17], 0, v17
	v_cmp_eq_u32_e64 s[18:19], 0, v19
	v_cmp_lt_u32_e64 s[20:21], 1, v19
	v_lshlrev_b32_e32 v16, 2, v12
	s_mov_b32 s34, s25
	s_waitcnt vmcnt(1)
	v_xor_b32_e32 v3, 0x80000000, v3
	v_xor_b32_e32 v5, 0x80000000, v5
	s_waitcnt vmcnt(0)
	v_xor_b32_e32 v7, 0x80000000, v7
	v_xor_b32_e32 v9, 0x80000000, v9
	s_branch .LBB108_2
.LBB108_1:                              ;   in Loop: Header=BB108_2 Depth=1
	s_add_i32 s34, s34, 1
	s_cmp_eq_u32 s34, 10
	s_cbranch_scc1 .LBB108_16
.LBB108_2:                              ; =>This Loop Header: Depth=1
                                        ;     Child Loop BB108_4 Depth 2
                                        ;       Child Loop BB108_6 Depth 3
	s_mov_b32 s35, 0
	s_branch .LBB108_4
.LBB108_3:                              ;   in Loop: Header=BB108_4 Depth=2
	s_or_b64 exec, exec, s[26:27]
	s_waitcnt lgkmcnt(0)
	v_add_u32_e32 v23, v24, v23
	ds_bpermute_b32 v23, v16, v23
	ds_read_b32 v26, v14 offset:8204
	s_add_i32 s26, s35, 4
	s_cmp_lt_u32 s35, 60
	s_mov_b32 s35, s26
	s_waitcnt lgkmcnt(1)
	v_cndmask_b32_e64 v23, v23, v24, s[6:7]
	ds_read2_b32 v[24:25], v11 offset1:1
	s_waitcnt lgkmcnt(1)
	v_lshl_add_u32 v23, v26, 16, v23
	ds_read2_b32 v[26:27], v11 offset0:2 offset1:3
	ds_read2_b32 v[28:29], v11 offset0:4 offset1:5
	ds_read_b32 v30, v11 offset:24
	s_waitcnt lgkmcnt(3)
	v_add_u32_e32 v24, v23, v24
	ds_write2_b32 v11, v23, v24 offset1:1
	v_add_u32_e32 v23, v25, v24
	s_waitcnt lgkmcnt(3)
	v_add_u32_e32 v24, v26, v23
	ds_write2_b32 v11, v23, v24 offset0:2 offset1:3
	v_add_u32_e32 v23, v27, v24
	s_waitcnt lgkmcnt(3)
	v_add_u32_e32 v24, v28, v23
	ds_write2_b32 v11, v23, v24 offset0:4 offset1:5
	;; [unrolled: 4-line block ×3, first 2 shown]
	s_waitcnt lgkmcnt(0)
	s_barrier
	s_cbranch_scc0 .LBB108_1
.LBB108_4:                              ;   Parent Loop BB108_2 Depth=1
                                        ; =>  This Loop Header: Depth=2
                                        ;       Child Loop BB108_6 Depth 3
	s_mov_b32 s36, 0
	s_mov_b64 s[26:27], 0
	v_pk_mov_b32 v[12:13], v[0:1], v[0:1] op_sel:[0,1]
	s_branch .LBB108_6
.LBB108_5:                              ;   in Loop: Header=BB108_6 Depth=3
	s_or_b64 exec, exec, s[30:31]
	s_add_i32 s36, s36, 2
	v_cmp_eq_u32_e64 s[28:29], 8, s36
	v_add_u32_e32 v13, 0x200, v13
	s_or_b64 s[26:27], s[28:29], s[26:27]
	v_add_u32_e32 v12, 0x200, v12
	s_andn2_b64 exec, exec, s[26:27]
	s_cbranch_execz .LBB108_10
.LBB108_6:                              ;   Parent Loop BB108_2 Depth=1
                                        ;     Parent Loop BB108_4 Depth=2
                                        ; =>    This Inner Loop Header: Depth=3
	s_or_b32 s28, s36, 1
	v_cmp_le_u32_e64 s[28:29], s28, 7
	v_cmp_le_u32_e64 s[38:39], s36, 7
	s_and_saveexec_b64 s[30:31], s[38:39]
	s_cbranch_execz .LBB108_8
; %bb.7:                                ;   in Loop: Header=BB108_6 Depth=3
	v_lshlrev_b32_e32 v17, 2, v12
	ds_write_b32 v17, v14
.LBB108_8:                              ;   in Loop: Header=BB108_6 Depth=3
	s_or_b64 exec, exec, s[30:31]
	s_and_saveexec_b64 s[30:31], s[28:29]
	s_cbranch_execz .LBB108_5
; %bb.9:                                ;   in Loop: Header=BB108_6 Depth=3
	v_lshlrev_b32_e32 v17, 2, v13
	ds_write_b32 v17, v14
	s_branch .LBB108_5
.LBB108_10:                             ;   in Loop: Header=BB108_4 Depth=2
	s_or_b64 exec, exec, s[26:27]
	s_sub_i32 s26, 60, s35
	v_lshlrev_b64 v[12:13], s26, v[2:3]
	v_lshrrev_b32_e32 v12, 20, v13
	v_lshrrev_b32_e32 v13, 30, v13
	v_and_or_b32 v12, v12, s33, v0
	v_and_b32_e32 v13, 2, v13
	v_lshl_or_b32 v13, v12, 2, v13
	ds_read_u16 v12, v13
	v_lshlrev_b64 v[18:19], s26, v[4:5]
	v_lshrrev_b32_e32 v17, 20, v19
	v_and_or_b32 v17, v17, s33, v0
	v_lshlrev_b64 v[20:21], s26, v[6:7]
	s_waitcnt lgkmcnt(0)
	v_add_u16_e32 v18, 1, v12
	ds_write_b16 v13, v18
	v_lshrrev_b32_e32 v18, 30, v19
	v_and_b32_e32 v18, 2, v18
	v_lshl_or_b32 v18, v17, 2, v18
	ds_read_u16 v17, v18
	v_lshrrev_b32_e32 v20, 30, v21
	v_and_b32_e32 v20, 2, v20
	v_lshlrev_b64 v[22:23], s26, v[8:9]
	v_lshrrev_b32_e32 v22, 30, v23
	s_waitcnt lgkmcnt(0)
	v_add_u16_e32 v19, 1, v17
	ds_write_b16 v18, v19
	v_lshrrev_b32_e32 v19, 20, v21
	v_and_or_b32 v19, v19, s33, v0
	v_lshl_or_b32 v20, v19, 2, v20
	ds_read_u16 v19, v20
	v_and_b32_e32 v22, 2, v22
	s_waitcnt lgkmcnt(0)
	v_add_u16_e32 v21, 1, v19
	ds_write_b16 v20, v21
	v_lshrrev_b32_e32 v21, 20, v23
	v_and_or_b32 v21, v21, s33, v0
	v_lshl_or_b32 v22, v21, 2, v22
	ds_read_u16 v21, v22
	s_waitcnt lgkmcnt(0)
	v_add_u16_e32 v23, 1, v21
	ds_write_b16 v22, v23
	s_waitcnt lgkmcnt(0)
	s_barrier
	ds_read2_b32 v[24:25], v11 offset1:1
	ds_read2_b32 v[26:27], v11 offset0:2 offset1:3
	ds_read2_b32 v[28:29], v11 offset0:4 offset1:5
	ds_read2_b32 v[30:31], v11 offset0:6 offset1:7
	s_waitcnt lgkmcnt(3)
	v_add_u32_e32 v23, v25, v24
	s_waitcnt lgkmcnt(2)
	v_add3_u32 v23, v23, v26, v27
	s_waitcnt lgkmcnt(1)
	v_add3_u32 v23, v23, v28, v29
	s_waitcnt lgkmcnt(0)
	v_add3_u32 v23, v23, v30, v31
	s_nop 1
	v_mov_b32_dpp v24, v23 row_shr:1 row_mask:0xf bank_mask:0xf
	v_cndmask_b32_e64 v24, v24, 0, s[8:9]
	v_add_u32_e32 v23, v24, v23
	s_nop 1
	v_mov_b32_dpp v24, v23 row_shr:2 row_mask:0xf bank_mask:0xf
	v_cndmask_b32_e64 v24, 0, v24, s[10:11]
	v_add_u32_e32 v23, v23, v24
	s_nop 1
	v_mov_b32_dpp v24, v23 row_shr:4 row_mask:0xf bank_mask:0xf
	v_cndmask_b32_e64 v24, 0, v24, s[12:13]
	v_add_u32_e32 v23, v23, v24
	s_nop 1
	v_mov_b32_dpp v24, v23 row_shr:8 row_mask:0xf bank_mask:0xf
	v_cndmask_b32_e64 v24, 0, v24, s[14:15]
	v_add_u32_e32 v23, v23, v24
	s_nop 1
	v_mov_b32_dpp v24, v23 row_bcast:15 row_mask:0xf bank_mask:0xf
	v_cndmask_b32_e64 v24, v24, 0, s[16:17]
	v_add_u32_e32 v23, v23, v24
	s_nop 1
	v_mov_b32_dpp v24, v23 row_bcast:31 row_mask:0xf bank_mask:0xf
	v_cndmask_b32_e64 v24, 0, v24, s[2:3]
	v_add_u32_e32 v23, v23, v24
	s_and_saveexec_b64 s[26:27], s[4:5]
	s_cbranch_execz .LBB108_12
; %bb.11:                               ;   in Loop: Header=BB108_4 Depth=2
	ds_write_b32 v15, v23 offset:8192
.LBB108_12:                             ;   in Loop: Header=BB108_4 Depth=2
	s_or_b64 exec, exec, s[26:27]
	s_waitcnt lgkmcnt(0)
	s_barrier
	s_and_saveexec_b64 s[26:27], vcc
	s_cbranch_execz .LBB108_14
; %bb.13:                               ;   in Loop: Header=BB108_4 Depth=2
	ds_read_b32 v24, v10 offset:8192
	s_waitcnt lgkmcnt(0)
	s_nop 0
	v_mov_b32_dpp v25, v24 row_shr:1 row_mask:0xf bank_mask:0xf
	v_cndmask_b32_e64 v25, v25, 0, s[18:19]
	v_add_u32_e32 v24, v25, v24
	s_nop 1
	v_mov_b32_dpp v25, v24 row_shr:2 row_mask:0xf bank_mask:0xf
	v_cndmask_b32_e64 v25, 0, v25, s[20:21]
	v_add_u32_e32 v24, v24, v25
	ds_write_b32 v10, v24 offset:8192
.LBB108_14:                             ;   in Loop: Header=BB108_4 Depth=2
	s_or_b64 exec, exec, s[26:27]
	v_mov_b32_e32 v24, 0
	s_waitcnt lgkmcnt(0)
	s_barrier
	s_and_saveexec_b64 s[26:27], s[0:1]
	s_cbranch_execz .LBB108_3
; %bb.15:                               ;   in Loop: Header=BB108_4 Depth=2
	ds_read_b32 v24, v15 offset:8188
	s_branch .LBB108_3
.LBB108_16:
	ds_read_u16 v0, v13
	ds_read_u16 v1, v18
	;; [unrolled: 1-line block ×4, first 2 shown]
	s_lshl_b64 s[0:1], s[24:25], 2
	s_add_u32 s0, s22, s0
	s_waitcnt lgkmcnt(3)
	v_add_u32_sdwa v0, v0, v12 dst_sel:DWORD dst_unused:UNUSED_PAD src0_sel:DWORD src1_sel:WORD_0
	s_waitcnt lgkmcnt(2)
	v_add_u32_sdwa v1, v1, v17 dst_sel:DWORD dst_unused:UNUSED_PAD src0_sel:DWORD src1_sel:WORD_0
	;; [unrolled: 2-line block ×4, first 2 shown]
	s_addc_u32 s1, s23, s1
	v_lshlrev_b32_e32 v4, 2, v10
	global_store_dwordx4 v4, v[0:3], s[0:1]
	s_endpgm
	.section	.rodata,"a",@progbits
	.p2align	6, 0x0
	.amdhsa_kernel _Z11rank_kernelIxLj4ELb0EL18RadixRankAlgorithm0ELj256ELj4ELj10EEvPKT_Pi
		.amdhsa_group_segment_fixed_size 8208
		.amdhsa_private_segment_fixed_size 0
		.amdhsa_kernarg_size 16
		.amdhsa_user_sgpr_count 6
		.amdhsa_user_sgpr_private_segment_buffer 1
		.amdhsa_user_sgpr_dispatch_ptr 0
		.amdhsa_user_sgpr_queue_ptr 0
		.amdhsa_user_sgpr_kernarg_segment_ptr 1
		.amdhsa_user_sgpr_dispatch_id 0
		.amdhsa_user_sgpr_flat_scratch_init 0
		.amdhsa_user_sgpr_kernarg_preload_length 0
		.amdhsa_user_sgpr_kernarg_preload_offset 0
		.amdhsa_user_sgpr_private_segment_size 0
		.amdhsa_uses_dynamic_stack 0
		.amdhsa_system_sgpr_private_segment_wavefront_offset 0
		.amdhsa_system_sgpr_workgroup_id_x 1
		.amdhsa_system_sgpr_workgroup_id_y 0
		.amdhsa_system_sgpr_workgroup_id_z 0
		.amdhsa_system_sgpr_workgroup_info 0
		.amdhsa_system_vgpr_workitem_id 0
		.amdhsa_next_free_vgpr 32
		.amdhsa_next_free_sgpr 40
		.amdhsa_accum_offset 32
		.amdhsa_reserve_vcc 1
		.amdhsa_reserve_flat_scratch 0
		.amdhsa_float_round_mode_32 0
		.amdhsa_float_round_mode_16_64 0
		.amdhsa_float_denorm_mode_32 3
		.amdhsa_float_denorm_mode_16_64 3
		.amdhsa_dx10_clamp 1
		.amdhsa_ieee_mode 1
		.amdhsa_fp16_overflow 0
		.amdhsa_tg_split 0
		.amdhsa_exception_fp_ieee_invalid_op 0
		.amdhsa_exception_fp_denorm_src 0
		.amdhsa_exception_fp_ieee_div_zero 0
		.amdhsa_exception_fp_ieee_overflow 0
		.amdhsa_exception_fp_ieee_underflow 0
		.amdhsa_exception_fp_ieee_inexact 0
		.amdhsa_exception_int_div_zero 0
	.end_amdhsa_kernel
	.section	.text._Z11rank_kernelIxLj4ELb0EL18RadixRankAlgorithm0ELj256ELj4ELj10EEvPKT_Pi,"axG",@progbits,_Z11rank_kernelIxLj4ELb0EL18RadixRankAlgorithm0ELj256ELj4ELj10EEvPKT_Pi,comdat
.Lfunc_end108:
	.size	_Z11rank_kernelIxLj4ELb0EL18RadixRankAlgorithm0ELj256ELj4ELj10EEvPKT_Pi, .Lfunc_end108-_Z11rank_kernelIxLj4ELb0EL18RadixRankAlgorithm0ELj256ELj4ELj10EEvPKT_Pi
                                        ; -- End function
	.section	.AMDGPU.csdata,"",@progbits
; Kernel info:
; codeLenInByte = 1340
; NumSgprs: 44
; NumVgprs: 32
; NumAgprs: 0
; TotalNumVgprs: 32
; ScratchSize: 0
; MemoryBound: 0
; FloatMode: 240
; IeeeMode: 1
; LDSByteSize: 8208 bytes/workgroup (compile time only)
; SGPRBlocks: 5
; VGPRBlocks: 3
; NumSGPRsForWavesPerEU: 44
; NumVGPRsForWavesPerEU: 32
; AccumOffset: 32
; Occupancy: 7
; WaveLimiterHint : 0
; COMPUTE_PGM_RSRC2:SCRATCH_EN: 0
; COMPUTE_PGM_RSRC2:USER_SGPR: 6
; COMPUTE_PGM_RSRC2:TRAP_HANDLER: 0
; COMPUTE_PGM_RSRC2:TGID_X_EN: 1
; COMPUTE_PGM_RSRC2:TGID_Y_EN: 0
; COMPUTE_PGM_RSRC2:TGID_Z_EN: 0
; COMPUTE_PGM_RSRC2:TIDIG_COMP_CNT: 0
; COMPUTE_PGM_RSRC3_GFX90A:ACCUM_OFFSET: 7
; COMPUTE_PGM_RSRC3_GFX90A:TG_SPLIT: 0
	.section	.text._Z11rank_kernelIxLj4ELb0EL18RadixRankAlgorithm1ELj256ELj4ELj10EEvPKT_Pi,"axG",@progbits,_Z11rank_kernelIxLj4ELb0EL18RadixRankAlgorithm1ELj256ELj4ELj10EEvPKT_Pi,comdat
	.protected	_Z11rank_kernelIxLj4ELb0EL18RadixRankAlgorithm1ELj256ELj4ELj10EEvPKT_Pi ; -- Begin function _Z11rank_kernelIxLj4ELb0EL18RadixRankAlgorithm1ELj256ELj4ELj10EEvPKT_Pi
	.globl	_Z11rank_kernelIxLj4ELb0EL18RadixRankAlgorithm1ELj256ELj4ELj10EEvPKT_Pi
	.p2align	8
	.type	_Z11rank_kernelIxLj4ELb0EL18RadixRankAlgorithm1ELj256ELj4ELj10EEvPKT_Pi,@function
_Z11rank_kernelIxLj4ELb0EL18RadixRankAlgorithm1ELj256ELj4ELj10EEvPKT_Pi: ; @_Z11rank_kernelIxLj4ELb0EL18RadixRankAlgorithm1ELj256ELj4ELj10EEvPKT_Pi
; %bb.0:
	s_load_dwordx4 s[20:23], s[4:5], 0x0
	s_lshl_b32 s24, s6, 10
	s_mov_b32 s25, 0
	s_lshl_b64 s[0:1], s[24:25], 3
	v_lshlrev_b32_e32 v11, 5, v0
	s_waitcnt lgkmcnt(0)
	s_add_u32 s0, s20, s0
	s_addc_u32 s1, s21, s1
	global_load_dwordx4 v[2:5], v11, s[0:1]
	global_load_dwordx4 v[6:9], v11, s[0:1] offset:16
	v_mbcnt_lo_u32_b32 v1, -1, 0
	v_mbcnt_hi_u32_b32 v12, -1, v1
	v_or_b32_e32 v13, 63, v0
	v_cmp_eq_u32_e64 s[4:5], v13, v0
	v_add_u32_e32 v13, -1, v12
	v_and_b32_e32 v17, 64, v12
	v_lshrrev_b32_e32 v14, 4, v0
	v_cmp_lt_i32_e64 s[18:19], v13, v17
	v_and_b32_e32 v15, 15, v12
	v_and_b32_e32 v16, 16, v12
	v_cmp_lt_u32_e64 s[2:3], 31, v12
	v_cmp_eq_u32_e64 s[6:7], 0, v12
	v_and_b32_e32 v21, 12, v14
	v_and_b32_e32 v14, 3, v12
	v_cndmask_b32_e64 v12, v13, v12, s[18:19]
	v_mov_b32_e32 v20, 0
	s_movk_i32 s33, 0x700
	v_lshlrev_b32_e32 v10, 2, v0
	v_cmp_gt_u32_e32 vcc, 4, v0
	v_cmp_lt_u32_e64 s[0:1], 63, v0
	v_or_b32_e32 v1, 0x100, v0
	v_cmp_eq_u32_e64 s[8:9], 0, v15
	v_cmp_lt_u32_e64 s[10:11], 1, v15
	v_cmp_lt_u32_e64 s[12:13], 3, v15
	;; [unrolled: 1-line block ×3, first 2 shown]
	v_cmp_eq_u32_e64 s[16:17], 0, v16
	v_cmp_eq_u32_e64 s[18:19], 0, v14
	v_cmp_lt_u32_e64 s[20:21], 1, v14
	v_lshlrev_b32_e32 v22, 2, v12
	s_mov_b32 s34, s25
	s_waitcnt vmcnt(1)
	v_xor_b32_e32 v3, 0x80000000, v3
	v_xor_b32_e32 v5, 0x80000000, v5
	s_waitcnt vmcnt(0)
	v_xor_b32_e32 v7, 0x80000000, v7
	v_xor_b32_e32 v9, 0x80000000, v9
	s_branch .LBB109_2
.LBB109_1:                              ;   in Loop: Header=BB109_2 Depth=1
	s_add_i32 s34, s34, 1
	s_cmp_eq_u32 s34, 10
	s_cbranch_scc1 .LBB109_16
.LBB109_2:                              ; =>This Loop Header: Depth=1
                                        ;     Child Loop BB109_4 Depth 2
                                        ;       Child Loop BB109_6 Depth 3
	s_mov_b32 s35, 0
	s_branch .LBB109_4
.LBB109_3:                              ;   in Loop: Header=BB109_4 Depth=2
	s_or_b64 exec, exec, s[26:27]
	s_waitcnt lgkmcnt(0)
	v_add_u32_e32 v13, v31, v13
	ds_bpermute_b32 v13, v22, v13
	ds_read_b32 v32, v20 offset:8204
	s_add_i32 s26, s35, 4
	s_cmp_lt_u32 s35, 60
	s_mov_b32 s35, s26
	s_waitcnt lgkmcnt(1)
	v_cndmask_b32_e64 v13, v13, v31, s[6:7]
	s_waitcnt lgkmcnt(0)
	v_lshl_add_u32 v13, v32, 16, v13
	v_add_u32_e32 v18, v13, v18
	v_add_u32_e32 v19, v18, v19
	ds_write2_b32 v11, v13, v18 offset1:1
	v_add_u32_e32 v13, v19, v16
	v_add_u32_e32 v16, v13, v17
	ds_write2_b32 v11, v19, v13 offset0:2 offset1:3
	v_add_u32_e32 v13, v16, v14
	v_add_u32_e32 v14, v13, v15
	;; [unrolled: 1-line block ×3, first 2 shown]
	ds_write2_b32 v11, v16, v13 offset0:4 offset1:5
	ds_write2_b32 v11, v14, v12 offset0:6 offset1:7
	s_waitcnt lgkmcnt(0)
	s_barrier
	s_cbranch_scc0 .LBB109_1
.LBB109_4:                              ;   Parent Loop BB109_2 Depth=1
                                        ; =>  This Loop Header: Depth=2
                                        ;       Child Loop BB109_6 Depth 3
	s_mov_b32 s36, 0
	s_mov_b64 s[26:27], 0
	v_pk_mov_b32 v[12:13], v[0:1], v[0:1] op_sel:[0,1]
	s_branch .LBB109_6
.LBB109_5:                              ;   in Loop: Header=BB109_6 Depth=3
	s_or_b64 exec, exec, s[30:31]
	s_add_i32 s36, s36, 2
	v_cmp_eq_u32_e64 s[28:29], 8, s36
	v_add_u32_e32 v13, 0x200, v13
	s_or_b64 s[26:27], s[28:29], s[26:27]
	v_add_u32_e32 v12, 0x200, v12
	s_andn2_b64 exec, exec, s[26:27]
	s_cbranch_execz .LBB109_10
.LBB109_6:                              ;   Parent Loop BB109_2 Depth=1
                                        ;     Parent Loop BB109_4 Depth=2
                                        ; =>    This Inner Loop Header: Depth=3
	s_or_b32 s28, s36, 1
	v_cmp_le_u32_e64 s[28:29], s28, 7
	v_cmp_le_u32_e64 s[38:39], s36, 7
	s_and_saveexec_b64 s[30:31], s[38:39]
	s_cbranch_execz .LBB109_8
; %bb.7:                                ;   in Loop: Header=BB109_6 Depth=3
	v_lshlrev_b32_e32 v14, 2, v12
	ds_write_b32 v14, v20
.LBB109_8:                              ;   in Loop: Header=BB109_6 Depth=3
	s_or_b64 exec, exec, s[30:31]
	s_and_saveexec_b64 s[30:31], s[28:29]
	s_cbranch_execz .LBB109_5
; %bb.9:                                ;   in Loop: Header=BB109_6 Depth=3
	v_lshlrev_b32_e32 v14, 2, v13
	ds_write_b32 v14, v20
	s_branch .LBB109_5
.LBB109_10:                             ;   in Loop: Header=BB109_4 Depth=2
	s_or_b64 exec, exec, s[26:27]
	s_sub_i32 s26, 60, s35
	v_lshlrev_b64 v[12:13], s26, v[2:3]
	v_lshrrev_b32_e32 v12, 20, v13
	v_lshrrev_b32_e32 v13, 30, v13
	v_and_or_b32 v12, v12, s33, v0
	v_and_b32_e32 v13, 2, v13
	v_lshl_or_b32 v24, v12, 2, v13
	ds_read_u16 v23, v24
	v_lshlrev_b64 v[12:13], s26, v[4:5]
	v_lshrrev_b32_e32 v12, 20, v13
	v_lshrrev_b32_e32 v13, 30, v13
	v_and_or_b32 v12, v12, s33, v0
	s_waitcnt lgkmcnt(0)
	v_add_u16_e32 v14, 1, v23
	v_and_b32_e32 v13, 2, v13
	ds_write_b16 v24, v14
	v_lshl_or_b32 v26, v12, 2, v13
	ds_read_u16 v25, v26
	s_waitcnt lgkmcnt(0)
	v_add_u16_e32 v12, 1, v25
	ds_write_b16 v26, v12
	v_lshlrev_b64 v[12:13], s26, v[6:7]
	v_lshrrev_b32_e32 v12, 20, v13
	v_lshrrev_b32_e32 v13, 30, v13
	v_and_or_b32 v12, v12, s33, v0
	v_and_b32_e32 v13, 2, v13
	v_lshl_or_b32 v28, v12, 2, v13
	ds_read_u16 v27, v28
	s_waitcnt lgkmcnt(0)
	v_add_u16_e32 v12, 1, v27
	ds_write_b16 v28, v12
	v_lshlrev_b64 v[12:13], s26, v[8:9]
	v_lshrrev_b32_e32 v12, 20, v13
	v_lshrrev_b32_e32 v13, 30, v13
	v_and_or_b32 v12, v12, s33, v0
	v_and_b32_e32 v13, 2, v13
	v_lshl_or_b32 v30, v12, 2, v13
	ds_read_u16 v29, v30
	s_waitcnt lgkmcnt(0)
	v_add_u16_e32 v12, 1, v29
	ds_write_b16 v30, v12
	s_waitcnt lgkmcnt(0)
	s_barrier
	ds_read2_b32 v[18:19], v11 offset1:1
	ds_read2_b32 v[16:17], v11 offset0:2 offset1:3
	ds_read2_b32 v[14:15], v11 offset0:4 offset1:5
	ds_read2_b32 v[12:13], v11 offset0:6 offset1:7
	s_waitcnt lgkmcnt(3)
	v_add_u32_e32 v31, v19, v18
	s_waitcnt lgkmcnt(2)
	v_add3_u32 v31, v31, v16, v17
	s_waitcnt lgkmcnt(1)
	v_add3_u32 v31, v31, v14, v15
	;; [unrolled: 2-line block ×3, first 2 shown]
	s_nop 1
	v_mov_b32_dpp v31, v13 row_shr:1 row_mask:0xf bank_mask:0xf
	v_cndmask_b32_e64 v31, v31, 0, s[8:9]
	v_add_u32_e32 v13, v31, v13
	s_nop 1
	v_mov_b32_dpp v31, v13 row_shr:2 row_mask:0xf bank_mask:0xf
	v_cndmask_b32_e64 v31, 0, v31, s[10:11]
	v_add_u32_e32 v13, v13, v31
	;; [unrolled: 4-line block ×4, first 2 shown]
	s_nop 1
	v_mov_b32_dpp v31, v13 row_bcast:15 row_mask:0xf bank_mask:0xf
	v_cndmask_b32_e64 v31, v31, 0, s[16:17]
	v_add_u32_e32 v13, v13, v31
	s_nop 1
	v_mov_b32_dpp v31, v13 row_bcast:31 row_mask:0xf bank_mask:0xf
	v_cndmask_b32_e64 v31, 0, v31, s[2:3]
	v_add_u32_e32 v13, v13, v31
	s_and_saveexec_b64 s[26:27], s[4:5]
	s_cbranch_execz .LBB109_12
; %bb.11:                               ;   in Loop: Header=BB109_4 Depth=2
	ds_write_b32 v21, v13 offset:8192
.LBB109_12:                             ;   in Loop: Header=BB109_4 Depth=2
	s_or_b64 exec, exec, s[26:27]
	s_waitcnt lgkmcnt(0)
	s_barrier
	s_and_saveexec_b64 s[26:27], vcc
	s_cbranch_execz .LBB109_14
; %bb.13:                               ;   in Loop: Header=BB109_4 Depth=2
	ds_read_b32 v31, v10 offset:8192
	s_waitcnt lgkmcnt(0)
	s_nop 0
	v_mov_b32_dpp v32, v31 row_shr:1 row_mask:0xf bank_mask:0xf
	v_cndmask_b32_e64 v32, v32, 0, s[18:19]
	v_add_u32_e32 v31, v32, v31
	s_nop 1
	v_mov_b32_dpp v32, v31 row_shr:2 row_mask:0xf bank_mask:0xf
	v_cndmask_b32_e64 v32, 0, v32, s[20:21]
	v_add_u32_e32 v31, v31, v32
	ds_write_b32 v10, v31 offset:8192
.LBB109_14:                             ;   in Loop: Header=BB109_4 Depth=2
	s_or_b64 exec, exec, s[26:27]
	v_mov_b32_e32 v31, 0
	s_waitcnt lgkmcnt(0)
	s_barrier
	s_and_saveexec_b64 s[26:27], s[0:1]
	s_cbranch_execz .LBB109_3
; %bb.15:                               ;   in Loop: Header=BB109_4 Depth=2
	ds_read_b32 v31, v21 offset:8188
	s_branch .LBB109_3
.LBB109_16:
	ds_read_u16 v0, v24
	ds_read_u16 v1, v26
	;; [unrolled: 1-line block ×4, first 2 shown]
	s_lshl_b64 s[0:1], s[24:25], 2
	s_add_u32 s0, s22, s0
	s_waitcnt lgkmcnt(3)
	v_add_u32_sdwa v0, v0, v23 dst_sel:DWORD dst_unused:UNUSED_PAD src0_sel:DWORD src1_sel:WORD_0
	s_waitcnt lgkmcnt(2)
	v_add_u32_sdwa v1, v1, v25 dst_sel:DWORD dst_unused:UNUSED_PAD src0_sel:DWORD src1_sel:WORD_0
	;; [unrolled: 2-line block ×4, first 2 shown]
	s_addc_u32 s1, s23, s1
	v_lshlrev_b32_e32 v4, 2, v10
	global_store_dwordx4 v4, v[0:3], s[0:1]
	s_endpgm
	.section	.rodata,"a",@progbits
	.p2align	6, 0x0
	.amdhsa_kernel _Z11rank_kernelIxLj4ELb0EL18RadixRankAlgorithm1ELj256ELj4ELj10EEvPKT_Pi
		.amdhsa_group_segment_fixed_size 8208
		.amdhsa_private_segment_fixed_size 0
		.amdhsa_kernarg_size 16
		.amdhsa_user_sgpr_count 6
		.amdhsa_user_sgpr_private_segment_buffer 1
		.amdhsa_user_sgpr_dispatch_ptr 0
		.amdhsa_user_sgpr_queue_ptr 0
		.amdhsa_user_sgpr_kernarg_segment_ptr 1
		.amdhsa_user_sgpr_dispatch_id 0
		.amdhsa_user_sgpr_flat_scratch_init 0
		.amdhsa_user_sgpr_kernarg_preload_length 0
		.amdhsa_user_sgpr_kernarg_preload_offset 0
		.amdhsa_user_sgpr_private_segment_size 0
		.amdhsa_uses_dynamic_stack 0
		.amdhsa_system_sgpr_private_segment_wavefront_offset 0
		.amdhsa_system_sgpr_workgroup_id_x 1
		.amdhsa_system_sgpr_workgroup_id_y 0
		.amdhsa_system_sgpr_workgroup_id_z 0
		.amdhsa_system_sgpr_workgroup_info 0
		.amdhsa_system_vgpr_workitem_id 0
		.amdhsa_next_free_vgpr 33
		.amdhsa_next_free_sgpr 40
		.amdhsa_accum_offset 36
		.amdhsa_reserve_vcc 1
		.amdhsa_reserve_flat_scratch 0
		.amdhsa_float_round_mode_32 0
		.amdhsa_float_round_mode_16_64 0
		.amdhsa_float_denorm_mode_32 3
		.amdhsa_float_denorm_mode_16_64 3
		.amdhsa_dx10_clamp 1
		.amdhsa_ieee_mode 1
		.amdhsa_fp16_overflow 0
		.amdhsa_tg_split 0
		.amdhsa_exception_fp_ieee_invalid_op 0
		.amdhsa_exception_fp_denorm_src 0
		.amdhsa_exception_fp_ieee_div_zero 0
		.amdhsa_exception_fp_ieee_overflow 0
		.amdhsa_exception_fp_ieee_underflow 0
		.amdhsa_exception_fp_ieee_inexact 0
		.amdhsa_exception_int_div_zero 0
	.end_amdhsa_kernel
	.section	.text._Z11rank_kernelIxLj4ELb0EL18RadixRankAlgorithm1ELj256ELj4ELj10EEvPKT_Pi,"axG",@progbits,_Z11rank_kernelIxLj4ELb0EL18RadixRankAlgorithm1ELj256ELj4ELj10EEvPKT_Pi,comdat
.Lfunc_end109:
	.size	_Z11rank_kernelIxLj4ELb0EL18RadixRankAlgorithm1ELj256ELj4ELj10EEvPKT_Pi, .Lfunc_end109-_Z11rank_kernelIxLj4ELb0EL18RadixRankAlgorithm1ELj256ELj4ELj10EEvPKT_Pi
                                        ; -- End function
	.section	.AMDGPU.csdata,"",@progbits
; Kernel info:
; codeLenInByte = 1292
; NumSgprs: 44
; NumVgprs: 33
; NumAgprs: 0
; TotalNumVgprs: 33
; ScratchSize: 0
; MemoryBound: 0
; FloatMode: 240
; IeeeMode: 1
; LDSByteSize: 8208 bytes/workgroup (compile time only)
; SGPRBlocks: 5
; VGPRBlocks: 4
; NumSGPRsForWavesPerEU: 44
; NumVGPRsForWavesPerEU: 33
; AccumOffset: 36
; Occupancy: 7
; WaveLimiterHint : 0
; COMPUTE_PGM_RSRC2:SCRATCH_EN: 0
; COMPUTE_PGM_RSRC2:USER_SGPR: 6
; COMPUTE_PGM_RSRC2:TRAP_HANDLER: 0
; COMPUTE_PGM_RSRC2:TGID_X_EN: 1
; COMPUTE_PGM_RSRC2:TGID_Y_EN: 0
; COMPUTE_PGM_RSRC2:TGID_Z_EN: 0
; COMPUTE_PGM_RSRC2:TIDIG_COMP_CNT: 0
; COMPUTE_PGM_RSRC3_GFX90A:ACCUM_OFFSET: 8
; COMPUTE_PGM_RSRC3_GFX90A:TG_SPLIT: 0
	.section	.text._Z11rank_kernelIxLj4ELb0EL18RadixRankAlgorithm2ELj256ELj4ELj10EEvPKT_Pi,"axG",@progbits,_Z11rank_kernelIxLj4ELb0EL18RadixRankAlgorithm2ELj256ELj4ELj10EEvPKT_Pi,comdat
	.protected	_Z11rank_kernelIxLj4ELb0EL18RadixRankAlgorithm2ELj256ELj4ELj10EEvPKT_Pi ; -- Begin function _Z11rank_kernelIxLj4ELb0EL18RadixRankAlgorithm2ELj256ELj4ELj10EEvPKT_Pi
	.globl	_Z11rank_kernelIxLj4ELb0EL18RadixRankAlgorithm2ELj256ELj4ELj10EEvPKT_Pi
	.p2align	8
	.type	_Z11rank_kernelIxLj4ELb0EL18RadixRankAlgorithm2ELj256ELj4ELj10EEvPKT_Pi,@function
_Z11rank_kernelIxLj4ELb0EL18RadixRankAlgorithm2ELj256ELj4ELj10EEvPKT_Pi: ; @_Z11rank_kernelIxLj4ELb0EL18RadixRankAlgorithm2ELj256ELj4ELj10EEvPKT_Pi
; %bb.0:
	s_load_dwordx4 s[24:27], s[4:5], 0x0
	s_load_dword s22, s[4:5], 0x1c
	s_lshl_b32 s28, s6, 10
	s_mov_b32 s29, 0
	s_lshl_b64 s[0:1], s[28:29], 3
	s_waitcnt lgkmcnt(0)
	s_add_u32 s0, s24, s0
	v_and_b32_e32 v12, 0x3ff, v0
	s_addc_u32 s1, s25, s1
	v_lshlrev_b32_e32 v1, 5, v12
	global_load_dwordx4 v[2:5], v1, s[0:1]
	global_load_dwordx4 v[6:9], v1, s[0:1] offset:16
	v_mbcnt_lo_u32_b32 v1, -1, 0
	v_mbcnt_hi_u32_b32 v1, -1, v1
	v_bfe_u32 v11, v0, 10, 10
	v_bfe_u32 v13, v0, 20, 10
	v_add_u32_e32 v17, -1, v1
	v_and_b32_e32 v18, 64, v1
	s_lshr_b32 s23, s22, 16
	v_and_b32_e32 v14, 15, v1
	v_or_b32_e32 v16, 63, v12
	v_lshrrev_b32_e32 v19, 4, v12
	v_cmp_lt_i32_e64 s[18:19], v17, v18
	s_and_b32 s22, s22, 0xffff
	v_mad_u32_u24 v11, v13, s23, v11
	v_lshlrev_b32_e32 v0, 2, v12
	v_and_b32_e32 v15, 16, v1
	v_cmp_lt_u32_e32 vcc, 31, v1
	v_cmp_gt_u32_e64 s[0:1], 4, v12
	v_cmp_lt_u32_e64 s[2:3], 63, v12
	v_cmp_eq_u32_e64 s[4:5], 0, v1
	v_and_b32_e32 v20, 3, v1
	v_cmp_eq_u32_e64 s[6:7], 0, v14
	v_cmp_lt_u32_e64 s[8:9], 1, v14
	v_cmp_lt_u32_e64 s[10:11], 3, v14
	;; [unrolled: 1-line block ×3, first 2 shown]
	v_cmp_eq_u32_e64 s[16:17], v16, v12
	v_cndmask_b32_e64 v14, v17, v1, s[18:19]
	v_and_b32_e32 v1, 12, v19
	v_mad_u64_u32 v[12:13], s[22:23], v11, s22, v[12:13]
	v_mov_b32_e32 v10, 0
	v_cmp_eq_u32_e64 s[14:15], 0, v15
	v_cmp_eq_u32_e64 s[18:19], 0, v20
	v_cmp_lt_u32_e64 s[20:21], 1, v20
	v_lshlrev_b32_e32 v14, 2, v14
	v_add_u32_e32 v15, -4, v1
	v_lshrrev_b32_e32 v16, 6, v12
	s_mov_b32 s33, s29
	s_waitcnt vmcnt(1)
	v_xor_b32_e32 v3, 0x80000000, v3
	v_xor_b32_e32 v5, 0x80000000, v5
	s_waitcnt vmcnt(0)
	v_xor_b32_e32 v7, 0x80000000, v7
	v_xor_b32_e32 v9, 0x80000000, v9
	s_branch .LBB110_2
.LBB110_1:                              ;   in Loop: Header=BB110_2 Depth=1
	s_add_i32 s33, s33, 1
	s_cmp_eq_u32 s33, 10
	s_cbranch_scc1 .LBB110_18
.LBB110_2:                              ; =>This Loop Header: Depth=1
                                        ;     Child Loop BB110_4 Depth 2
	s_mov_b64 s[30:31], 60
	s_mov_b32 s34, -4
	s_branch .LBB110_4
.LBB110_3:                              ;   in Loop: Header=BB110_4 Depth=2
	s_or_b64 exec, exec, s[22:23]
	s_waitcnt lgkmcnt(0)
	v_add_u32_e32 v12, v13, v12
	ds_bpermute_b32 v12, v14, v12
	s_add_i32 s34, s34, 4
	s_add_u32 s30, s30, -4
	s_addc_u32 s31, s31, -1
	s_cmp_lt_u32 s34, 60
	s_waitcnt lgkmcnt(0)
	v_cndmask_b32_e64 v12, v12, v13, s[4:5]
	ds_write_b32 v0, v12 offset:16
	s_waitcnt lgkmcnt(0)
	s_barrier
	s_cbranch_scc0 .LBB110_1
.LBB110_4:                              ;   Parent Loop BB110_2 Depth=1
                                        ; =>  This Inner Loop Header: Depth=2
	v_lshlrev_b64 v[12:13], s30, v[2:3]
	v_lshrrev_b32_e32 v18, 28, v13
	v_mad_u32_u24 v11, v18, 5, v16
	v_lshl_add_u32 v17, v11, 2, 16
	v_bfe_u32 v11, v13, 28, 1
	v_add_co_u32_e64 v19, s[22:23], -1, v11
	v_addc_co_u32_e64 v20, s[22:23], 0, -1, s[22:23]
	v_cmp_ne_u32_e64 s[22:23], 0, v11
	v_xor_b32_e32 v11, s23, v20
	v_and_b32_e32 v20, exec_hi, v11
	v_lshlrev_b32_e32 v11, 30, v18
	v_xor_b32_e32 v19, s22, v19
	v_cmp_gt_i64_e64 s[22:23], 0, v[10:11]
	v_not_b32_e32 v11, v11
	v_ashrrev_i32_e32 v11, 31, v11
	v_and_b32_e32 v19, exec_lo, v19
	v_xor_b32_e32 v21, s23, v11
	v_xor_b32_e32 v11, s22, v11
	v_and_b32_e32 v19, v19, v11
	v_lshlrev_b32_e32 v11, 29, v18
	v_cmp_gt_i64_e64 s[22:23], 0, v[10:11]
	v_not_b32_e32 v11, v11
	v_ashrrev_i32_e32 v11, 31, v11
	v_xor_b32_e32 v18, s23, v11
	v_xor_b32_e32 v11, s22, v11
	v_cmp_gt_i64_e64 s[22:23], 0, v[12:13]
	v_not_b32_e32 v12, v13
	v_ashrrev_i32_e32 v12, 31, v12
	v_and_b32_e32 v20, v20, v21
	v_and_b32_e32 v11, v19, v11
	v_xor_b32_e32 v13, s23, v12
	v_xor_b32_e32 v12, s22, v12
	v_and_b32_e32 v18, v20, v18
	v_and_b32_e32 v12, v11, v12
	;; [unrolled: 1-line block ×3, first 2 shown]
	v_mbcnt_lo_u32_b32 v11, v12, 0
	v_mbcnt_hi_u32_b32 v18, v13, v11
	v_cmp_eq_u32_e64 s[22:23], 0, v18
	v_cmp_ne_u64_e64 s[24:25], 0, v[12:13]
	s_and_b64 s[24:25], s[24:25], s[22:23]
	ds_write_b32 v0, v10 offset:16
	s_waitcnt lgkmcnt(0)
	s_barrier
	s_waitcnt lgkmcnt(0)
	; wave barrier
	s_and_saveexec_b64 s[22:23], s[24:25]
	s_cbranch_execz .LBB110_6
; %bb.5:                                ;   in Loop: Header=BB110_4 Depth=2
	v_bcnt_u32_b32 v11, v12, 0
	v_bcnt_u32_b32 v11, v13, v11
	ds_write_b32 v17, v11
.LBB110_6:                              ;   in Loop: Header=BB110_4 Depth=2
	s_or_b64 exec, exec, s[22:23]
	v_lshlrev_b64 v[12:13], s30, v[4:5]
	v_lshrrev_b32_e32 v21, 28, v13
	v_mul_u32_u24_e32 v11, 5, v21
	v_add_lshl_u32 v11, v16, v11, 2
	; wave barrier
	v_add_u32_e32 v20, 16, v11
	ds_read_b32 v19, v11 offset:16
	v_bfe_u32 v11, v13, 28, 1
	v_add_co_u32_e64 v22, s[22:23], -1, v11
	v_addc_co_u32_e64 v23, s[22:23], 0, -1, s[22:23]
	v_cmp_ne_u32_e64 s[22:23], 0, v11
	v_xor_b32_e32 v11, s23, v23
	v_and_b32_e32 v23, exec_hi, v11
	v_lshlrev_b32_e32 v11, 30, v21
	v_xor_b32_e32 v22, s22, v22
	v_cmp_gt_i64_e64 s[22:23], 0, v[10:11]
	v_not_b32_e32 v11, v11
	v_ashrrev_i32_e32 v11, 31, v11
	v_and_b32_e32 v22, exec_lo, v22
	v_xor_b32_e32 v24, s23, v11
	v_xor_b32_e32 v11, s22, v11
	v_and_b32_e32 v22, v22, v11
	v_lshlrev_b32_e32 v11, 29, v21
	v_cmp_gt_i64_e64 s[22:23], 0, v[10:11]
	v_not_b32_e32 v11, v11
	v_ashrrev_i32_e32 v11, 31, v11
	v_xor_b32_e32 v21, s23, v11
	v_xor_b32_e32 v11, s22, v11
	v_cmp_gt_i64_e64 s[22:23], 0, v[12:13]
	v_not_b32_e32 v12, v13
	v_ashrrev_i32_e32 v12, 31, v12
	v_and_b32_e32 v23, v23, v24
	v_and_b32_e32 v11, v22, v11
	v_xor_b32_e32 v13, s23, v12
	v_xor_b32_e32 v12, s22, v12
	v_and_b32_e32 v21, v23, v21
	v_and_b32_e32 v12, v11, v12
	;; [unrolled: 1-line block ×3, first 2 shown]
	v_mbcnt_lo_u32_b32 v11, v12, 0
	v_mbcnt_hi_u32_b32 v21, v13, v11
	v_cmp_eq_u32_e64 s[22:23], 0, v21
	v_cmp_ne_u64_e64 s[24:25], 0, v[12:13]
	s_and_b64 s[24:25], s[24:25], s[22:23]
	; wave barrier
	s_and_saveexec_b64 s[22:23], s[24:25]
	s_cbranch_execz .LBB110_8
; %bb.7:                                ;   in Loop: Header=BB110_4 Depth=2
	v_bcnt_u32_b32 v11, v12, 0
	v_bcnt_u32_b32 v11, v13, v11
	s_waitcnt lgkmcnt(0)
	v_add_u32_e32 v11, v19, v11
	ds_write_b32 v20, v11
.LBB110_8:                              ;   in Loop: Header=BB110_4 Depth=2
	s_or_b64 exec, exec, s[22:23]
	v_lshlrev_b64 v[12:13], s30, v[6:7]
	v_lshrrev_b32_e32 v24, 28, v13
	v_mul_u32_u24_e32 v11, 5, v24
	v_add_lshl_u32 v11, v16, v11, 2
	; wave barrier
	v_add_u32_e32 v23, 16, v11
	ds_read_b32 v22, v11 offset:16
	v_bfe_u32 v11, v13, 28, 1
	v_add_co_u32_e64 v25, s[22:23], -1, v11
	v_addc_co_u32_e64 v26, s[22:23], 0, -1, s[22:23]
	v_cmp_ne_u32_e64 s[22:23], 0, v11
	v_xor_b32_e32 v11, s23, v26
	v_and_b32_e32 v26, exec_hi, v11
	v_lshlrev_b32_e32 v11, 30, v24
	v_xor_b32_e32 v25, s22, v25
	v_cmp_gt_i64_e64 s[22:23], 0, v[10:11]
	v_not_b32_e32 v11, v11
	v_ashrrev_i32_e32 v11, 31, v11
	v_and_b32_e32 v25, exec_lo, v25
	v_xor_b32_e32 v27, s23, v11
	v_xor_b32_e32 v11, s22, v11
	v_and_b32_e32 v25, v25, v11
	v_lshlrev_b32_e32 v11, 29, v24
	v_cmp_gt_i64_e64 s[22:23], 0, v[10:11]
	v_not_b32_e32 v11, v11
	v_ashrrev_i32_e32 v11, 31, v11
	v_xor_b32_e32 v24, s23, v11
	v_xor_b32_e32 v11, s22, v11
	v_cmp_gt_i64_e64 s[22:23], 0, v[12:13]
	v_not_b32_e32 v12, v13
	v_ashrrev_i32_e32 v12, 31, v12
	v_and_b32_e32 v26, v26, v27
	v_and_b32_e32 v11, v25, v11
	v_xor_b32_e32 v13, s23, v12
	v_xor_b32_e32 v12, s22, v12
	v_and_b32_e32 v24, v26, v24
	v_and_b32_e32 v12, v11, v12
	;; [unrolled: 1-line block ×3, first 2 shown]
	v_mbcnt_lo_u32_b32 v11, v12, 0
	v_mbcnt_hi_u32_b32 v24, v13, v11
	v_cmp_eq_u32_e64 s[22:23], 0, v24
	v_cmp_ne_u64_e64 s[24:25], 0, v[12:13]
	s_and_b64 s[24:25], s[24:25], s[22:23]
	; wave barrier
	s_and_saveexec_b64 s[22:23], s[24:25]
	s_cbranch_execz .LBB110_10
; %bb.9:                                ;   in Loop: Header=BB110_4 Depth=2
	v_bcnt_u32_b32 v11, v12, 0
	v_bcnt_u32_b32 v11, v13, v11
	s_waitcnt lgkmcnt(0)
	v_add_u32_e32 v11, v22, v11
	ds_write_b32 v23, v11
.LBB110_10:                             ;   in Loop: Header=BB110_4 Depth=2
	s_or_b64 exec, exec, s[22:23]
	v_lshlrev_b64 v[12:13], s30, v[8:9]
	v_lshrrev_b32_e32 v27, 28, v13
	v_mul_u32_u24_e32 v11, 5, v27
	v_add_lshl_u32 v11, v16, v11, 2
	; wave barrier
	v_add_u32_e32 v26, 16, v11
	ds_read_b32 v25, v11 offset:16
	v_bfe_u32 v11, v13, 28, 1
	v_add_co_u32_e64 v28, s[22:23], -1, v11
	v_addc_co_u32_e64 v29, s[22:23], 0, -1, s[22:23]
	v_cmp_ne_u32_e64 s[22:23], 0, v11
	v_xor_b32_e32 v11, s23, v29
	v_and_b32_e32 v29, exec_hi, v11
	v_lshlrev_b32_e32 v11, 30, v27
	v_xor_b32_e32 v28, s22, v28
	v_cmp_gt_i64_e64 s[22:23], 0, v[10:11]
	v_not_b32_e32 v11, v11
	v_ashrrev_i32_e32 v11, 31, v11
	v_and_b32_e32 v28, exec_lo, v28
	v_xor_b32_e32 v30, s23, v11
	v_xor_b32_e32 v11, s22, v11
	v_and_b32_e32 v28, v28, v11
	v_lshlrev_b32_e32 v11, 29, v27
	v_cmp_gt_i64_e64 s[22:23], 0, v[10:11]
	v_not_b32_e32 v11, v11
	v_ashrrev_i32_e32 v11, 31, v11
	v_xor_b32_e32 v27, s23, v11
	v_xor_b32_e32 v11, s22, v11
	v_cmp_gt_i64_e64 s[22:23], 0, v[12:13]
	v_not_b32_e32 v12, v13
	v_ashrrev_i32_e32 v12, 31, v12
	v_and_b32_e32 v29, v29, v30
	v_and_b32_e32 v11, v28, v11
	v_xor_b32_e32 v13, s23, v12
	v_xor_b32_e32 v12, s22, v12
	v_and_b32_e32 v27, v29, v27
	v_and_b32_e32 v12, v11, v12
	;; [unrolled: 1-line block ×3, first 2 shown]
	v_mbcnt_lo_u32_b32 v11, v12, 0
	v_mbcnt_hi_u32_b32 v11, v13, v11
	v_cmp_eq_u32_e64 s[22:23], 0, v11
	v_cmp_ne_u64_e64 s[24:25], 0, v[12:13]
	s_and_b64 s[24:25], s[24:25], s[22:23]
	; wave barrier
	s_and_saveexec_b64 s[22:23], s[24:25]
	s_cbranch_execz .LBB110_12
; %bb.11:                               ;   in Loop: Header=BB110_4 Depth=2
	v_bcnt_u32_b32 v12, v12, 0
	v_bcnt_u32_b32 v12, v13, v12
	s_waitcnt lgkmcnt(0)
	v_add_u32_e32 v12, v25, v12
	ds_write_b32 v26, v12
.LBB110_12:                             ;   in Loop: Header=BB110_4 Depth=2
	s_or_b64 exec, exec, s[22:23]
	; wave barrier
	s_waitcnt lgkmcnt(0)
	s_barrier
	ds_read_b32 v12, v0 offset:16
	s_waitcnt lgkmcnt(0)
	s_nop 0
	v_mov_b32_dpp v13, v12 row_shr:1 row_mask:0xf bank_mask:0xf
	v_cndmask_b32_e64 v13, v13, 0, s[6:7]
	v_add_u32_e32 v12, v13, v12
	s_nop 1
	v_mov_b32_dpp v13, v12 row_shr:2 row_mask:0xf bank_mask:0xf
	v_cndmask_b32_e64 v13, 0, v13, s[8:9]
	v_add_u32_e32 v12, v12, v13
	;; [unrolled: 4-line block ×4, first 2 shown]
	s_nop 1
	v_mov_b32_dpp v13, v12 row_bcast:15 row_mask:0xf bank_mask:0xf
	v_cndmask_b32_e64 v13, v13, 0, s[14:15]
	v_add_u32_e32 v12, v12, v13
	s_nop 1
	v_mov_b32_dpp v13, v12 row_bcast:31 row_mask:0xf bank_mask:0xf
	v_cndmask_b32_e32 v13, 0, v13, vcc
	v_add_u32_e32 v12, v12, v13
	s_and_saveexec_b64 s[22:23], s[16:17]
	s_xor_b64 s[22:23], exec, s[22:23]
	s_cbranch_execz .LBB110_14
; %bb.13:                               ;   in Loop: Header=BB110_4 Depth=2
	ds_write_b32 v1, v12
.LBB110_14:                             ;   in Loop: Header=BB110_4 Depth=2
	s_or_b64 exec, exec, s[22:23]
	s_waitcnt lgkmcnt(0)
	s_barrier
	s_and_saveexec_b64 s[22:23], s[0:1]
	s_cbranch_execz .LBB110_16
; %bb.15:                               ;   in Loop: Header=BB110_4 Depth=2
	ds_read_b32 v13, v0
	s_waitcnt lgkmcnt(0)
	s_nop 0
	v_mov_b32_dpp v27, v13 row_shr:1 row_mask:0xf bank_mask:0xf
	v_cndmask_b32_e64 v27, v27, 0, s[18:19]
	v_add_u32_e32 v13, v27, v13
	s_nop 1
	v_mov_b32_dpp v27, v13 row_shr:2 row_mask:0xf bank_mask:0xf
	v_cndmask_b32_e64 v27, 0, v27, s[20:21]
	v_add_u32_e32 v13, v13, v27
	ds_write_b32 v0, v13
.LBB110_16:                             ;   in Loop: Header=BB110_4 Depth=2
	s_or_b64 exec, exec, s[22:23]
	v_mov_b32_e32 v13, 0
	s_waitcnt lgkmcnt(0)
	s_barrier
	s_and_saveexec_b64 s[22:23], s[2:3]
	s_cbranch_execz .LBB110_3
; %bb.17:                               ;   in Loop: Header=BB110_4 Depth=2
	ds_read_b32 v13, v15
	s_branch .LBB110_3
.LBB110_18:
	ds_read_b32 v2, v26
	ds_read_b32 v4, v23
	;; [unrolled: 1-line block ×4, first 2 shown]
	s_lshl_b64 s[0:1], s[28:29], 2
	s_add_u32 s0, s26, s0
	s_addc_u32 s1, s27, s1
	v_lshlrev_b32_e32 v5, 2, v0
	s_waitcnt lgkmcnt(1)
	v_add3_u32 v1, v21, v19, v1
	s_waitcnt lgkmcnt(0)
	v_add_u32_e32 v0, v3, v18
	v_add3_u32 v3, v11, v25, v2
	v_add3_u32 v2, v24, v22, v4
	global_store_dwordx4 v5, v[0:3], s[0:1]
	s_endpgm
	.section	.rodata,"a",@progbits
	.p2align	6, 0x0
	.amdhsa_kernel _Z11rank_kernelIxLj4ELb0EL18RadixRankAlgorithm2ELj256ELj4ELj10EEvPKT_Pi
		.amdhsa_group_segment_fixed_size 1040
		.amdhsa_private_segment_fixed_size 0
		.amdhsa_kernarg_size 272
		.amdhsa_user_sgpr_count 6
		.amdhsa_user_sgpr_private_segment_buffer 1
		.amdhsa_user_sgpr_dispatch_ptr 0
		.amdhsa_user_sgpr_queue_ptr 0
		.amdhsa_user_sgpr_kernarg_segment_ptr 1
		.amdhsa_user_sgpr_dispatch_id 0
		.amdhsa_user_sgpr_flat_scratch_init 0
		.amdhsa_user_sgpr_kernarg_preload_length 0
		.amdhsa_user_sgpr_kernarg_preload_offset 0
		.amdhsa_user_sgpr_private_segment_size 0
		.amdhsa_uses_dynamic_stack 0
		.amdhsa_system_sgpr_private_segment_wavefront_offset 0
		.amdhsa_system_sgpr_workgroup_id_x 1
		.amdhsa_system_sgpr_workgroup_id_y 0
		.amdhsa_system_sgpr_workgroup_id_z 0
		.amdhsa_system_sgpr_workgroup_info 0
		.amdhsa_system_vgpr_workitem_id 2
		.amdhsa_next_free_vgpr 31
		.amdhsa_next_free_sgpr 35
		.amdhsa_accum_offset 32
		.amdhsa_reserve_vcc 1
		.amdhsa_reserve_flat_scratch 0
		.amdhsa_float_round_mode_32 0
		.amdhsa_float_round_mode_16_64 0
		.amdhsa_float_denorm_mode_32 3
		.amdhsa_float_denorm_mode_16_64 3
		.amdhsa_dx10_clamp 1
		.amdhsa_ieee_mode 1
		.amdhsa_fp16_overflow 0
		.amdhsa_tg_split 0
		.amdhsa_exception_fp_ieee_invalid_op 0
		.amdhsa_exception_fp_denorm_src 0
		.amdhsa_exception_fp_ieee_div_zero 0
		.amdhsa_exception_fp_ieee_overflow 0
		.amdhsa_exception_fp_ieee_underflow 0
		.amdhsa_exception_fp_ieee_inexact 0
		.amdhsa_exception_int_div_zero 0
	.end_amdhsa_kernel
	.section	.text._Z11rank_kernelIxLj4ELb0EL18RadixRankAlgorithm2ELj256ELj4ELj10EEvPKT_Pi,"axG",@progbits,_Z11rank_kernelIxLj4ELb0EL18RadixRankAlgorithm2ELj256ELj4ELj10EEvPKT_Pi,comdat
.Lfunc_end110:
	.size	_Z11rank_kernelIxLj4ELb0EL18RadixRankAlgorithm2ELj256ELj4ELj10EEvPKT_Pi, .Lfunc_end110-_Z11rank_kernelIxLj4ELb0EL18RadixRankAlgorithm2ELj256ELj4ELj10EEvPKT_Pi
                                        ; -- End function
	.section	.AMDGPU.csdata,"",@progbits
; Kernel info:
; codeLenInByte = 1904
; NumSgprs: 39
; NumVgprs: 31
; NumAgprs: 0
; TotalNumVgprs: 31
; ScratchSize: 0
; MemoryBound: 0
; FloatMode: 240
; IeeeMode: 1
; LDSByteSize: 1040 bytes/workgroup (compile time only)
; SGPRBlocks: 4
; VGPRBlocks: 3
; NumSGPRsForWavesPerEU: 39
; NumVGPRsForWavesPerEU: 31
; AccumOffset: 32
; Occupancy: 8
; WaveLimiterHint : 0
; COMPUTE_PGM_RSRC2:SCRATCH_EN: 0
; COMPUTE_PGM_RSRC2:USER_SGPR: 6
; COMPUTE_PGM_RSRC2:TRAP_HANDLER: 0
; COMPUTE_PGM_RSRC2:TGID_X_EN: 1
; COMPUTE_PGM_RSRC2:TGID_Y_EN: 0
; COMPUTE_PGM_RSRC2:TGID_Z_EN: 0
; COMPUTE_PGM_RSRC2:TIDIG_COMP_CNT: 2
; COMPUTE_PGM_RSRC3_GFX90A:ACCUM_OFFSET: 7
; COMPUTE_PGM_RSRC3_GFX90A:TG_SPLIT: 0
	.section	.text._Z11rank_kernelIxLj4ELb0EL18RadixRankAlgorithm0ELj256ELj8ELj10EEvPKT_Pi,"axG",@progbits,_Z11rank_kernelIxLj4ELb0EL18RadixRankAlgorithm0ELj256ELj8ELj10EEvPKT_Pi,comdat
	.protected	_Z11rank_kernelIxLj4ELb0EL18RadixRankAlgorithm0ELj256ELj8ELj10EEvPKT_Pi ; -- Begin function _Z11rank_kernelIxLj4ELb0EL18RadixRankAlgorithm0ELj256ELj8ELj10EEvPKT_Pi
	.globl	_Z11rank_kernelIxLj4ELb0EL18RadixRankAlgorithm0ELj256ELj8ELj10EEvPKT_Pi
	.p2align	8
	.type	_Z11rank_kernelIxLj4ELb0EL18RadixRankAlgorithm0ELj256ELj8ELj10EEvPKT_Pi,@function
_Z11rank_kernelIxLj4ELb0EL18RadixRankAlgorithm0ELj256ELj8ELj10EEvPKT_Pi: ; @_Z11rank_kernelIxLj4ELb0EL18RadixRankAlgorithm0ELj256ELj8ELj10EEvPKT_Pi
; %bb.0:
	s_load_dwordx4 s[20:23], s[4:5], 0x0
	s_lshl_b32 s24, s6, 11
	s_mov_b32 s25, 0
	s_lshl_b64 s[0:1], s[24:25], 3
	v_lshlrev_b32_e32 v1, 6, v0
	s_waitcnt lgkmcnt(0)
	s_add_u32 s0, s20, s0
	s_addc_u32 s1, s21, s1
	global_load_dwordx4 v[2:5], v1, s[0:1]
	global_load_dwordx4 v[6:9], v1, s[0:1] offset:16
	global_load_dwordx4 v[10:13], v1, s[0:1] offset:32
	;; [unrolled: 1-line block ×3, first 2 shown]
	v_mbcnt_lo_u32_b32 v1, -1, 0
	v_mbcnt_hi_u32_b32 v20, -1, v1
	v_or_b32_e32 v21, 63, v0
	v_cmp_eq_u32_e64 s[4:5], v21, v0
	v_add_u32_e32 v21, -1, v20
	v_and_b32_e32 v27, 64, v20
	v_cmp_lt_i32_e64 s[18:19], v21, v27
	v_lshrrev_b32_e32 v24, 4, v0
	v_and_b32_e32 v25, 15, v20
	v_and_b32_e32 v26, 16, v20
	v_cmp_lt_u32_e64 s[2:3], 31, v20
	v_cmp_eq_u32_e64 s[6:7], 0, v20
	v_and_b32_e32 v28, 3, v20
	v_cndmask_b32_e64 v20, v21, v20, s[18:19]
	v_mov_b32_e32 v19, 0
	s_movk_i32 s33, 0x700
	v_lshlrev_b32_e32 v18, 3, v0
	v_lshlrev_b32_e32 v22, 5, v0
	v_cmp_gt_u32_e32 vcc, 4, v0
	v_cmp_lt_u32_e64 s[0:1], 63, v0
	v_lshlrev_b32_e32 v23, 2, v0
	v_or_b32_e32 v1, 0x100, v0
	v_and_b32_e32 v24, 12, v24
	v_cmp_eq_u32_e64 s[8:9], 0, v25
	v_cmp_lt_u32_e64 s[10:11], 1, v25
	v_cmp_lt_u32_e64 s[12:13], 3, v25
	;; [unrolled: 1-line block ×3, first 2 shown]
	v_cmp_eq_u32_e64 s[16:17], 0, v26
	v_cmp_eq_u32_e64 s[18:19], 0, v28
	v_cmp_lt_u32_e64 s[20:21], 1, v28
	v_lshlrev_b32_e32 v25, 2, v20
	s_mov_b32 s34, s25
	s_waitcnt vmcnt(3)
	v_xor_b32_e32 v3, 0x80000000, v3
	v_xor_b32_e32 v5, 0x80000000, v5
	s_waitcnt vmcnt(2)
	v_xor_b32_e32 v7, 0x80000000, v7
	v_xor_b32_e32 v9, 0x80000000, v9
	;; [unrolled: 3-line block ×4, first 2 shown]
	s_branch .LBB111_2
.LBB111_1:                              ;   in Loop: Header=BB111_2 Depth=1
	s_add_i32 s34, s34, 1
	s_cmp_eq_u32 s34, 10
	s_cbranch_scc1 .LBB111_16
.LBB111_2:                              ; =>This Loop Header: Depth=1
                                        ;     Child Loop BB111_4 Depth 2
                                        ;       Child Loop BB111_6 Depth 3
	s_mov_b32 s35, 0
	s_branch .LBB111_4
.LBB111_3:                              ;   in Loop: Header=BB111_4 Depth=2
	s_or_b64 exec, exec, s[26:27]
	s_waitcnt lgkmcnt(0)
	v_add_u32_e32 v40, v41, v40
	ds_bpermute_b32 v40, v25, v40
	ds_read_b32 v42, v19 offset:8204
	s_add_i32 s26, s35, 4
	s_cmp_lt_u32 s35, 60
	s_mov_b32 s35, s26
	s_waitcnt lgkmcnt(1)
	v_cndmask_b32_e64 v43, v40, v41, s[6:7]
	ds_read2_b32 v[40:41], v22 offset1:1
	s_waitcnt lgkmcnt(1)
	v_lshl_add_u32 v46, v42, 16, v43
	ds_read2_b32 v[42:43], v22 offset0:2 offset1:3
	ds_read2_b32 v[44:45], v22 offset0:4 offset1:5
	ds_read_b32 v47, v22 offset:24
	s_waitcnt lgkmcnt(3)
	v_add_u32_e32 v40, v46, v40
	ds_write2_b32 v22, v46, v40 offset1:1
	v_add_u32_e32 v40, v41, v40
	s_waitcnt lgkmcnt(3)
	v_add_u32_e32 v41, v42, v40
	ds_write2_b32 v22, v40, v41 offset0:2 offset1:3
	v_add_u32_e32 v40, v43, v41
	s_waitcnt lgkmcnt(3)
	v_add_u32_e32 v41, v44, v40
	ds_write2_b32 v22, v40, v41 offset0:4 offset1:5
	;; [unrolled: 4-line block ×3, first 2 shown]
	s_waitcnt lgkmcnt(0)
	s_barrier
	s_cbranch_scc0 .LBB111_1
.LBB111_4:                              ;   Parent Loop BB111_2 Depth=1
                                        ; =>  This Loop Header: Depth=2
                                        ;       Child Loop BB111_6 Depth 3
	s_mov_b32 s36, 0
	s_mov_b64 s[26:27], 0
	v_pk_mov_b32 v[20:21], v[0:1], v[0:1] op_sel:[0,1]
	s_branch .LBB111_6
.LBB111_5:                              ;   in Loop: Header=BB111_6 Depth=3
	s_or_b64 exec, exec, s[30:31]
	s_add_i32 s36, s36, 2
	v_cmp_eq_u32_e64 s[28:29], 8, s36
	v_add_u32_e32 v21, 0x200, v21
	s_or_b64 s[26:27], s[28:29], s[26:27]
	v_add_u32_e32 v20, 0x200, v20
	s_andn2_b64 exec, exec, s[26:27]
	s_cbranch_execz .LBB111_10
.LBB111_6:                              ;   Parent Loop BB111_2 Depth=1
                                        ;     Parent Loop BB111_4 Depth=2
                                        ; =>    This Inner Loop Header: Depth=3
	s_or_b32 s28, s36, 1
	v_cmp_le_u32_e64 s[28:29], s28, 7
	v_cmp_le_u32_e64 s[38:39], s36, 7
	s_and_saveexec_b64 s[30:31], s[38:39]
	s_cbranch_execz .LBB111_8
; %bb.7:                                ;   in Loop: Header=BB111_6 Depth=3
	v_lshlrev_b32_e32 v26, 2, v20
	ds_write_b32 v26, v19
.LBB111_8:                              ;   in Loop: Header=BB111_6 Depth=3
	s_or_b64 exec, exec, s[30:31]
	s_and_saveexec_b64 s[30:31], s[28:29]
	s_cbranch_execz .LBB111_5
; %bb.9:                                ;   in Loop: Header=BB111_6 Depth=3
	v_lshlrev_b32_e32 v26, 2, v21
	ds_write_b32 v26, v19
	s_branch .LBB111_5
.LBB111_10:                             ;   in Loop: Header=BB111_4 Depth=2
	s_or_b64 exec, exec, s[26:27]
	s_sub_i32 s26, 60, s35
	v_lshlrev_b64 v[20:21], s26, v[2:3]
	v_lshrrev_b32_e32 v20, 20, v21
	v_lshrrev_b32_e32 v21, 30, v21
	v_and_or_b32 v20, v20, s33, v0
	v_and_b32_e32 v21, 2, v21
	v_lshl_or_b32 v21, v20, 2, v21
	ds_read_u16 v20, v21
	v_lshlrev_b64 v[26:27], s26, v[4:5]
	v_lshrrev_b32_e32 v26, 20, v27
	v_lshrrev_b32_e32 v27, 30, v27
	v_and_or_b32 v26, v26, s33, v0
	s_waitcnt lgkmcnt(0)
	v_add_u16_e32 v28, 1, v20
	v_and_b32_e32 v27, 2, v27
	ds_write_b16 v21, v28
	v_lshl_or_b32 v27, v26, 2, v27
	ds_read_u16 v26, v27
	v_lshlrev_b64 v[34:35], s26, v[10:11]
	v_lshrrev_b32_e32 v33, 30, v35
	v_and_b32_e32 v33, 2, v33
	s_waitcnt lgkmcnt(0)
	v_add_u16_e32 v28, 1, v26
	ds_write_b16 v27, v28
	v_lshlrev_b64 v[28:29], s26, v[6:7]
	v_lshrrev_b32_e32 v28, 20, v29
	v_lshrrev_b32_e32 v29, 30, v29
	v_and_or_b32 v28, v28, s33, v0
	v_and_b32_e32 v29, 2, v29
	v_lshl_or_b32 v29, v28, 2, v29
	ds_read_u16 v28, v29
	s_waitcnt lgkmcnt(0)
	v_add_u16_e32 v30, 1, v28
	ds_write_b16 v29, v30
	v_lshlrev_b64 v[30:31], s26, v[8:9]
	v_lshrrev_b32_e32 v30, 20, v31
	v_lshrrev_b32_e32 v31, 30, v31
	v_and_or_b32 v30, v30, s33, v0
	v_and_b32_e32 v31, 2, v31
	v_lshl_or_b32 v32, v30, 2, v31
	ds_read_u16 v30, v32
	s_waitcnt lgkmcnt(0)
	v_add_u16_e32 v31, 1, v30
	ds_write_b16 v32, v31
	v_lshrrev_b32_e32 v31, 20, v35
	v_and_or_b32 v31, v31, s33, v0
	v_lshl_or_b32 v33, v31, 2, v33
	ds_read_u16 v31, v33
	s_waitcnt lgkmcnt(0)
	v_add_u16_e32 v34, 1, v31
	ds_write_b16 v33, v34
	v_lshlrev_b64 v[34:35], s26, v[12:13]
	v_lshrrev_b32_e32 v34, 20, v35
	v_lshrrev_b32_e32 v35, 30, v35
	v_and_or_b32 v34, v34, s33, v0
	v_and_b32_e32 v35, 2, v35
	v_lshl_or_b32 v35, v34, 2, v35
	ds_read_u16 v34, v35
	s_waitcnt lgkmcnt(0)
	v_add_u16_e32 v36, 1, v34
	ds_write_b16 v35, v36
	v_lshlrev_b64 v[36:37], s26, v[14:15]
	v_lshrrev_b32_e32 v36, 20, v37
	v_lshrrev_b32_e32 v37, 30, v37
	v_and_or_b32 v36, v36, s33, v0
	v_and_b32_e32 v37, 2, v37
	;; [unrolled: 10-line block ×3, first 2 shown]
	v_lshl_or_b32 v39, v38, 2, v39
	ds_read_u16 v38, v39
	s_waitcnt lgkmcnt(0)
	v_add_u16_e32 v40, 1, v38
	ds_write_b16 v39, v40
	s_waitcnt lgkmcnt(0)
	s_barrier
	ds_read2_b32 v[40:41], v22 offset1:1
	ds_read2_b32 v[42:43], v22 offset0:2 offset1:3
	ds_read2_b32 v[44:45], v22 offset0:4 offset1:5
	;; [unrolled: 1-line block ×3, first 2 shown]
	s_waitcnt lgkmcnt(3)
	v_add_u32_e32 v40, v41, v40
	s_waitcnt lgkmcnt(2)
	v_add3_u32 v40, v40, v42, v43
	s_waitcnt lgkmcnt(1)
	v_add3_u32 v40, v40, v44, v45
	;; [unrolled: 2-line block ×3, first 2 shown]
	s_nop 1
	v_mov_b32_dpp v41, v40 row_shr:1 row_mask:0xf bank_mask:0xf
	v_cndmask_b32_e64 v41, v41, 0, s[8:9]
	v_add_u32_e32 v40, v41, v40
	s_nop 1
	v_mov_b32_dpp v41, v40 row_shr:2 row_mask:0xf bank_mask:0xf
	v_cndmask_b32_e64 v41, 0, v41, s[10:11]
	v_add_u32_e32 v40, v40, v41
	;; [unrolled: 4-line block ×4, first 2 shown]
	s_nop 1
	v_mov_b32_dpp v41, v40 row_bcast:15 row_mask:0xf bank_mask:0xf
	v_cndmask_b32_e64 v41, v41, 0, s[16:17]
	v_add_u32_e32 v40, v40, v41
	s_nop 1
	v_mov_b32_dpp v41, v40 row_bcast:31 row_mask:0xf bank_mask:0xf
	v_cndmask_b32_e64 v41, 0, v41, s[2:3]
	v_add_u32_e32 v40, v40, v41
	s_and_saveexec_b64 s[26:27], s[4:5]
	s_cbranch_execz .LBB111_12
; %bb.11:                               ;   in Loop: Header=BB111_4 Depth=2
	ds_write_b32 v24, v40 offset:8192
.LBB111_12:                             ;   in Loop: Header=BB111_4 Depth=2
	s_or_b64 exec, exec, s[26:27]
	s_waitcnt lgkmcnt(0)
	s_barrier
	s_and_saveexec_b64 s[26:27], vcc
	s_cbranch_execz .LBB111_14
; %bb.13:                               ;   in Loop: Header=BB111_4 Depth=2
	ds_read_b32 v41, v23 offset:8192
	s_waitcnt lgkmcnt(0)
	s_nop 0
	v_mov_b32_dpp v42, v41 row_shr:1 row_mask:0xf bank_mask:0xf
	v_cndmask_b32_e64 v42, v42, 0, s[18:19]
	v_add_u32_e32 v41, v42, v41
	s_nop 1
	v_mov_b32_dpp v42, v41 row_shr:2 row_mask:0xf bank_mask:0xf
	v_cndmask_b32_e64 v42, 0, v42, s[20:21]
	v_add_u32_e32 v41, v41, v42
	ds_write_b32 v23, v41 offset:8192
.LBB111_14:                             ;   in Loop: Header=BB111_4 Depth=2
	s_or_b64 exec, exec, s[26:27]
	v_mov_b32_e32 v41, 0
	s_waitcnt lgkmcnt(0)
	s_barrier
	s_and_saveexec_b64 s[26:27], s[0:1]
	s_cbranch_execz .LBB111_3
; %bb.15:                               ;   in Loop: Header=BB111_4 Depth=2
	ds_read_b32 v41, v24 offset:8188
	s_branch .LBB111_3
.LBB111_16:
	ds_read_u16 v3, v32
	ds_read_u16 v2, v29
	;; [unrolled: 1-line block ×8, first 2 shown]
	s_lshl_b64 s[0:1], s[24:25], 2
	s_add_u32 s0, s22, s0
	s_waitcnt lgkmcnt(4)
	v_add_u32_sdwa v0, v0, v20 dst_sel:DWORD dst_unused:UNUSED_PAD src0_sel:DWORD src1_sel:WORD_0
	v_add_u32_sdwa v1, v1, v26 dst_sel:DWORD dst_unused:UNUSED_PAD src0_sel:DWORD src1_sel:WORD_0
	;; [unrolled: 1-line block ×4, first 2 shown]
	s_addc_u32 s1, s23, s1
	v_lshlrev_b32_e32 v8, 2, v18
	s_waitcnt lgkmcnt(0)
	v_add_u32_sdwa v4, v4, v31 dst_sel:DWORD dst_unused:UNUSED_PAD src0_sel:DWORD src1_sel:WORD_0
	v_add_u32_sdwa v5, v5, v34 dst_sel:DWORD dst_unused:UNUSED_PAD src0_sel:DWORD src1_sel:WORD_0
	;; [unrolled: 1-line block ×4, first 2 shown]
	global_store_dwordx4 v8, v[0:3], s[0:1]
	global_store_dwordx4 v8, v[4:7], s[0:1] offset:16
	s_endpgm
	.section	.rodata,"a",@progbits
	.p2align	6, 0x0
	.amdhsa_kernel _Z11rank_kernelIxLj4ELb0EL18RadixRankAlgorithm0ELj256ELj8ELj10EEvPKT_Pi
		.amdhsa_group_segment_fixed_size 8208
		.amdhsa_private_segment_fixed_size 0
		.amdhsa_kernarg_size 16
		.amdhsa_user_sgpr_count 6
		.amdhsa_user_sgpr_private_segment_buffer 1
		.amdhsa_user_sgpr_dispatch_ptr 0
		.amdhsa_user_sgpr_queue_ptr 0
		.amdhsa_user_sgpr_kernarg_segment_ptr 1
		.amdhsa_user_sgpr_dispatch_id 0
		.amdhsa_user_sgpr_flat_scratch_init 0
		.amdhsa_user_sgpr_kernarg_preload_length 0
		.amdhsa_user_sgpr_kernarg_preload_offset 0
		.amdhsa_user_sgpr_private_segment_size 0
		.amdhsa_uses_dynamic_stack 0
		.amdhsa_system_sgpr_private_segment_wavefront_offset 0
		.amdhsa_system_sgpr_workgroup_id_x 1
		.amdhsa_system_sgpr_workgroup_id_y 0
		.amdhsa_system_sgpr_workgroup_id_z 0
		.amdhsa_system_sgpr_workgroup_info 0
		.amdhsa_system_vgpr_workitem_id 0
		.amdhsa_next_free_vgpr 48
		.amdhsa_next_free_sgpr 40
		.amdhsa_accum_offset 48
		.amdhsa_reserve_vcc 1
		.amdhsa_reserve_flat_scratch 0
		.amdhsa_float_round_mode_32 0
		.amdhsa_float_round_mode_16_64 0
		.amdhsa_float_denorm_mode_32 3
		.amdhsa_float_denorm_mode_16_64 3
		.amdhsa_dx10_clamp 1
		.amdhsa_ieee_mode 1
		.amdhsa_fp16_overflow 0
		.amdhsa_tg_split 0
		.amdhsa_exception_fp_ieee_invalid_op 0
		.amdhsa_exception_fp_denorm_src 0
		.amdhsa_exception_fp_ieee_div_zero 0
		.amdhsa_exception_fp_ieee_overflow 0
		.amdhsa_exception_fp_ieee_underflow 0
		.amdhsa_exception_fp_ieee_inexact 0
		.amdhsa_exception_int_div_zero 0
	.end_amdhsa_kernel
	.section	.text._Z11rank_kernelIxLj4ELb0EL18RadixRankAlgorithm0ELj256ELj8ELj10EEvPKT_Pi,"axG",@progbits,_Z11rank_kernelIxLj4ELb0EL18RadixRankAlgorithm0ELj256ELj8ELj10EEvPKT_Pi,comdat
.Lfunc_end111:
	.size	_Z11rank_kernelIxLj4ELb0EL18RadixRankAlgorithm0ELj256ELj8ELj10EEvPKT_Pi, .Lfunc_end111-_Z11rank_kernelIxLj4ELb0EL18RadixRankAlgorithm0ELj256ELj8ELj10EEvPKT_Pi
                                        ; -- End function
	.section	.AMDGPU.csdata,"",@progbits
; Kernel info:
; codeLenInByte = 1708
; NumSgprs: 44
; NumVgprs: 48
; NumAgprs: 0
; TotalNumVgprs: 48
; ScratchSize: 0
; MemoryBound: 0
; FloatMode: 240
; IeeeMode: 1
; LDSByteSize: 8208 bytes/workgroup (compile time only)
; SGPRBlocks: 5
; VGPRBlocks: 5
; NumSGPRsForWavesPerEU: 44
; NumVGPRsForWavesPerEU: 48
; AccumOffset: 48
; Occupancy: 7
; WaveLimiterHint : 0
; COMPUTE_PGM_RSRC2:SCRATCH_EN: 0
; COMPUTE_PGM_RSRC2:USER_SGPR: 6
; COMPUTE_PGM_RSRC2:TRAP_HANDLER: 0
; COMPUTE_PGM_RSRC2:TGID_X_EN: 1
; COMPUTE_PGM_RSRC2:TGID_Y_EN: 0
; COMPUTE_PGM_RSRC2:TGID_Z_EN: 0
; COMPUTE_PGM_RSRC2:TIDIG_COMP_CNT: 0
; COMPUTE_PGM_RSRC3_GFX90A:ACCUM_OFFSET: 11
; COMPUTE_PGM_RSRC3_GFX90A:TG_SPLIT: 0
	.section	.text._Z11rank_kernelIxLj4ELb0EL18RadixRankAlgorithm1ELj256ELj8ELj10EEvPKT_Pi,"axG",@progbits,_Z11rank_kernelIxLj4ELb0EL18RadixRankAlgorithm1ELj256ELj8ELj10EEvPKT_Pi,comdat
	.protected	_Z11rank_kernelIxLj4ELb0EL18RadixRankAlgorithm1ELj256ELj8ELj10EEvPKT_Pi ; -- Begin function _Z11rank_kernelIxLj4ELb0EL18RadixRankAlgorithm1ELj256ELj8ELj10EEvPKT_Pi
	.globl	_Z11rank_kernelIxLj4ELb0EL18RadixRankAlgorithm1ELj256ELj8ELj10EEvPKT_Pi
	.p2align	8
	.type	_Z11rank_kernelIxLj4ELb0EL18RadixRankAlgorithm1ELj256ELj8ELj10EEvPKT_Pi,@function
_Z11rank_kernelIxLj4ELb0EL18RadixRankAlgorithm1ELj256ELj8ELj10EEvPKT_Pi: ; @_Z11rank_kernelIxLj4ELb0EL18RadixRankAlgorithm1ELj256ELj8ELj10EEvPKT_Pi
; %bb.0:
	s_load_dwordx4 s[20:23], s[4:5], 0x0
	s_lshl_b32 s24, s6, 11
	s_mov_b32 s25, 0
	s_lshl_b64 s[0:1], s[24:25], 3
	v_lshlrev_b32_e32 v1, 6, v0
	s_waitcnt lgkmcnt(0)
	s_add_u32 s0, s20, s0
	s_addc_u32 s1, s21, s1
	global_load_dwordx4 v[2:5], v1, s[0:1]
	global_load_dwordx4 v[6:9], v1, s[0:1] offset:16
	global_load_dwordx4 v[10:13], v1, s[0:1] offset:32
	global_load_dwordx4 v[14:17], v1, s[0:1] offset:48
	v_mbcnt_lo_u32_b32 v1, -1, 0
	v_mbcnt_hi_u32_b32 v20, -1, v1
	v_or_b32_e32 v21, 63, v0
	v_cmp_eq_u32_e64 s[4:5], v21, v0
	v_add_u32_e32 v21, -1, v20
	v_and_b32_e32 v25, 64, v20
	v_lshrrev_b32_e32 v22, 4, v0
	v_cmp_lt_i32_e64 s[18:19], v21, v25
	v_and_b32_e32 v23, 15, v20
	v_and_b32_e32 v24, 16, v20
	v_cmp_lt_u32_e64 s[2:3], 31, v20
	v_cmp_eq_u32_e64 s[6:7], 0, v20
	v_and_b32_e32 v30, 12, v22
	v_and_b32_e32 v22, 3, v20
	v_cndmask_b32_e64 v20, v21, v20, s[18:19]
	v_mov_b32_e32 v19, 0
	s_movk_i32 s33, 0x700
	v_lshlrev_b32_e32 v18, 3, v0
	v_lshlrev_b32_e32 v28, 5, v0
	v_cmp_gt_u32_e32 vcc, 4, v0
	v_cmp_lt_u32_e64 s[0:1], 63, v0
	v_lshlrev_b32_e32 v29, 2, v0
	v_or_b32_e32 v1, 0x100, v0
	v_cmp_eq_u32_e64 s[8:9], 0, v23
	v_cmp_lt_u32_e64 s[10:11], 1, v23
	v_cmp_lt_u32_e64 s[12:13], 3, v23
	;; [unrolled: 1-line block ×3, first 2 shown]
	v_cmp_eq_u32_e64 s[16:17], 0, v24
	v_cmp_eq_u32_e64 s[18:19], 0, v22
	v_cmp_lt_u32_e64 s[20:21], 1, v22
	v_lshlrev_b32_e32 v31, 2, v20
	s_mov_b32 s34, s25
	s_waitcnt vmcnt(3)
	v_xor_b32_e32 v3, 0x80000000, v3
	v_xor_b32_e32 v5, 0x80000000, v5
	s_waitcnt vmcnt(2)
	v_xor_b32_e32 v7, 0x80000000, v7
	v_xor_b32_e32 v9, 0x80000000, v9
	;; [unrolled: 3-line block ×4, first 2 shown]
	s_branch .LBB112_2
.LBB112_1:                              ;   in Loop: Header=BB112_2 Depth=1
	s_add_i32 s34, s34, 1
	s_cmp_eq_u32 s34, 10
	s_cbranch_scc1 .LBB112_16
.LBB112_2:                              ; =>This Loop Header: Depth=1
                                        ;     Child Loop BB112_4 Depth 2
                                        ;       Child Loop BB112_6 Depth 3
	s_mov_b32 s35, 0
	s_branch .LBB112_4
.LBB112_3:                              ;   in Loop: Header=BB112_4 Depth=2
	s_or_b64 exec, exec, s[26:27]
	s_waitcnt lgkmcnt(0)
	v_add_u32_e32 v21, v48, v21
	ds_bpermute_b32 v21, v31, v21
	ds_read_b32 v49, v19 offset:8204
	s_add_i32 s26, s35, 4
	s_cmp_lt_u32 s35, 60
	s_mov_b32 s35, s26
	s_waitcnt lgkmcnt(1)
	v_cndmask_b32_e64 v21, v21, v48, s[6:7]
	s_waitcnt lgkmcnt(0)
	v_lshl_add_u32 v21, v49, 16, v21
	v_add_u32_e32 v26, v21, v26
	v_add_u32_e32 v27, v26, v27
	ds_write2_b32 v28, v21, v26 offset1:1
	v_add_u32_e32 v21, v27, v24
	v_add_u32_e32 v24, v21, v25
	ds_write2_b32 v28, v27, v21 offset0:2 offset1:3
	v_add_u32_e32 v21, v24, v22
	v_add_u32_e32 v22, v21, v23
	;; [unrolled: 1-line block ×3, first 2 shown]
	ds_write2_b32 v28, v24, v21 offset0:4 offset1:5
	ds_write2_b32 v28, v22, v20 offset0:6 offset1:7
	s_waitcnt lgkmcnt(0)
	s_barrier
	s_cbranch_scc0 .LBB112_1
.LBB112_4:                              ;   Parent Loop BB112_2 Depth=1
                                        ; =>  This Loop Header: Depth=2
                                        ;       Child Loop BB112_6 Depth 3
	s_mov_b32 s36, 0
	s_mov_b64 s[26:27], 0
	v_pk_mov_b32 v[20:21], v[0:1], v[0:1] op_sel:[0,1]
	s_branch .LBB112_6
.LBB112_5:                              ;   in Loop: Header=BB112_6 Depth=3
	s_or_b64 exec, exec, s[30:31]
	s_add_i32 s36, s36, 2
	v_cmp_eq_u32_e64 s[28:29], 8, s36
	v_add_u32_e32 v21, 0x200, v21
	s_or_b64 s[26:27], s[28:29], s[26:27]
	v_add_u32_e32 v20, 0x200, v20
	s_andn2_b64 exec, exec, s[26:27]
	s_cbranch_execz .LBB112_10
.LBB112_6:                              ;   Parent Loop BB112_2 Depth=1
                                        ;     Parent Loop BB112_4 Depth=2
                                        ; =>    This Inner Loop Header: Depth=3
	s_or_b32 s28, s36, 1
	v_cmp_le_u32_e64 s[28:29], s28, 7
	v_cmp_le_u32_e64 s[38:39], s36, 7
	s_and_saveexec_b64 s[30:31], s[38:39]
	s_cbranch_execz .LBB112_8
; %bb.7:                                ;   in Loop: Header=BB112_6 Depth=3
	v_lshlrev_b32_e32 v22, 2, v20
	ds_write_b32 v22, v19
.LBB112_8:                              ;   in Loop: Header=BB112_6 Depth=3
	s_or_b64 exec, exec, s[30:31]
	s_and_saveexec_b64 s[30:31], s[28:29]
	s_cbranch_execz .LBB112_5
; %bb.9:                                ;   in Loop: Header=BB112_6 Depth=3
	v_lshlrev_b32_e32 v22, 2, v21
	ds_write_b32 v22, v19
	s_branch .LBB112_5
.LBB112_10:                             ;   in Loop: Header=BB112_4 Depth=2
	s_or_b64 exec, exec, s[26:27]
	s_sub_i32 s26, 60, s35
	v_lshlrev_b64 v[20:21], s26, v[2:3]
	v_lshrrev_b32_e32 v20, 20, v21
	v_lshrrev_b32_e32 v21, 30, v21
	v_and_or_b32 v20, v20, s33, v0
	v_and_b32_e32 v21, 2, v21
	v_lshl_or_b32 v33, v20, 2, v21
	ds_read_u16 v32, v33
	v_lshlrev_b64 v[20:21], s26, v[4:5]
	v_lshrrev_b32_e32 v20, 20, v21
	v_lshrrev_b32_e32 v21, 30, v21
	v_and_or_b32 v20, v20, s33, v0
	s_waitcnt lgkmcnt(0)
	v_add_u16_e32 v22, 1, v32
	v_and_b32_e32 v21, 2, v21
	ds_write_b16 v33, v22
	v_lshl_or_b32 v35, v20, 2, v21
	ds_read_u16 v34, v35
	s_waitcnt lgkmcnt(0)
	v_add_u16_e32 v20, 1, v34
	ds_write_b16 v35, v20
	v_lshlrev_b64 v[20:21], s26, v[6:7]
	v_lshrrev_b32_e32 v20, 20, v21
	v_lshrrev_b32_e32 v21, 30, v21
	v_and_or_b32 v20, v20, s33, v0
	v_and_b32_e32 v21, 2, v21
	v_lshl_or_b32 v37, v20, 2, v21
	ds_read_u16 v36, v37
	s_waitcnt lgkmcnt(0)
	v_add_u16_e32 v20, 1, v36
	ds_write_b16 v37, v20
	v_lshlrev_b64 v[20:21], s26, v[8:9]
	v_lshrrev_b32_e32 v20, 20, v21
	v_lshrrev_b32_e32 v21, 30, v21
	v_and_or_b32 v20, v20, s33, v0
	v_and_b32_e32 v21, 2, v21
	;; [unrolled: 10-line block ×6, first 2 shown]
	v_lshl_or_b32 v47, v20, 2, v21
	ds_read_u16 v46, v47
	s_waitcnt lgkmcnt(0)
	v_add_u16_e32 v20, 1, v46
	ds_write_b16 v47, v20
	s_waitcnt lgkmcnt(0)
	s_barrier
	ds_read2_b32 v[26:27], v28 offset1:1
	ds_read2_b32 v[24:25], v28 offset0:2 offset1:3
	ds_read2_b32 v[22:23], v28 offset0:4 offset1:5
	;; [unrolled: 1-line block ×3, first 2 shown]
	s_waitcnt lgkmcnt(3)
	v_add_u32_e32 v48, v27, v26
	s_waitcnt lgkmcnt(2)
	v_add3_u32 v48, v48, v24, v25
	s_waitcnt lgkmcnt(1)
	v_add3_u32 v48, v48, v22, v23
	;; [unrolled: 2-line block ×3, first 2 shown]
	s_nop 1
	v_mov_b32_dpp v48, v21 row_shr:1 row_mask:0xf bank_mask:0xf
	v_cndmask_b32_e64 v48, v48, 0, s[8:9]
	v_add_u32_e32 v21, v48, v21
	s_nop 1
	v_mov_b32_dpp v48, v21 row_shr:2 row_mask:0xf bank_mask:0xf
	v_cndmask_b32_e64 v48, 0, v48, s[10:11]
	v_add_u32_e32 v21, v21, v48
	;; [unrolled: 4-line block ×4, first 2 shown]
	s_nop 1
	v_mov_b32_dpp v48, v21 row_bcast:15 row_mask:0xf bank_mask:0xf
	v_cndmask_b32_e64 v48, v48, 0, s[16:17]
	v_add_u32_e32 v21, v21, v48
	s_nop 1
	v_mov_b32_dpp v48, v21 row_bcast:31 row_mask:0xf bank_mask:0xf
	v_cndmask_b32_e64 v48, 0, v48, s[2:3]
	v_add_u32_e32 v21, v21, v48
	s_and_saveexec_b64 s[26:27], s[4:5]
	s_cbranch_execz .LBB112_12
; %bb.11:                               ;   in Loop: Header=BB112_4 Depth=2
	ds_write_b32 v30, v21 offset:8192
.LBB112_12:                             ;   in Loop: Header=BB112_4 Depth=2
	s_or_b64 exec, exec, s[26:27]
	s_waitcnt lgkmcnt(0)
	s_barrier
	s_and_saveexec_b64 s[26:27], vcc
	s_cbranch_execz .LBB112_14
; %bb.13:                               ;   in Loop: Header=BB112_4 Depth=2
	ds_read_b32 v48, v29 offset:8192
	s_waitcnt lgkmcnt(0)
	s_nop 0
	v_mov_b32_dpp v49, v48 row_shr:1 row_mask:0xf bank_mask:0xf
	v_cndmask_b32_e64 v49, v49, 0, s[18:19]
	v_add_u32_e32 v48, v49, v48
	s_nop 1
	v_mov_b32_dpp v49, v48 row_shr:2 row_mask:0xf bank_mask:0xf
	v_cndmask_b32_e64 v49, 0, v49, s[20:21]
	v_add_u32_e32 v48, v48, v49
	ds_write_b32 v29, v48 offset:8192
.LBB112_14:                             ;   in Loop: Header=BB112_4 Depth=2
	s_or_b64 exec, exec, s[26:27]
	v_mov_b32_e32 v48, 0
	s_waitcnt lgkmcnt(0)
	s_barrier
	s_and_saveexec_b64 s[26:27], s[0:1]
	s_cbranch_execz .LBB112_3
; %bb.15:                               ;   in Loop: Header=BB112_4 Depth=2
	ds_read_b32 v48, v30 offset:8188
	s_branch .LBB112_3
.LBB112_16:
	ds_read_u16 v3, v40
	ds_read_u16 v2, v37
	;; [unrolled: 1-line block ×8, first 2 shown]
	s_lshl_b64 s[0:1], s[24:25], 2
	s_add_u32 s0, s22, s0
	s_waitcnt lgkmcnt(4)
	v_add_u32_sdwa v0, v0, v32 dst_sel:DWORD dst_unused:UNUSED_PAD src0_sel:DWORD src1_sel:WORD_0
	v_add_u32_sdwa v1, v1, v34 dst_sel:DWORD dst_unused:UNUSED_PAD src0_sel:DWORD src1_sel:WORD_0
	;; [unrolled: 1-line block ×4, first 2 shown]
	s_addc_u32 s1, s23, s1
	v_lshlrev_b32_e32 v8, 2, v18
	s_waitcnt lgkmcnt(0)
	v_add_u32_sdwa v4, v4, v39 dst_sel:DWORD dst_unused:UNUSED_PAD src0_sel:DWORD src1_sel:WORD_0
	v_add_u32_sdwa v5, v5, v42 dst_sel:DWORD dst_unused:UNUSED_PAD src0_sel:DWORD src1_sel:WORD_0
	v_add_u32_sdwa v6, v6, v44 dst_sel:DWORD dst_unused:UNUSED_PAD src0_sel:DWORD src1_sel:WORD_0
	v_add_u32_sdwa v7, v7, v46 dst_sel:DWORD dst_unused:UNUSED_PAD src0_sel:DWORD src1_sel:WORD_0
	global_store_dwordx4 v8, v[0:3], s[0:1]
	global_store_dwordx4 v8, v[4:7], s[0:1] offset:16
	s_endpgm
	.section	.rodata,"a",@progbits
	.p2align	6, 0x0
	.amdhsa_kernel _Z11rank_kernelIxLj4ELb0EL18RadixRankAlgorithm1ELj256ELj8ELj10EEvPKT_Pi
		.amdhsa_group_segment_fixed_size 8208
		.amdhsa_private_segment_fixed_size 0
		.amdhsa_kernarg_size 16
		.amdhsa_user_sgpr_count 6
		.amdhsa_user_sgpr_private_segment_buffer 1
		.amdhsa_user_sgpr_dispatch_ptr 0
		.amdhsa_user_sgpr_queue_ptr 0
		.amdhsa_user_sgpr_kernarg_segment_ptr 1
		.amdhsa_user_sgpr_dispatch_id 0
		.amdhsa_user_sgpr_flat_scratch_init 0
		.amdhsa_user_sgpr_kernarg_preload_length 0
		.amdhsa_user_sgpr_kernarg_preload_offset 0
		.amdhsa_user_sgpr_private_segment_size 0
		.amdhsa_uses_dynamic_stack 0
		.amdhsa_system_sgpr_private_segment_wavefront_offset 0
		.amdhsa_system_sgpr_workgroup_id_x 1
		.amdhsa_system_sgpr_workgroup_id_y 0
		.amdhsa_system_sgpr_workgroup_id_z 0
		.amdhsa_system_sgpr_workgroup_info 0
		.amdhsa_system_vgpr_workitem_id 0
		.amdhsa_next_free_vgpr 50
		.amdhsa_next_free_sgpr 40
		.amdhsa_accum_offset 52
		.amdhsa_reserve_vcc 1
		.amdhsa_reserve_flat_scratch 0
		.amdhsa_float_round_mode_32 0
		.amdhsa_float_round_mode_16_64 0
		.amdhsa_float_denorm_mode_32 3
		.amdhsa_float_denorm_mode_16_64 3
		.amdhsa_dx10_clamp 1
		.amdhsa_ieee_mode 1
		.amdhsa_fp16_overflow 0
		.amdhsa_tg_split 0
		.amdhsa_exception_fp_ieee_invalid_op 0
		.amdhsa_exception_fp_denorm_src 0
		.amdhsa_exception_fp_ieee_div_zero 0
		.amdhsa_exception_fp_ieee_overflow 0
		.amdhsa_exception_fp_ieee_underflow 0
		.amdhsa_exception_fp_ieee_inexact 0
		.amdhsa_exception_int_div_zero 0
	.end_amdhsa_kernel
	.section	.text._Z11rank_kernelIxLj4ELb0EL18RadixRankAlgorithm1ELj256ELj8ELj10EEvPKT_Pi,"axG",@progbits,_Z11rank_kernelIxLj4ELb0EL18RadixRankAlgorithm1ELj256ELj8ELj10EEvPKT_Pi,comdat
.Lfunc_end112:
	.size	_Z11rank_kernelIxLj4ELb0EL18RadixRankAlgorithm1ELj256ELj8ELj10EEvPKT_Pi, .Lfunc_end112-_Z11rank_kernelIxLj4ELb0EL18RadixRankAlgorithm1ELj256ELj8ELj10EEvPKT_Pi
                                        ; -- End function
	.section	.AMDGPU.csdata,"",@progbits
; Kernel info:
; codeLenInByte = 1660
; NumSgprs: 44
; NumVgprs: 50
; NumAgprs: 0
; TotalNumVgprs: 50
; ScratchSize: 0
; MemoryBound: 0
; FloatMode: 240
; IeeeMode: 1
; LDSByteSize: 8208 bytes/workgroup (compile time only)
; SGPRBlocks: 5
; VGPRBlocks: 6
; NumSGPRsForWavesPerEU: 44
; NumVGPRsForWavesPerEU: 50
; AccumOffset: 52
; Occupancy: 7
; WaveLimiterHint : 0
; COMPUTE_PGM_RSRC2:SCRATCH_EN: 0
; COMPUTE_PGM_RSRC2:USER_SGPR: 6
; COMPUTE_PGM_RSRC2:TRAP_HANDLER: 0
; COMPUTE_PGM_RSRC2:TGID_X_EN: 1
; COMPUTE_PGM_RSRC2:TGID_Y_EN: 0
; COMPUTE_PGM_RSRC2:TGID_Z_EN: 0
; COMPUTE_PGM_RSRC2:TIDIG_COMP_CNT: 0
; COMPUTE_PGM_RSRC3_GFX90A:ACCUM_OFFSET: 12
; COMPUTE_PGM_RSRC3_GFX90A:TG_SPLIT: 0
	.section	.text._Z11rank_kernelIxLj4ELb0EL18RadixRankAlgorithm2ELj256ELj8ELj10EEvPKT_Pi,"axG",@progbits,_Z11rank_kernelIxLj4ELb0EL18RadixRankAlgorithm2ELj256ELj8ELj10EEvPKT_Pi,comdat
	.protected	_Z11rank_kernelIxLj4ELb0EL18RadixRankAlgorithm2ELj256ELj8ELj10EEvPKT_Pi ; -- Begin function _Z11rank_kernelIxLj4ELb0EL18RadixRankAlgorithm2ELj256ELj8ELj10EEvPKT_Pi
	.globl	_Z11rank_kernelIxLj4ELb0EL18RadixRankAlgorithm2ELj256ELj8ELj10EEvPKT_Pi
	.p2align	8
	.type	_Z11rank_kernelIxLj4ELb0EL18RadixRankAlgorithm2ELj256ELj8ELj10EEvPKT_Pi,@function
_Z11rank_kernelIxLj4ELb0EL18RadixRankAlgorithm2ELj256ELj8ELj10EEvPKT_Pi: ; @_Z11rank_kernelIxLj4ELb0EL18RadixRankAlgorithm2ELj256ELj8ELj10EEvPKT_Pi
; %bb.0:
	s_load_dwordx4 s[24:27], s[4:5], 0x0
	s_load_dword s22, s[4:5], 0x1c
	s_lshl_b32 s28, s6, 11
	s_mov_b32 s29, 0
	s_lshl_b64 s[0:1], s[28:29], 3
	s_waitcnt lgkmcnt(0)
	s_add_u32 s0, s24, s0
	v_and_b32_e32 v20, 0x3ff, v0
	s_addc_u32 s1, s25, s1
	v_lshlrev_b32_e32 v1, 6, v20
	global_load_dwordx4 v[2:5], v1, s[0:1]
	global_load_dwordx4 v[6:9], v1, s[0:1] offset:16
	global_load_dwordx4 v[10:13], v1, s[0:1] offset:32
	;; [unrolled: 1-line block ×3, first 2 shown]
	v_mbcnt_lo_u32_b32 v1, -1, 0
	v_mbcnt_hi_u32_b32 v22, -1, v1
	v_bfe_u32 v19, v0, 10, 10
	v_bfe_u32 v21, v0, 20, 10
	v_add_u32_e32 v26, -1, v22
	v_and_b32_e32 v27, 64, v22
	s_lshr_b32 s23, s22, 16
	v_and_b32_e32 v23, 15, v22
	v_or_b32_e32 v25, 63, v20
	v_lshrrev_b32_e32 v28, 4, v20
	v_cmp_lt_i32_e64 s[18:19], v26, v27
	s_and_b32 s22, s22, 0xffff
	v_mad_u32_u24 v19, v21, s23, v19
	v_lshlrev_b32_e32 v0, 3, v20
	v_lshlrev_b32_e32 v1, 2, v20
	v_and_b32_e32 v24, 16, v22
	v_cmp_lt_u32_e32 vcc, 31, v22
	v_cmp_gt_u32_e64 s[0:1], 4, v20
	v_cmp_lt_u32_e64 s[2:3], 63, v20
	v_cmp_eq_u32_e64 s[4:5], 0, v22
	v_and_b32_e32 v29, 3, v22
	v_cmp_eq_u32_e64 s[6:7], 0, v23
	v_cmp_lt_u32_e64 s[8:9], 1, v23
	v_cmp_lt_u32_e64 s[10:11], 3, v23
	v_cmp_lt_u32_e64 s[12:13], 7, v23
	v_cmp_eq_u32_e64 s[16:17], v25, v20
	v_cndmask_b32_e64 v23, v26, v22, s[18:19]
	v_and_b32_e32 v22, 12, v28
	v_mad_u64_u32 v[20:21], s[22:23], v19, s22, v[20:21]
	v_mov_b32_e32 v18, 0
	v_cmp_eq_u32_e64 s[14:15], 0, v24
	v_cmp_eq_u32_e64 s[18:19], 0, v29
	v_cmp_lt_u32_e64 s[20:21], 1, v29
	v_lshlrev_b32_e32 v23, 2, v23
	v_add_u32_e32 v24, -4, v22
	v_lshrrev_b32_e32 v25, 6, v20
	s_mov_b32 s33, s29
	s_waitcnt vmcnt(3)
	v_xor_b32_e32 v3, 0x80000000, v3
	v_xor_b32_e32 v5, 0x80000000, v5
	s_waitcnt vmcnt(2)
	v_xor_b32_e32 v7, 0x80000000, v7
	v_xor_b32_e32 v9, 0x80000000, v9
	;; [unrolled: 3-line block ×4, first 2 shown]
	s_branch .LBB113_2
.LBB113_1:                              ;   in Loop: Header=BB113_2 Depth=1
	s_add_i32 s33, s33, 1
	s_cmp_eq_u32 s33, 10
	s_cbranch_scc1 .LBB113_26
.LBB113_2:                              ; =>This Loop Header: Depth=1
                                        ;     Child Loop BB113_4 Depth 2
	s_mov_b64 s[30:31], 60
	s_mov_b32 s34, -4
	s_branch .LBB113_4
.LBB113_3:                              ;   in Loop: Header=BB113_4 Depth=2
	s_or_b64 exec, exec, s[22:23]
	s_waitcnt lgkmcnt(0)
	v_add_u32_e32 v20, v21, v20
	ds_bpermute_b32 v20, v23, v20
	s_add_i32 s34, s34, 4
	s_add_u32 s30, s30, -4
	s_addc_u32 s31, s31, -1
	s_cmp_lt_u32 s34, 60
	s_waitcnt lgkmcnt(0)
	v_cndmask_b32_e64 v20, v20, v21, s[4:5]
	ds_write_b32 v1, v20 offset:16
	s_waitcnt lgkmcnt(0)
	s_barrier
	s_cbranch_scc0 .LBB113_1
.LBB113_4:                              ;   Parent Loop BB113_2 Depth=1
                                        ; =>  This Inner Loop Header: Depth=2
	v_lshlrev_b64 v[20:21], s30, v[2:3]
	v_lshrrev_b32_e32 v27, 28, v21
	v_mad_u32_u24 v19, v27, 5, v25
	v_lshl_add_u32 v26, v19, 2, 16
	v_bfe_u32 v19, v21, 28, 1
	v_add_co_u32_e64 v28, s[22:23], -1, v19
	v_addc_co_u32_e64 v29, s[22:23], 0, -1, s[22:23]
	v_cmp_ne_u32_e64 s[22:23], 0, v19
	v_xor_b32_e32 v19, s23, v29
	v_and_b32_e32 v29, exec_hi, v19
	v_lshlrev_b32_e32 v19, 30, v27
	v_xor_b32_e32 v28, s22, v28
	v_cmp_gt_i64_e64 s[22:23], 0, v[18:19]
	v_not_b32_e32 v19, v19
	v_ashrrev_i32_e32 v19, 31, v19
	v_and_b32_e32 v28, exec_lo, v28
	v_xor_b32_e32 v30, s23, v19
	v_xor_b32_e32 v19, s22, v19
	v_and_b32_e32 v28, v28, v19
	v_lshlrev_b32_e32 v19, 29, v27
	v_cmp_gt_i64_e64 s[22:23], 0, v[18:19]
	v_not_b32_e32 v19, v19
	v_ashrrev_i32_e32 v19, 31, v19
	v_xor_b32_e32 v27, s23, v19
	v_xor_b32_e32 v19, s22, v19
	v_cmp_gt_i64_e64 s[22:23], 0, v[20:21]
	v_not_b32_e32 v20, v21
	v_ashrrev_i32_e32 v20, 31, v20
	v_and_b32_e32 v29, v29, v30
	v_and_b32_e32 v19, v28, v19
	v_xor_b32_e32 v21, s23, v20
	v_xor_b32_e32 v20, s22, v20
	v_and_b32_e32 v27, v29, v27
	v_and_b32_e32 v20, v19, v20
	;; [unrolled: 1-line block ×3, first 2 shown]
	v_mbcnt_lo_u32_b32 v19, v20, 0
	v_mbcnt_hi_u32_b32 v27, v21, v19
	v_cmp_eq_u32_e64 s[22:23], 0, v27
	v_cmp_ne_u64_e64 s[24:25], 0, v[20:21]
	s_and_b64 s[24:25], s[24:25], s[22:23]
	ds_write_b32 v1, v18 offset:16
	s_waitcnt lgkmcnt(0)
	s_barrier
	s_waitcnt lgkmcnt(0)
	; wave barrier
	s_and_saveexec_b64 s[22:23], s[24:25]
	s_cbranch_execz .LBB113_6
; %bb.5:                                ;   in Loop: Header=BB113_4 Depth=2
	v_bcnt_u32_b32 v19, v20, 0
	v_bcnt_u32_b32 v19, v21, v19
	ds_write_b32 v26, v19
.LBB113_6:                              ;   in Loop: Header=BB113_4 Depth=2
	s_or_b64 exec, exec, s[22:23]
	v_lshlrev_b64 v[20:21], s30, v[4:5]
	v_lshrrev_b32_e32 v30, 28, v21
	v_mul_u32_u24_e32 v19, 5, v30
	v_add_lshl_u32 v19, v25, v19, 2
	; wave barrier
	v_add_u32_e32 v29, 16, v19
	ds_read_b32 v28, v19 offset:16
	v_bfe_u32 v19, v21, 28, 1
	v_add_co_u32_e64 v31, s[22:23], -1, v19
	v_addc_co_u32_e64 v32, s[22:23], 0, -1, s[22:23]
	v_cmp_ne_u32_e64 s[22:23], 0, v19
	v_xor_b32_e32 v19, s23, v32
	v_and_b32_e32 v32, exec_hi, v19
	v_lshlrev_b32_e32 v19, 30, v30
	v_xor_b32_e32 v31, s22, v31
	v_cmp_gt_i64_e64 s[22:23], 0, v[18:19]
	v_not_b32_e32 v19, v19
	v_ashrrev_i32_e32 v19, 31, v19
	v_and_b32_e32 v31, exec_lo, v31
	v_xor_b32_e32 v33, s23, v19
	v_xor_b32_e32 v19, s22, v19
	v_and_b32_e32 v31, v31, v19
	v_lshlrev_b32_e32 v19, 29, v30
	v_cmp_gt_i64_e64 s[22:23], 0, v[18:19]
	v_not_b32_e32 v19, v19
	v_ashrrev_i32_e32 v19, 31, v19
	v_xor_b32_e32 v30, s23, v19
	v_xor_b32_e32 v19, s22, v19
	v_cmp_gt_i64_e64 s[22:23], 0, v[20:21]
	v_not_b32_e32 v20, v21
	v_ashrrev_i32_e32 v20, 31, v20
	v_and_b32_e32 v32, v32, v33
	v_and_b32_e32 v19, v31, v19
	v_xor_b32_e32 v21, s23, v20
	v_xor_b32_e32 v20, s22, v20
	v_and_b32_e32 v30, v32, v30
	v_and_b32_e32 v20, v19, v20
	;; [unrolled: 1-line block ×3, first 2 shown]
	v_mbcnt_lo_u32_b32 v19, v20, 0
	v_mbcnt_hi_u32_b32 v30, v21, v19
	v_cmp_eq_u32_e64 s[22:23], 0, v30
	v_cmp_ne_u64_e64 s[24:25], 0, v[20:21]
	s_and_b64 s[24:25], s[24:25], s[22:23]
	; wave barrier
	s_and_saveexec_b64 s[22:23], s[24:25]
	s_cbranch_execz .LBB113_8
; %bb.7:                                ;   in Loop: Header=BB113_4 Depth=2
	v_bcnt_u32_b32 v19, v20, 0
	v_bcnt_u32_b32 v19, v21, v19
	s_waitcnt lgkmcnt(0)
	v_add_u32_e32 v19, v28, v19
	ds_write_b32 v29, v19
.LBB113_8:                              ;   in Loop: Header=BB113_4 Depth=2
	s_or_b64 exec, exec, s[22:23]
	v_lshlrev_b64 v[20:21], s30, v[6:7]
	v_lshrrev_b32_e32 v33, 28, v21
	v_mul_u32_u24_e32 v19, 5, v33
	v_add_lshl_u32 v19, v25, v19, 2
	; wave barrier
	v_add_u32_e32 v32, 16, v19
	ds_read_b32 v31, v19 offset:16
	v_bfe_u32 v19, v21, 28, 1
	v_add_co_u32_e64 v34, s[22:23], -1, v19
	v_addc_co_u32_e64 v35, s[22:23], 0, -1, s[22:23]
	v_cmp_ne_u32_e64 s[22:23], 0, v19
	v_xor_b32_e32 v19, s23, v35
	v_and_b32_e32 v35, exec_hi, v19
	v_lshlrev_b32_e32 v19, 30, v33
	v_xor_b32_e32 v34, s22, v34
	v_cmp_gt_i64_e64 s[22:23], 0, v[18:19]
	v_not_b32_e32 v19, v19
	v_ashrrev_i32_e32 v19, 31, v19
	v_and_b32_e32 v34, exec_lo, v34
	v_xor_b32_e32 v36, s23, v19
	v_xor_b32_e32 v19, s22, v19
	v_and_b32_e32 v34, v34, v19
	v_lshlrev_b32_e32 v19, 29, v33
	v_cmp_gt_i64_e64 s[22:23], 0, v[18:19]
	v_not_b32_e32 v19, v19
	v_ashrrev_i32_e32 v19, 31, v19
	v_xor_b32_e32 v33, s23, v19
	v_xor_b32_e32 v19, s22, v19
	v_cmp_gt_i64_e64 s[22:23], 0, v[20:21]
	v_not_b32_e32 v20, v21
	v_ashrrev_i32_e32 v20, 31, v20
	v_and_b32_e32 v35, v35, v36
	v_and_b32_e32 v19, v34, v19
	v_xor_b32_e32 v21, s23, v20
	v_xor_b32_e32 v20, s22, v20
	v_and_b32_e32 v33, v35, v33
	v_and_b32_e32 v20, v19, v20
	;; [unrolled: 1-line block ×3, first 2 shown]
	v_mbcnt_lo_u32_b32 v19, v20, 0
	v_mbcnt_hi_u32_b32 v33, v21, v19
	v_cmp_eq_u32_e64 s[22:23], 0, v33
	v_cmp_ne_u64_e64 s[24:25], 0, v[20:21]
	s_and_b64 s[24:25], s[24:25], s[22:23]
	; wave barrier
	s_and_saveexec_b64 s[22:23], s[24:25]
	s_cbranch_execz .LBB113_10
; %bb.9:                                ;   in Loop: Header=BB113_4 Depth=2
	v_bcnt_u32_b32 v19, v20, 0
	v_bcnt_u32_b32 v19, v21, v19
	s_waitcnt lgkmcnt(0)
	v_add_u32_e32 v19, v31, v19
	ds_write_b32 v32, v19
.LBB113_10:                             ;   in Loop: Header=BB113_4 Depth=2
	s_or_b64 exec, exec, s[22:23]
	v_lshlrev_b64 v[20:21], s30, v[8:9]
	v_lshrrev_b32_e32 v36, 28, v21
	v_mul_u32_u24_e32 v19, 5, v36
	v_add_lshl_u32 v19, v25, v19, 2
	; wave barrier
	v_add_u32_e32 v35, 16, v19
	ds_read_b32 v34, v19 offset:16
	v_bfe_u32 v19, v21, 28, 1
	v_add_co_u32_e64 v37, s[22:23], -1, v19
	v_addc_co_u32_e64 v38, s[22:23], 0, -1, s[22:23]
	v_cmp_ne_u32_e64 s[22:23], 0, v19
	v_xor_b32_e32 v19, s23, v38
	v_and_b32_e32 v38, exec_hi, v19
	v_lshlrev_b32_e32 v19, 30, v36
	v_xor_b32_e32 v37, s22, v37
	v_cmp_gt_i64_e64 s[22:23], 0, v[18:19]
	v_not_b32_e32 v19, v19
	v_ashrrev_i32_e32 v19, 31, v19
	v_and_b32_e32 v37, exec_lo, v37
	v_xor_b32_e32 v39, s23, v19
	v_xor_b32_e32 v19, s22, v19
	v_and_b32_e32 v37, v37, v19
	v_lshlrev_b32_e32 v19, 29, v36
	v_cmp_gt_i64_e64 s[22:23], 0, v[18:19]
	v_not_b32_e32 v19, v19
	v_ashrrev_i32_e32 v19, 31, v19
	v_xor_b32_e32 v36, s23, v19
	v_xor_b32_e32 v19, s22, v19
	v_cmp_gt_i64_e64 s[22:23], 0, v[20:21]
	v_not_b32_e32 v20, v21
	v_ashrrev_i32_e32 v20, 31, v20
	v_and_b32_e32 v38, v38, v39
	v_and_b32_e32 v19, v37, v19
	v_xor_b32_e32 v21, s23, v20
	v_xor_b32_e32 v20, s22, v20
	v_and_b32_e32 v36, v38, v36
	v_and_b32_e32 v20, v19, v20
	v_and_b32_e32 v21, v36, v21
	v_mbcnt_lo_u32_b32 v19, v20, 0
	v_mbcnt_hi_u32_b32 v36, v21, v19
	v_cmp_eq_u32_e64 s[22:23], 0, v36
	v_cmp_ne_u64_e64 s[24:25], 0, v[20:21]
	s_and_b64 s[24:25], s[24:25], s[22:23]
	; wave barrier
	s_and_saveexec_b64 s[22:23], s[24:25]
	s_cbranch_execz .LBB113_12
; %bb.11:                               ;   in Loop: Header=BB113_4 Depth=2
	v_bcnt_u32_b32 v19, v20, 0
	v_bcnt_u32_b32 v19, v21, v19
	s_waitcnt lgkmcnt(0)
	v_add_u32_e32 v19, v34, v19
	ds_write_b32 v35, v19
.LBB113_12:                             ;   in Loop: Header=BB113_4 Depth=2
	s_or_b64 exec, exec, s[22:23]
	v_lshlrev_b64 v[20:21], s30, v[10:11]
	v_lshrrev_b32_e32 v39, 28, v21
	v_mul_u32_u24_e32 v19, 5, v39
	v_add_lshl_u32 v19, v25, v19, 2
	; wave barrier
	v_add_u32_e32 v38, 16, v19
	ds_read_b32 v37, v19 offset:16
	v_bfe_u32 v19, v21, 28, 1
	v_add_co_u32_e64 v40, s[22:23], -1, v19
	v_addc_co_u32_e64 v41, s[22:23], 0, -1, s[22:23]
	v_cmp_ne_u32_e64 s[22:23], 0, v19
	v_xor_b32_e32 v19, s23, v41
	v_and_b32_e32 v41, exec_hi, v19
	v_lshlrev_b32_e32 v19, 30, v39
	v_xor_b32_e32 v40, s22, v40
	v_cmp_gt_i64_e64 s[22:23], 0, v[18:19]
	v_not_b32_e32 v19, v19
	v_ashrrev_i32_e32 v19, 31, v19
	v_and_b32_e32 v40, exec_lo, v40
	v_xor_b32_e32 v42, s23, v19
	v_xor_b32_e32 v19, s22, v19
	v_and_b32_e32 v40, v40, v19
	v_lshlrev_b32_e32 v19, 29, v39
	v_cmp_gt_i64_e64 s[22:23], 0, v[18:19]
	v_not_b32_e32 v19, v19
	v_ashrrev_i32_e32 v19, 31, v19
	v_xor_b32_e32 v39, s23, v19
	v_xor_b32_e32 v19, s22, v19
	v_cmp_gt_i64_e64 s[22:23], 0, v[20:21]
	v_not_b32_e32 v20, v21
	v_ashrrev_i32_e32 v20, 31, v20
	v_and_b32_e32 v41, v41, v42
	v_and_b32_e32 v19, v40, v19
	v_xor_b32_e32 v21, s23, v20
	v_xor_b32_e32 v20, s22, v20
	v_and_b32_e32 v39, v41, v39
	v_and_b32_e32 v20, v19, v20
	v_and_b32_e32 v21, v39, v21
	v_mbcnt_lo_u32_b32 v19, v20, 0
	v_mbcnt_hi_u32_b32 v39, v21, v19
	v_cmp_eq_u32_e64 s[22:23], 0, v39
	v_cmp_ne_u64_e64 s[24:25], 0, v[20:21]
	s_and_b64 s[24:25], s[24:25], s[22:23]
	; wave barrier
	s_and_saveexec_b64 s[22:23], s[24:25]
	s_cbranch_execz .LBB113_14
; %bb.13:                               ;   in Loop: Header=BB113_4 Depth=2
	v_bcnt_u32_b32 v19, v20, 0
	v_bcnt_u32_b32 v19, v21, v19
	s_waitcnt lgkmcnt(0)
	v_add_u32_e32 v19, v37, v19
	ds_write_b32 v38, v19
.LBB113_14:                             ;   in Loop: Header=BB113_4 Depth=2
	s_or_b64 exec, exec, s[22:23]
	v_lshlrev_b64 v[20:21], s30, v[12:13]
	v_lshrrev_b32_e32 v42, 28, v21
	v_mul_u32_u24_e32 v19, 5, v42
	v_add_lshl_u32 v19, v25, v19, 2
	; wave barrier
	v_add_u32_e32 v41, 16, v19
	ds_read_b32 v40, v19 offset:16
	v_bfe_u32 v19, v21, 28, 1
	v_add_co_u32_e64 v43, s[22:23], -1, v19
	v_addc_co_u32_e64 v44, s[22:23], 0, -1, s[22:23]
	v_cmp_ne_u32_e64 s[22:23], 0, v19
	v_xor_b32_e32 v19, s23, v44
	v_and_b32_e32 v44, exec_hi, v19
	v_lshlrev_b32_e32 v19, 30, v42
	v_xor_b32_e32 v43, s22, v43
	v_cmp_gt_i64_e64 s[22:23], 0, v[18:19]
	v_not_b32_e32 v19, v19
	v_ashrrev_i32_e32 v19, 31, v19
	v_and_b32_e32 v43, exec_lo, v43
	v_xor_b32_e32 v45, s23, v19
	v_xor_b32_e32 v19, s22, v19
	v_and_b32_e32 v43, v43, v19
	v_lshlrev_b32_e32 v19, 29, v42
	v_cmp_gt_i64_e64 s[22:23], 0, v[18:19]
	v_not_b32_e32 v19, v19
	v_ashrrev_i32_e32 v19, 31, v19
	v_xor_b32_e32 v42, s23, v19
	v_xor_b32_e32 v19, s22, v19
	v_cmp_gt_i64_e64 s[22:23], 0, v[20:21]
	v_not_b32_e32 v20, v21
	v_ashrrev_i32_e32 v20, 31, v20
	v_and_b32_e32 v44, v44, v45
	v_and_b32_e32 v19, v43, v19
	v_xor_b32_e32 v21, s23, v20
	v_xor_b32_e32 v20, s22, v20
	v_and_b32_e32 v42, v44, v42
	v_and_b32_e32 v20, v19, v20
	v_and_b32_e32 v21, v42, v21
	v_mbcnt_lo_u32_b32 v19, v20, 0
	v_mbcnt_hi_u32_b32 v42, v21, v19
	v_cmp_eq_u32_e64 s[22:23], 0, v42
	v_cmp_ne_u64_e64 s[24:25], 0, v[20:21]
	s_and_b64 s[24:25], s[24:25], s[22:23]
	; wave barrier
	s_and_saveexec_b64 s[22:23], s[24:25]
	s_cbranch_execz .LBB113_16
; %bb.15:                               ;   in Loop: Header=BB113_4 Depth=2
	v_bcnt_u32_b32 v19, v20, 0
	v_bcnt_u32_b32 v19, v21, v19
	s_waitcnt lgkmcnt(0)
	v_add_u32_e32 v19, v40, v19
	ds_write_b32 v41, v19
.LBB113_16:                             ;   in Loop: Header=BB113_4 Depth=2
	s_or_b64 exec, exec, s[22:23]
	v_lshlrev_b64 v[20:21], s30, v[14:15]
	v_lshrrev_b32_e32 v45, 28, v21
	v_mul_u32_u24_e32 v19, 5, v45
	v_add_lshl_u32 v19, v25, v19, 2
	; wave barrier
	v_add_u32_e32 v44, 16, v19
	ds_read_b32 v43, v19 offset:16
	v_bfe_u32 v19, v21, 28, 1
	v_add_co_u32_e64 v46, s[22:23], -1, v19
	v_addc_co_u32_e64 v47, s[22:23], 0, -1, s[22:23]
	v_cmp_ne_u32_e64 s[22:23], 0, v19
	v_xor_b32_e32 v19, s23, v47
	v_and_b32_e32 v47, exec_hi, v19
	v_lshlrev_b32_e32 v19, 30, v45
	v_xor_b32_e32 v46, s22, v46
	v_cmp_gt_i64_e64 s[22:23], 0, v[18:19]
	v_not_b32_e32 v19, v19
	v_ashrrev_i32_e32 v19, 31, v19
	v_and_b32_e32 v46, exec_lo, v46
	v_xor_b32_e32 v48, s23, v19
	v_xor_b32_e32 v19, s22, v19
	v_and_b32_e32 v46, v46, v19
	v_lshlrev_b32_e32 v19, 29, v45
	v_cmp_gt_i64_e64 s[22:23], 0, v[18:19]
	v_not_b32_e32 v19, v19
	v_ashrrev_i32_e32 v19, 31, v19
	v_xor_b32_e32 v45, s23, v19
	v_xor_b32_e32 v19, s22, v19
	v_cmp_gt_i64_e64 s[22:23], 0, v[20:21]
	v_not_b32_e32 v20, v21
	v_ashrrev_i32_e32 v20, 31, v20
	v_and_b32_e32 v47, v47, v48
	v_and_b32_e32 v19, v46, v19
	v_xor_b32_e32 v21, s23, v20
	v_xor_b32_e32 v20, s22, v20
	v_and_b32_e32 v45, v47, v45
	v_and_b32_e32 v20, v19, v20
	v_and_b32_e32 v21, v45, v21
	v_mbcnt_lo_u32_b32 v19, v20, 0
	v_mbcnt_hi_u32_b32 v45, v21, v19
	v_cmp_eq_u32_e64 s[22:23], 0, v45
	v_cmp_ne_u64_e64 s[24:25], 0, v[20:21]
	s_and_b64 s[24:25], s[24:25], s[22:23]
	; wave barrier
	s_and_saveexec_b64 s[22:23], s[24:25]
	s_cbranch_execz .LBB113_18
; %bb.17:                               ;   in Loop: Header=BB113_4 Depth=2
	v_bcnt_u32_b32 v19, v20, 0
	v_bcnt_u32_b32 v19, v21, v19
	s_waitcnt lgkmcnt(0)
	v_add_u32_e32 v19, v43, v19
	ds_write_b32 v44, v19
.LBB113_18:                             ;   in Loop: Header=BB113_4 Depth=2
	s_or_b64 exec, exec, s[22:23]
	v_lshlrev_b64 v[20:21], s30, v[16:17]
	v_lshrrev_b32_e32 v48, 28, v21
	v_mul_u32_u24_e32 v19, 5, v48
	v_add_lshl_u32 v19, v25, v19, 2
	; wave barrier
	v_add_u32_e32 v47, 16, v19
	ds_read_b32 v46, v19 offset:16
	v_bfe_u32 v19, v21, 28, 1
	v_add_co_u32_e64 v49, s[22:23], -1, v19
	v_addc_co_u32_e64 v50, s[22:23], 0, -1, s[22:23]
	v_cmp_ne_u32_e64 s[22:23], 0, v19
	v_xor_b32_e32 v19, s23, v50
	v_and_b32_e32 v50, exec_hi, v19
	v_lshlrev_b32_e32 v19, 30, v48
	v_xor_b32_e32 v49, s22, v49
	v_cmp_gt_i64_e64 s[22:23], 0, v[18:19]
	v_not_b32_e32 v19, v19
	v_ashrrev_i32_e32 v19, 31, v19
	v_and_b32_e32 v49, exec_lo, v49
	v_xor_b32_e32 v51, s23, v19
	v_xor_b32_e32 v19, s22, v19
	v_and_b32_e32 v49, v49, v19
	v_lshlrev_b32_e32 v19, 29, v48
	v_cmp_gt_i64_e64 s[22:23], 0, v[18:19]
	v_not_b32_e32 v19, v19
	v_ashrrev_i32_e32 v19, 31, v19
	v_xor_b32_e32 v48, s23, v19
	v_xor_b32_e32 v19, s22, v19
	v_cmp_gt_i64_e64 s[22:23], 0, v[20:21]
	v_not_b32_e32 v20, v21
	v_ashrrev_i32_e32 v20, 31, v20
	v_and_b32_e32 v50, v50, v51
	v_and_b32_e32 v19, v49, v19
	v_xor_b32_e32 v21, s23, v20
	v_xor_b32_e32 v20, s22, v20
	v_and_b32_e32 v48, v50, v48
	v_and_b32_e32 v20, v19, v20
	v_and_b32_e32 v21, v48, v21
	v_mbcnt_lo_u32_b32 v19, v20, 0
	v_mbcnt_hi_u32_b32 v19, v21, v19
	v_cmp_eq_u32_e64 s[22:23], 0, v19
	v_cmp_ne_u64_e64 s[24:25], 0, v[20:21]
	s_and_b64 s[24:25], s[24:25], s[22:23]
	; wave barrier
	s_and_saveexec_b64 s[22:23], s[24:25]
	s_cbranch_execz .LBB113_20
; %bb.19:                               ;   in Loop: Header=BB113_4 Depth=2
	v_bcnt_u32_b32 v20, v20, 0
	v_bcnt_u32_b32 v20, v21, v20
	s_waitcnt lgkmcnt(0)
	v_add_u32_e32 v20, v46, v20
	ds_write_b32 v47, v20
.LBB113_20:                             ;   in Loop: Header=BB113_4 Depth=2
	s_or_b64 exec, exec, s[22:23]
	; wave barrier
	s_waitcnt lgkmcnt(0)
	s_barrier
	ds_read_b32 v20, v1 offset:16
	s_waitcnt lgkmcnt(0)
	s_nop 0
	v_mov_b32_dpp v21, v20 row_shr:1 row_mask:0xf bank_mask:0xf
	v_cndmask_b32_e64 v21, v21, 0, s[6:7]
	v_add_u32_e32 v20, v21, v20
	s_nop 1
	v_mov_b32_dpp v21, v20 row_shr:2 row_mask:0xf bank_mask:0xf
	v_cndmask_b32_e64 v21, 0, v21, s[8:9]
	v_add_u32_e32 v20, v20, v21
	;; [unrolled: 4-line block ×4, first 2 shown]
	s_nop 1
	v_mov_b32_dpp v21, v20 row_bcast:15 row_mask:0xf bank_mask:0xf
	v_cndmask_b32_e64 v21, v21, 0, s[14:15]
	v_add_u32_e32 v20, v20, v21
	s_nop 1
	v_mov_b32_dpp v21, v20 row_bcast:31 row_mask:0xf bank_mask:0xf
	v_cndmask_b32_e32 v21, 0, v21, vcc
	v_add_u32_e32 v20, v20, v21
	s_and_saveexec_b64 s[22:23], s[16:17]
	s_xor_b64 s[22:23], exec, s[22:23]
	s_cbranch_execz .LBB113_22
; %bb.21:                               ;   in Loop: Header=BB113_4 Depth=2
	ds_write_b32 v22, v20
.LBB113_22:                             ;   in Loop: Header=BB113_4 Depth=2
	s_or_b64 exec, exec, s[22:23]
	s_waitcnt lgkmcnt(0)
	s_barrier
	s_and_saveexec_b64 s[22:23], s[0:1]
	s_cbranch_execz .LBB113_24
; %bb.23:                               ;   in Loop: Header=BB113_4 Depth=2
	ds_read_b32 v21, v1
	s_waitcnt lgkmcnt(0)
	s_nop 0
	v_mov_b32_dpp v48, v21 row_shr:1 row_mask:0xf bank_mask:0xf
	v_cndmask_b32_e64 v48, v48, 0, s[18:19]
	v_add_u32_e32 v21, v48, v21
	s_nop 1
	v_mov_b32_dpp v48, v21 row_shr:2 row_mask:0xf bank_mask:0xf
	v_cndmask_b32_e64 v48, 0, v48, s[20:21]
	v_add_u32_e32 v21, v21, v48
	ds_write_b32 v1, v21
.LBB113_24:                             ;   in Loop: Header=BB113_4 Depth=2
	s_or_b64 exec, exec, s[22:23]
	v_mov_b32_e32 v21, 0
	s_waitcnt lgkmcnt(0)
	s_barrier
	s_and_saveexec_b64 s[22:23], s[2:3]
	s_cbranch_execz .LBB113_3
; %bb.25:                               ;   in Loop: Header=BB113_4 Depth=2
	ds_read_b32 v21, v24
	s_branch .LBB113_3
.LBB113_26:
	ds_read_b32 v4, v47
	ds_read_b32 v5, v44
	;; [unrolled: 1-line block ×8, first 2 shown]
	s_lshl_b64 s[0:1], s[28:29], 2
	s_add_u32 s0, s26, s0
	s_addc_u32 s1, s27, s1
	v_lshlrev_b32_e32 v9, 2, v0
	s_waitcnt lgkmcnt(1)
	v_add3_u32 v1, v30, v28, v1
	s_waitcnt lgkmcnt(0)
	v_add_u32_e32 v0, v3, v27
	v_add3_u32 v3, v36, v34, v2
	v_add3_u32 v2, v33, v31, v8
	global_store_dwordx4 v9, v[0:3], s[0:1]
	s_nop 0
	v_add3_u32 v1, v42, v40, v6
	v_add3_u32 v0, v39, v37, v7
	;; [unrolled: 1-line block ×4, first 2 shown]
	global_store_dwordx4 v9, v[0:3], s[0:1] offset:16
	s_endpgm
	.section	.rodata,"a",@progbits
	.p2align	6, 0x0
	.amdhsa_kernel _Z11rank_kernelIxLj4ELb0EL18RadixRankAlgorithm2ELj256ELj8ELj10EEvPKT_Pi
		.amdhsa_group_segment_fixed_size 1040
		.amdhsa_private_segment_fixed_size 0
		.amdhsa_kernarg_size 272
		.amdhsa_user_sgpr_count 6
		.amdhsa_user_sgpr_private_segment_buffer 1
		.amdhsa_user_sgpr_dispatch_ptr 0
		.amdhsa_user_sgpr_queue_ptr 0
		.amdhsa_user_sgpr_kernarg_segment_ptr 1
		.amdhsa_user_sgpr_dispatch_id 0
		.amdhsa_user_sgpr_flat_scratch_init 0
		.amdhsa_user_sgpr_kernarg_preload_length 0
		.amdhsa_user_sgpr_kernarg_preload_offset 0
		.amdhsa_user_sgpr_private_segment_size 0
		.amdhsa_uses_dynamic_stack 0
		.amdhsa_system_sgpr_private_segment_wavefront_offset 0
		.amdhsa_system_sgpr_workgroup_id_x 1
		.amdhsa_system_sgpr_workgroup_id_y 0
		.amdhsa_system_sgpr_workgroup_id_z 0
		.amdhsa_system_sgpr_workgroup_info 0
		.amdhsa_system_vgpr_workitem_id 2
		.amdhsa_next_free_vgpr 52
		.amdhsa_next_free_sgpr 35
		.amdhsa_accum_offset 52
		.amdhsa_reserve_vcc 1
		.amdhsa_reserve_flat_scratch 0
		.amdhsa_float_round_mode_32 0
		.amdhsa_float_round_mode_16_64 0
		.amdhsa_float_denorm_mode_32 3
		.amdhsa_float_denorm_mode_16_64 3
		.amdhsa_dx10_clamp 1
		.amdhsa_ieee_mode 1
		.amdhsa_fp16_overflow 0
		.amdhsa_tg_split 0
		.amdhsa_exception_fp_ieee_invalid_op 0
		.amdhsa_exception_fp_denorm_src 0
		.amdhsa_exception_fp_ieee_div_zero 0
		.amdhsa_exception_fp_ieee_overflow 0
		.amdhsa_exception_fp_ieee_underflow 0
		.amdhsa_exception_fp_ieee_inexact 0
		.amdhsa_exception_int_div_zero 0
	.end_amdhsa_kernel
	.section	.text._Z11rank_kernelIxLj4ELb0EL18RadixRankAlgorithm2ELj256ELj8ELj10EEvPKT_Pi,"axG",@progbits,_Z11rank_kernelIxLj4ELb0EL18RadixRankAlgorithm2ELj256ELj8ELj10EEvPKT_Pi,comdat
.Lfunc_end113:
	.size	_Z11rank_kernelIxLj4ELb0EL18RadixRankAlgorithm2ELj256ELj8ELj10EEvPKT_Pi, .Lfunc_end113-_Z11rank_kernelIxLj4ELb0EL18RadixRankAlgorithm2ELj256ELj8ELj10EEvPKT_Pi
                                        ; -- End function
	.section	.AMDGPU.csdata,"",@progbits
; Kernel info:
; codeLenInByte = 3112
; NumSgprs: 39
; NumVgprs: 52
; NumAgprs: 0
; TotalNumVgprs: 52
; ScratchSize: 0
; MemoryBound: 0
; FloatMode: 240
; IeeeMode: 1
; LDSByteSize: 1040 bytes/workgroup (compile time only)
; SGPRBlocks: 4
; VGPRBlocks: 6
; NumSGPRsForWavesPerEU: 39
; NumVGPRsForWavesPerEU: 52
; AccumOffset: 52
; Occupancy: 8
; WaveLimiterHint : 0
; COMPUTE_PGM_RSRC2:SCRATCH_EN: 0
; COMPUTE_PGM_RSRC2:USER_SGPR: 6
; COMPUTE_PGM_RSRC2:TRAP_HANDLER: 0
; COMPUTE_PGM_RSRC2:TGID_X_EN: 1
; COMPUTE_PGM_RSRC2:TGID_Y_EN: 0
; COMPUTE_PGM_RSRC2:TGID_Z_EN: 0
; COMPUTE_PGM_RSRC2:TIDIG_COMP_CNT: 2
; COMPUTE_PGM_RSRC3_GFX90A:ACCUM_OFFSET: 12
; COMPUTE_PGM_RSRC3_GFX90A:TG_SPLIT: 0
	.section	.text._Z11rank_kernelIxLj4ELb0EL18RadixRankAlgorithm0ELj256ELj16ELj10EEvPKT_Pi,"axG",@progbits,_Z11rank_kernelIxLj4ELb0EL18RadixRankAlgorithm0ELj256ELj16ELj10EEvPKT_Pi,comdat
	.protected	_Z11rank_kernelIxLj4ELb0EL18RadixRankAlgorithm0ELj256ELj16ELj10EEvPKT_Pi ; -- Begin function _Z11rank_kernelIxLj4ELb0EL18RadixRankAlgorithm0ELj256ELj16ELj10EEvPKT_Pi
	.globl	_Z11rank_kernelIxLj4ELb0EL18RadixRankAlgorithm0ELj256ELj16ELj10EEvPKT_Pi
	.p2align	8
	.type	_Z11rank_kernelIxLj4ELb0EL18RadixRankAlgorithm0ELj256ELj16ELj10EEvPKT_Pi,@function
_Z11rank_kernelIxLj4ELb0EL18RadixRankAlgorithm0ELj256ELj16ELj10EEvPKT_Pi: ; @_Z11rank_kernelIxLj4ELb0EL18RadixRankAlgorithm0ELj256ELj16ELj10EEvPKT_Pi
; %bb.0:
	s_load_dwordx4 s[20:23], s[4:5], 0x0
	s_lshl_b32 s24, s6, 12
	s_mov_b32 s25, 0
	s_lshl_b64 s[0:1], s[24:25], 3
	v_lshlrev_b32_e32 v1, 7, v0
	s_waitcnt lgkmcnt(0)
	s_add_u32 s0, s20, s0
	s_addc_u32 s1, s21, s1
	global_load_dwordx4 v[2:5], v1, s[0:1]
	global_load_dwordx4 v[6:9], v1, s[0:1] offset:16
	global_load_dwordx4 v[10:13], v1, s[0:1] offset:32
	;; [unrolled: 1-line block ×7, first 2 shown]
	v_mbcnt_lo_u32_b32 v1, -1, 0
	v_mbcnt_hi_u32_b32 v36, -1, v1
	v_or_b32_e32 v37, 63, v0
	v_cmp_eq_u32_e64 s[4:5], v37, v0
	v_add_u32_e32 v37, -1, v36
	v_and_b32_e32 v43, 64, v36
	v_cmp_lt_i32_e64 s[18:19], v37, v43
	v_lshrrev_b32_e32 v40, 4, v0
	v_and_b32_e32 v41, 15, v36
	v_and_b32_e32 v42, 16, v36
	v_cmp_lt_u32_e64 s[2:3], 31, v36
	v_cmp_eq_u32_e64 s[6:7], 0, v36
	v_and_b32_e32 v44, 3, v36
	v_cndmask_b32_e64 v36, v37, v36, s[18:19]
	v_mov_b32_e32 v35, 0
	s_movk_i32 s33, 0x700
	v_lshlrev_b32_e32 v34, 4, v0
	v_lshlrev_b32_e32 v38, 5, v0
	v_cmp_gt_u32_e32 vcc, 4, v0
	v_cmp_lt_u32_e64 s[0:1], 63, v0
	v_lshlrev_b32_e32 v39, 2, v0
	v_or_b32_e32 v1, 0x100, v0
	v_and_b32_e32 v40, 12, v40
	v_cmp_eq_u32_e64 s[8:9], 0, v41
	v_cmp_lt_u32_e64 s[10:11], 1, v41
	v_cmp_lt_u32_e64 s[12:13], 3, v41
	;; [unrolled: 1-line block ×3, first 2 shown]
	v_cmp_eq_u32_e64 s[16:17], 0, v42
	v_cmp_eq_u32_e64 s[18:19], 0, v44
	v_cmp_lt_u32_e64 s[20:21], 1, v44
	v_lshlrev_b32_e32 v41, 2, v36
	s_mov_b32 s34, s25
	s_waitcnt vmcnt(7)
	v_xor_b32_e32 v3, 0x80000000, v3
	v_xor_b32_e32 v5, 0x80000000, v5
	s_waitcnt vmcnt(6)
	v_xor_b32_e32 v7, 0x80000000, v7
	v_xor_b32_e32 v9, 0x80000000, v9
	;; [unrolled: 3-line block ×8, first 2 shown]
	s_branch .LBB114_2
.LBB114_1:                              ;   in Loop: Header=BB114_2 Depth=1
	s_add_i32 s34, s34, 1
	s_cmp_eq_u32 s34, 10
	s_cbranch_scc1 .LBB114_16
.LBB114_2:                              ; =>This Loop Header: Depth=1
                                        ;     Child Loop BB114_4 Depth 2
                                        ;       Child Loop BB114_6 Depth 3
	s_mov_b32 s35, 0
	s_branch .LBB114_4
.LBB114_3:                              ;   in Loop: Header=BB114_4 Depth=2
	s_or_b64 exec, exec, s[26:27]
	s_waitcnt lgkmcnt(0)
	v_add_u32_e32 v72, v73, v72
	ds_bpermute_b32 v72, v41, v72
	s_add_i32 s26, s35, 4
	s_cmp_lt_u32 s35, 60
	s_mov_b32 s35, s26
	s_waitcnt lgkmcnt(0)
	v_cndmask_b32_e64 v72, v72, v73, s[6:7]
	ds_read_b32 v73, v35 offset:8204
	s_waitcnt lgkmcnt(0)
	v_lshl_add_u32 v74, v73, 16, v72
	ds_read2_b32 v[72:73], v38 offset1:1
	s_waitcnt lgkmcnt(0)
	v_add_u32_e32 v72, v74, v72
	ds_write2_b32 v38, v74, v72 offset1:1
	v_add_u32_e32 v74, v73, v72
	ds_read2_b32 v[72:73], v38 offset0:2 offset1:3
	s_waitcnt lgkmcnt(0)
	v_add_u32_e32 v72, v72, v74
	ds_write2_b32 v38, v74, v72 offset0:2 offset1:3
	v_add_u32_e32 v74, v73, v72
	ds_read2_b32 v[72:73], v38 offset0:4 offset1:5
	s_waitcnt lgkmcnt(0)
	v_add_u32_e32 v72, v72, v74
	ds_write2_b32 v38, v74, v72 offset0:4 offset1:5
	v_add_u32_e32 v72, v73, v72
	ds_read_b32 v73, v38 offset:24
	s_waitcnt lgkmcnt(0)
	v_add_u32_e32 v73, v73, v72
	ds_write2_b32 v38, v72, v73 offset0:6 offset1:7
	s_waitcnt lgkmcnt(0)
	s_barrier
	s_cbranch_scc0 .LBB114_1
.LBB114_4:                              ;   Parent Loop BB114_2 Depth=1
                                        ; =>  This Loop Header: Depth=2
                                        ;       Child Loop BB114_6 Depth 3
	s_mov_b32 s36, 0
	s_mov_b64 s[26:27], 0
	v_pk_mov_b32 v[36:37], v[0:1], v[0:1] op_sel:[0,1]
	s_branch .LBB114_6
.LBB114_5:                              ;   in Loop: Header=BB114_6 Depth=3
	s_or_b64 exec, exec, s[30:31]
	s_add_i32 s36, s36, 2
	v_cmp_eq_u32_e64 s[28:29], 8, s36
	v_add_u32_e32 v37, 0x200, v37
	s_or_b64 s[26:27], s[28:29], s[26:27]
	v_add_u32_e32 v36, 0x200, v36
	s_andn2_b64 exec, exec, s[26:27]
	s_cbranch_execz .LBB114_10
.LBB114_6:                              ;   Parent Loop BB114_2 Depth=1
                                        ;     Parent Loop BB114_4 Depth=2
                                        ; =>    This Inner Loop Header: Depth=3
	s_or_b32 s28, s36, 1
	v_cmp_le_u32_e64 s[28:29], s28, 7
	v_cmp_le_u32_e64 s[38:39], s36, 7
	s_and_saveexec_b64 s[30:31], s[38:39]
	s_cbranch_execz .LBB114_8
; %bb.7:                                ;   in Loop: Header=BB114_6 Depth=3
	v_lshlrev_b32_e32 v42, 2, v36
	ds_write_b32 v42, v35
.LBB114_8:                              ;   in Loop: Header=BB114_6 Depth=3
	s_or_b64 exec, exec, s[30:31]
	s_and_saveexec_b64 s[30:31], s[28:29]
	s_cbranch_execz .LBB114_5
; %bb.9:                                ;   in Loop: Header=BB114_6 Depth=3
	v_lshlrev_b32_e32 v42, 2, v37
	ds_write_b32 v42, v35
	s_branch .LBB114_5
.LBB114_10:                             ;   in Loop: Header=BB114_4 Depth=2
	s_or_b64 exec, exec, s[26:27]
	s_sub_i32 s26, 60, s35
	v_lshlrev_b64 v[36:37], s26, v[2:3]
	v_lshrrev_b32_e32 v36, 20, v37
	v_lshrrev_b32_e32 v37, 30, v37
	v_and_or_b32 v36, v36, s33, v0
	v_and_b32_e32 v37, 2, v37
	v_lshl_or_b32 v37, v36, 2, v37
	ds_read_u16 v36, v37
	v_lshlrev_b64 v[42:43], s26, v[4:5]
	v_lshrrev_b32_e32 v42, 20, v43
	v_lshrrev_b32_e32 v43, 30, v43
	v_and_or_b32 v42, v42, s33, v0
	s_waitcnt lgkmcnt(0)
	v_add_u16_e32 v44, 1, v36
	v_and_b32_e32 v43, 2, v43
	ds_write_b16 v37, v44
	v_lshl_or_b32 v44, v42, 2, v43
	ds_read_u16 v42, v44
	v_lshlrev_b64 v[46:47], s26, v[6:7]
	v_lshrrev_b32_e32 v45, 30, v47
	v_and_b32_e32 v45, 2, v45
	v_lshlrev_b64 v[48:49], s26, v[8:9]
	s_waitcnt lgkmcnt(0)
	v_add_u16_e32 v43, 1, v42
	ds_write_b16 v44, v43
	v_lshrrev_b32_e32 v43, 20, v47
	v_and_or_b32 v43, v43, s33, v0
	v_lshl_or_b32 v46, v43, 2, v45
	ds_read_u16 v43, v46
	v_lshrrev_b32_e32 v47, 30, v49
	v_and_b32_e32 v47, 2, v47
	v_lshlrev_b64 v[50:51], s26, v[10:11]
	v_lshlrev_b64 v[52:53], s26, v[12:13]
	s_waitcnt lgkmcnt(0)
	v_add_u16_e32 v45, 1, v43
	ds_write_b16 v46, v45
	v_lshrrev_b32_e32 v45, 20, v49
	v_and_or_b32 v45, v45, s33, v0
	v_lshl_or_b32 v48, v45, 2, v47
	ds_read_u16 v45, v48
	v_lshrrev_b32_e32 v49, 30, v51
	v_and_b32_e32 v49, 2, v49
	v_lshlrev_b64 v[54:55], s26, v[14:15]
	;; [unrolled: 11-line block ×6, first 2 shown]
	v_lshlrev_b64 v[72:73], s26, v[32:33]
	s_waitcnt lgkmcnt(0)
	v_add_u16_e32 v55, 1, v53
	ds_write_b16 v56, v55
	v_lshrrev_b32_e32 v55, 20, v59
	v_and_or_b32 v55, v55, s33, v0
	v_lshl_or_b32 v58, v55, 2, v57
	ds_read_u16 v55, v58
	v_lshrrev_b32_e32 v59, 30, v61
	v_and_b32_e32 v59, 2, v59
	s_waitcnt lgkmcnt(0)
	v_add_u16_e32 v57, 1, v55
	ds_write_b16 v58, v57
	v_lshrrev_b32_e32 v57, 20, v61
	v_and_or_b32 v57, v57, s33, v0
	v_lshl_or_b32 v60, v57, 2, v59
	ds_read_u16 v57, v60
	v_lshrrev_b32_e32 v61, 30, v63
	v_and_b32_e32 v61, 2, v61
	s_waitcnt lgkmcnt(0)
	v_add_u16_e32 v59, 1, v57
	ds_write_b16 v60, v59
	v_lshrrev_b32_e32 v59, 20, v63
	v_and_or_b32 v59, v59, s33, v0
	v_lshl_or_b32 v62, v59, 2, v61
	ds_read_u16 v59, v62
	v_lshrrev_b32_e32 v63, 30, v65
	v_and_b32_e32 v63, 2, v63
	s_waitcnt lgkmcnt(0)
	v_add_u16_e32 v61, 1, v59
	ds_write_b16 v62, v61
	v_lshrrev_b32_e32 v61, 20, v65
	v_and_or_b32 v61, v61, s33, v0
	v_lshl_or_b32 v64, v61, 2, v63
	ds_read_u16 v61, v64
	v_lshrrev_b32_e32 v65, 30, v67
	v_and_b32_e32 v65, 2, v65
	s_waitcnt lgkmcnt(0)
	v_add_u16_e32 v63, 1, v61
	ds_write_b16 v64, v63
	v_lshrrev_b32_e32 v63, 20, v67
	v_and_or_b32 v63, v63, s33, v0
	v_lshl_or_b32 v66, v63, 2, v65
	ds_read_u16 v63, v66
	v_lshrrev_b32_e32 v67, 30, v69
	v_and_b32_e32 v67, 2, v67
	s_waitcnt lgkmcnt(0)
	v_add_u16_e32 v65, 1, v63
	ds_write_b16 v66, v65
	v_lshrrev_b32_e32 v65, 20, v69
	v_and_or_b32 v65, v65, s33, v0
	v_lshl_or_b32 v68, v65, 2, v67
	ds_read_u16 v65, v68
	v_lshrrev_b32_e32 v69, 30, v71
	v_and_b32_e32 v69, 2, v69
	s_waitcnt lgkmcnt(0)
	v_add_u16_e32 v67, 1, v65
	ds_write_b16 v68, v67
	v_lshrrev_b32_e32 v67, 20, v71
	v_and_or_b32 v67, v67, s33, v0
	v_lshl_or_b32 v70, v67, 2, v69
	ds_read_u16 v67, v70
	v_lshrrev_b32_e32 v71, 30, v73
	v_and_b32_e32 v71, 2, v71
	s_waitcnt lgkmcnt(0)
	v_add_u16_e32 v69, 1, v67
	ds_write_b16 v70, v69
	v_lshrrev_b32_e32 v69, 20, v73
	v_and_or_b32 v69, v69, s33, v0
	v_lshl_or_b32 v71, v69, 2, v71
	ds_read_u16 v69, v71
	s_waitcnt lgkmcnt(0)
	v_add_u16_e32 v72, 1, v69
	ds_write_b16 v71, v72
	s_waitcnt lgkmcnt(0)
	s_barrier
	ds_read2_b32 v[72:73], v38 offset1:1
	s_waitcnt lgkmcnt(0)
	v_add_u32_e32 v74, v73, v72
	ds_read2_b32 v[72:73], v38 offset0:2 offset1:3
	s_waitcnt lgkmcnt(0)
	v_add3_u32 v74, v74, v72, v73
	ds_read2_b32 v[72:73], v38 offset0:4 offset1:5
	s_waitcnt lgkmcnt(0)
	v_add3_u32 v74, v74, v72, v73
	;; [unrolled: 3-line block ×3, first 2 shown]
	s_nop 1
	v_mov_b32_dpp v73, v72 row_shr:1 row_mask:0xf bank_mask:0xf
	v_cndmask_b32_e64 v73, v73, 0, s[8:9]
	v_add_u32_e32 v72, v73, v72
	s_nop 1
	v_mov_b32_dpp v73, v72 row_shr:2 row_mask:0xf bank_mask:0xf
	v_cndmask_b32_e64 v73, 0, v73, s[10:11]
	v_add_u32_e32 v72, v72, v73
	;; [unrolled: 4-line block ×4, first 2 shown]
	s_nop 1
	v_mov_b32_dpp v73, v72 row_bcast:15 row_mask:0xf bank_mask:0xf
	v_cndmask_b32_e64 v73, v73, 0, s[16:17]
	v_add_u32_e32 v72, v72, v73
	s_nop 1
	v_mov_b32_dpp v73, v72 row_bcast:31 row_mask:0xf bank_mask:0xf
	v_cndmask_b32_e64 v73, 0, v73, s[2:3]
	v_add_u32_e32 v72, v72, v73
	s_and_saveexec_b64 s[26:27], s[4:5]
	s_cbranch_execz .LBB114_12
; %bb.11:                               ;   in Loop: Header=BB114_4 Depth=2
	ds_write_b32 v40, v72 offset:8192
.LBB114_12:                             ;   in Loop: Header=BB114_4 Depth=2
	s_or_b64 exec, exec, s[26:27]
	s_waitcnt lgkmcnt(0)
	s_barrier
	s_and_saveexec_b64 s[26:27], vcc
	s_cbranch_execz .LBB114_14
; %bb.13:                               ;   in Loop: Header=BB114_4 Depth=2
	ds_read_b32 v73, v39 offset:8192
	s_waitcnt lgkmcnt(0)
	s_nop 0
	v_mov_b32_dpp v74, v73 row_shr:1 row_mask:0xf bank_mask:0xf
	v_cndmask_b32_e64 v74, v74, 0, s[18:19]
	v_add_u32_e32 v73, v74, v73
	s_nop 1
	v_mov_b32_dpp v74, v73 row_shr:2 row_mask:0xf bank_mask:0xf
	v_cndmask_b32_e64 v74, 0, v74, s[20:21]
	v_add_u32_e32 v73, v73, v74
	ds_write_b32 v39, v73 offset:8192
.LBB114_14:                             ;   in Loop: Header=BB114_4 Depth=2
	s_or_b64 exec, exec, s[26:27]
	v_mov_b32_e32 v73, 0
	s_waitcnt lgkmcnt(0)
	s_barrier
	s_and_saveexec_b64 s[26:27], s[0:1]
	s_cbranch_execz .LBB114_3
; %bb.15:                               ;   in Loop: Header=BB114_4 Depth=2
	ds_read_b32 v73, v40 offset:8188
	s_branch .LBB114_3
.LBB114_16:
	ds_read_u16 v0, v71
	ds_read_u16 v1, v70
	;; [unrolled: 1-line block ×16, first 2 shown]
	s_lshl_b64 s[0:1], s[24:25], 2
	s_add_u32 s0, s22, s0
	s_waitcnt lgkmcnt(14)
	v_add_u32_sdwa v3, v0, v69 dst_sel:DWORD dst_unused:UNUSED_PAD src0_sel:DWORD src1_sel:WORD_0
	v_add_u32_sdwa v2, v1, v67 dst_sel:DWORD dst_unused:UNUSED_PAD src0_sel:DWORD src1_sel:WORD_0
	s_waitcnt lgkmcnt(13)
	v_add_u32_sdwa v1, v4, v65 dst_sel:DWORD dst_unused:UNUSED_PAD src0_sel:DWORD src1_sel:WORD_0
	s_waitcnt lgkmcnt(12)
	;; [unrolled: 2-line block ×13, first 2 shown]
	v_add_u32_sdwa v12, v18, v36 dst_sel:DWORD dst_unused:UNUSED_PAD src0_sel:DWORD src1_sel:WORD_0
	s_addc_u32 s1, s23, s1
	v_lshlrev_b32_e32 v16, 2, v34
	v_add_u32_sdwa v11, v11, v53 dst_sel:DWORD dst_unused:UNUSED_PAD src0_sel:DWORD src1_sel:WORD_0
	global_store_dwordx4 v16, v[12:15], s[0:1]
	global_store_dwordx4 v16, v[8:11], s[0:1] offset:16
	global_store_dwordx4 v16, v[4:7], s[0:1] offset:32
	;; [unrolled: 1-line block ×3, first 2 shown]
	s_endpgm
	.section	.rodata,"a",@progbits
	.p2align	6, 0x0
	.amdhsa_kernel _Z11rank_kernelIxLj4ELb0EL18RadixRankAlgorithm0ELj256ELj16ELj10EEvPKT_Pi
		.amdhsa_group_segment_fixed_size 8208
		.amdhsa_private_segment_fixed_size 0
		.amdhsa_kernarg_size 16
		.amdhsa_user_sgpr_count 6
		.amdhsa_user_sgpr_private_segment_buffer 1
		.amdhsa_user_sgpr_dispatch_ptr 0
		.amdhsa_user_sgpr_queue_ptr 0
		.amdhsa_user_sgpr_kernarg_segment_ptr 1
		.amdhsa_user_sgpr_dispatch_id 0
		.amdhsa_user_sgpr_flat_scratch_init 0
		.amdhsa_user_sgpr_kernarg_preload_length 0
		.amdhsa_user_sgpr_kernarg_preload_offset 0
		.amdhsa_user_sgpr_private_segment_size 0
		.amdhsa_uses_dynamic_stack 0
		.amdhsa_system_sgpr_private_segment_wavefront_offset 0
		.amdhsa_system_sgpr_workgroup_id_x 1
		.amdhsa_system_sgpr_workgroup_id_y 0
		.amdhsa_system_sgpr_workgroup_id_z 0
		.amdhsa_system_sgpr_workgroup_info 0
		.amdhsa_system_vgpr_workitem_id 0
		.amdhsa_next_free_vgpr 75
		.amdhsa_next_free_sgpr 40
		.amdhsa_accum_offset 76
		.amdhsa_reserve_vcc 1
		.amdhsa_reserve_flat_scratch 0
		.amdhsa_float_round_mode_32 0
		.amdhsa_float_round_mode_16_64 0
		.amdhsa_float_denorm_mode_32 3
		.amdhsa_float_denorm_mode_16_64 3
		.amdhsa_dx10_clamp 1
		.amdhsa_ieee_mode 1
		.amdhsa_fp16_overflow 0
		.amdhsa_tg_split 0
		.amdhsa_exception_fp_ieee_invalid_op 0
		.amdhsa_exception_fp_denorm_src 0
		.amdhsa_exception_fp_ieee_div_zero 0
		.amdhsa_exception_fp_ieee_overflow 0
		.amdhsa_exception_fp_ieee_underflow 0
		.amdhsa_exception_fp_ieee_inexact 0
		.amdhsa_exception_int_div_zero 0
	.end_amdhsa_kernel
	.section	.text._Z11rank_kernelIxLj4ELb0EL18RadixRankAlgorithm0ELj256ELj16ELj10EEvPKT_Pi,"axG",@progbits,_Z11rank_kernelIxLj4ELb0EL18RadixRankAlgorithm0ELj256ELj16ELj10EEvPKT_Pi,comdat
.Lfunc_end114:
	.size	_Z11rank_kernelIxLj4ELb0EL18RadixRankAlgorithm0ELj256ELj16ELj10EEvPKT_Pi, .Lfunc_end114-_Z11rank_kernelIxLj4ELb0EL18RadixRankAlgorithm0ELj256ELj16ELj10EEvPKT_Pi
                                        ; -- End function
	.section	.AMDGPU.csdata,"",@progbits
; Kernel info:
; codeLenInByte = 2492
; NumSgprs: 44
; NumVgprs: 75
; NumAgprs: 0
; TotalNumVgprs: 75
; ScratchSize: 0
; MemoryBound: 0
; FloatMode: 240
; IeeeMode: 1
; LDSByteSize: 8208 bytes/workgroup (compile time only)
; SGPRBlocks: 5
; VGPRBlocks: 9
; NumSGPRsForWavesPerEU: 44
; NumVGPRsForWavesPerEU: 75
; AccumOffset: 76
; Occupancy: 6
; WaveLimiterHint : 0
; COMPUTE_PGM_RSRC2:SCRATCH_EN: 0
; COMPUTE_PGM_RSRC2:USER_SGPR: 6
; COMPUTE_PGM_RSRC2:TRAP_HANDLER: 0
; COMPUTE_PGM_RSRC2:TGID_X_EN: 1
; COMPUTE_PGM_RSRC2:TGID_Y_EN: 0
; COMPUTE_PGM_RSRC2:TGID_Z_EN: 0
; COMPUTE_PGM_RSRC2:TIDIG_COMP_CNT: 0
; COMPUTE_PGM_RSRC3_GFX90A:ACCUM_OFFSET: 18
; COMPUTE_PGM_RSRC3_GFX90A:TG_SPLIT: 0
	.section	.text._Z11rank_kernelIxLj4ELb0EL18RadixRankAlgorithm1ELj256ELj16ELj10EEvPKT_Pi,"axG",@progbits,_Z11rank_kernelIxLj4ELb0EL18RadixRankAlgorithm1ELj256ELj16ELj10EEvPKT_Pi,comdat
	.protected	_Z11rank_kernelIxLj4ELb0EL18RadixRankAlgorithm1ELj256ELj16ELj10EEvPKT_Pi ; -- Begin function _Z11rank_kernelIxLj4ELb0EL18RadixRankAlgorithm1ELj256ELj16ELj10EEvPKT_Pi
	.globl	_Z11rank_kernelIxLj4ELb0EL18RadixRankAlgorithm1ELj256ELj16ELj10EEvPKT_Pi
	.p2align	8
	.type	_Z11rank_kernelIxLj4ELb0EL18RadixRankAlgorithm1ELj256ELj16ELj10EEvPKT_Pi,@function
_Z11rank_kernelIxLj4ELb0EL18RadixRankAlgorithm1ELj256ELj16ELj10EEvPKT_Pi: ; @_Z11rank_kernelIxLj4ELb0EL18RadixRankAlgorithm1ELj256ELj16ELj10EEvPKT_Pi
; %bb.0:
	s_load_dwordx4 s[20:23], s[4:5], 0x0
	s_lshl_b32 s24, s6, 12
	s_mov_b32 s25, 0
	s_lshl_b64 s[0:1], s[24:25], 3
	v_lshlrev_b32_e32 v1, 7, v0
	s_waitcnt lgkmcnt(0)
	s_add_u32 s0, s20, s0
	s_addc_u32 s1, s21, s1
	global_load_dwordx4 v[2:5], v1, s[0:1]
	global_load_dwordx4 v[6:9], v1, s[0:1] offset:16
	global_load_dwordx4 v[10:13], v1, s[0:1] offset:32
	;; [unrolled: 1-line block ×7, first 2 shown]
	v_mbcnt_lo_u32_b32 v1, -1, 0
	v_mbcnt_hi_u32_b32 v36, -1, v1
	v_or_b32_e32 v37, 63, v0
	v_cmp_eq_u32_e64 s[4:5], v37, v0
	v_add_u32_e32 v37, -1, v36
	v_and_b32_e32 v41, 64, v36
	v_lshrrev_b32_e32 v38, 4, v0
	v_cmp_lt_i32_e64 s[18:19], v37, v41
	v_and_b32_e32 v39, 15, v36
	v_and_b32_e32 v40, 16, v36
	v_cmp_lt_u32_e64 s[2:3], 31, v36
	v_cmp_eq_u32_e64 s[6:7], 0, v36
	v_and_b32_e32 v46, 12, v38
	v_and_b32_e32 v38, 3, v36
	v_cndmask_b32_e64 v36, v37, v36, s[18:19]
	v_mov_b32_e32 v35, 0
	s_movk_i32 s33, 0x700
	v_lshlrev_b32_e32 v34, 4, v0
	v_lshlrev_b32_e32 v44, 5, v0
	v_cmp_gt_u32_e32 vcc, 4, v0
	v_cmp_lt_u32_e64 s[0:1], 63, v0
	v_lshlrev_b32_e32 v45, 2, v0
	v_or_b32_e32 v1, 0x100, v0
	v_cmp_eq_u32_e64 s[8:9], 0, v39
	v_cmp_lt_u32_e64 s[10:11], 1, v39
	v_cmp_lt_u32_e64 s[12:13], 3, v39
	;; [unrolled: 1-line block ×3, first 2 shown]
	v_cmp_eq_u32_e64 s[16:17], 0, v40
	v_cmp_eq_u32_e64 s[18:19], 0, v38
	v_cmp_lt_u32_e64 s[20:21], 1, v38
	v_lshlrev_b32_e32 v47, 2, v36
	s_mov_b32 s34, s25
	s_waitcnt vmcnt(7)
	v_xor_b32_e32 v3, 0x80000000, v3
	v_xor_b32_e32 v5, 0x80000000, v5
	s_waitcnt vmcnt(6)
	v_xor_b32_e32 v7, 0x80000000, v7
	v_xor_b32_e32 v9, 0x80000000, v9
	s_waitcnt vmcnt(5)
	v_xor_b32_e32 v11, 0x80000000, v11
	v_xor_b32_e32 v13, 0x80000000, v13
	s_waitcnt vmcnt(4)
	v_xor_b32_e32 v15, 0x80000000, v15
	v_xor_b32_e32 v17, 0x80000000, v17
	s_waitcnt vmcnt(3)
	v_xor_b32_e32 v19, 0x80000000, v19
	v_xor_b32_e32 v21, 0x80000000, v21
	s_waitcnt vmcnt(2)
	v_xor_b32_e32 v23, 0x80000000, v23
	v_xor_b32_e32 v25, 0x80000000, v25
	s_waitcnt vmcnt(1)
	v_xor_b32_e32 v27, 0x80000000, v27
	v_xor_b32_e32 v29, 0x80000000, v29
	s_waitcnt vmcnt(0)
	v_xor_b32_e32 v31, 0x80000000, v31
	v_xor_b32_e32 v33, 0x80000000, v33
	s_branch .LBB115_2
.LBB115_1:                              ;   in Loop: Header=BB115_2 Depth=1
	s_add_i32 s34, s34, 1
	s_cmp_eq_u32 s34, 10
	s_cbranch_scc1 .LBB115_16
.LBB115_2:                              ; =>This Loop Header: Depth=1
                                        ;     Child Loop BB115_4 Depth 2
                                        ;       Child Loop BB115_6 Depth 3
	s_mov_b32 s35, 0
	s_branch .LBB115_4
.LBB115_3:                              ;   in Loop: Header=BB115_4 Depth=2
	s_or_b64 exec, exec, s[26:27]
	s_waitcnt lgkmcnt(0)
	v_add_u32_e32 v39, v80, v39
	ds_bpermute_b32 v39, v47, v39
	ds_read_b32 v81, v35 offset:8204
	s_add_i32 s26, s35, 4
	s_cmp_lt_u32 s35, 60
	s_mov_b32 s35, s26
	s_waitcnt lgkmcnt(1)
	v_cndmask_b32_e64 v39, v39, v80, s[6:7]
	s_waitcnt lgkmcnt(0)
	v_lshl_add_u32 v39, v81, 16, v39
	v_add_u32_e32 v42, v39, v42
	v_add_u32_e32 v43, v42, v43
	ds_write2_b32 v44, v39, v42 offset1:1
	v_add_u32_e32 v39, v43, v40
	v_add_u32_e32 v40, v39, v41
	;; [unrolled: 1-line block ×4, first 2 shown]
	ds_write2_b32 v44, v40, v36 offset0:4 offset1:5
	v_add_u32_e32 v36, v37, v38
	ds_write2_b32 v44, v43, v39 offset0:2 offset1:3
	ds_write2_b32 v44, v37, v36 offset0:6 offset1:7
	s_waitcnt lgkmcnt(0)
	s_barrier
	s_cbranch_scc0 .LBB115_1
.LBB115_4:                              ;   Parent Loop BB115_2 Depth=1
                                        ; =>  This Loop Header: Depth=2
                                        ;       Child Loop BB115_6 Depth 3
	s_mov_b32 s36, 0
	s_mov_b64 s[26:27], 0
	v_pk_mov_b32 v[36:37], v[0:1], v[0:1] op_sel:[0,1]
	s_branch .LBB115_6
.LBB115_5:                              ;   in Loop: Header=BB115_6 Depth=3
	s_or_b64 exec, exec, s[30:31]
	s_add_i32 s36, s36, 2
	v_cmp_eq_u32_e64 s[28:29], 8, s36
	v_add_u32_e32 v37, 0x200, v37
	s_or_b64 s[26:27], s[28:29], s[26:27]
	v_add_u32_e32 v36, 0x200, v36
	s_andn2_b64 exec, exec, s[26:27]
	s_cbranch_execz .LBB115_10
.LBB115_6:                              ;   Parent Loop BB115_2 Depth=1
                                        ;     Parent Loop BB115_4 Depth=2
                                        ; =>    This Inner Loop Header: Depth=3
	s_or_b32 s28, s36, 1
	v_cmp_le_u32_e64 s[28:29], s28, 7
	v_cmp_le_u32_e64 s[38:39], s36, 7
	s_and_saveexec_b64 s[30:31], s[38:39]
	s_cbranch_execz .LBB115_8
; %bb.7:                                ;   in Loop: Header=BB115_6 Depth=3
	v_lshlrev_b32_e32 v38, 2, v36
	ds_write_b32 v38, v35
.LBB115_8:                              ;   in Loop: Header=BB115_6 Depth=3
	s_or_b64 exec, exec, s[30:31]
	s_and_saveexec_b64 s[30:31], s[28:29]
	s_cbranch_execz .LBB115_5
; %bb.9:                                ;   in Loop: Header=BB115_6 Depth=3
	v_lshlrev_b32_e32 v38, 2, v37
	ds_write_b32 v38, v35
	s_branch .LBB115_5
.LBB115_10:                             ;   in Loop: Header=BB115_4 Depth=2
	s_or_b64 exec, exec, s[26:27]
	s_sub_i32 s26, 60, s35
	v_lshlrev_b64 v[36:37], s26, v[2:3]
	v_lshrrev_b32_e32 v36, 20, v37
	v_lshrrev_b32_e32 v37, 30, v37
	v_and_or_b32 v36, v36, s33, v0
	v_and_b32_e32 v37, 2, v37
	v_lshl_or_b32 v50, v36, 2, v37
	ds_read_u16 v48, v50
	v_lshlrev_b64 v[36:37], s26, v[4:5]
	v_lshrrev_b32_e32 v36, 20, v37
	v_lshrrev_b32_e32 v37, 30, v37
	v_and_or_b32 v36, v36, s33, v0
	s_waitcnt lgkmcnt(0)
	v_add_u16_e32 v38, 1, v48
	v_and_b32_e32 v37, 2, v37
	ds_write_b16 v50, v38
	v_lshl_or_b32 v52, v36, 2, v37
	ds_read_u16 v49, v52
	s_waitcnt lgkmcnt(0)
	v_add_u16_e32 v36, 1, v49
	ds_write_b16 v52, v36
	v_lshlrev_b64 v[36:37], s26, v[6:7]
	v_lshrrev_b32_e32 v36, 20, v37
	v_lshrrev_b32_e32 v37, 30, v37
	v_and_or_b32 v36, v36, s33, v0
	v_and_b32_e32 v37, 2, v37
	v_lshl_or_b32 v54, v36, 2, v37
	ds_read_u16 v51, v54
	s_waitcnt lgkmcnt(0)
	v_add_u16_e32 v36, 1, v51
	ds_write_b16 v54, v36
	v_lshlrev_b64 v[36:37], s26, v[8:9]
	v_lshrrev_b32_e32 v36, 20, v37
	v_lshrrev_b32_e32 v37, 30, v37
	v_and_or_b32 v36, v36, s33, v0
	v_and_b32_e32 v37, 2, v37
	;; [unrolled: 10-line block ×14, first 2 shown]
	v_lshl_or_b32 v79, v36, 2, v37
	ds_read_u16 v77, v79
	s_waitcnt lgkmcnt(0)
	v_add_u16_e32 v36, 1, v77
	ds_write_b16 v79, v36
	s_waitcnt lgkmcnt(0)
	s_barrier
	ds_read2_b32 v[42:43], v44 offset1:1
	ds_read2_b32 v[40:41], v44 offset0:2 offset1:3
	ds_read2_b32 v[36:37], v44 offset0:4 offset1:5
	;; [unrolled: 1-line block ×3, first 2 shown]
	s_waitcnt lgkmcnt(3)
	v_add_u32_e32 v80, v43, v42
	s_waitcnt lgkmcnt(2)
	v_add3_u32 v80, v80, v40, v41
	s_waitcnt lgkmcnt(1)
	v_add3_u32 v80, v80, v36, v37
	;; [unrolled: 2-line block ×3, first 2 shown]
	s_nop 1
	v_mov_b32_dpp v80, v39 row_shr:1 row_mask:0xf bank_mask:0xf
	v_cndmask_b32_e64 v80, v80, 0, s[8:9]
	v_add_u32_e32 v39, v80, v39
	s_nop 1
	v_mov_b32_dpp v80, v39 row_shr:2 row_mask:0xf bank_mask:0xf
	v_cndmask_b32_e64 v80, 0, v80, s[10:11]
	v_add_u32_e32 v39, v39, v80
	;; [unrolled: 4-line block ×4, first 2 shown]
	s_nop 1
	v_mov_b32_dpp v80, v39 row_bcast:15 row_mask:0xf bank_mask:0xf
	v_cndmask_b32_e64 v80, v80, 0, s[16:17]
	v_add_u32_e32 v39, v39, v80
	s_nop 1
	v_mov_b32_dpp v80, v39 row_bcast:31 row_mask:0xf bank_mask:0xf
	v_cndmask_b32_e64 v80, 0, v80, s[2:3]
	v_add_u32_e32 v39, v39, v80
	s_and_saveexec_b64 s[26:27], s[4:5]
	s_cbranch_execz .LBB115_12
; %bb.11:                               ;   in Loop: Header=BB115_4 Depth=2
	ds_write_b32 v46, v39 offset:8192
.LBB115_12:                             ;   in Loop: Header=BB115_4 Depth=2
	s_or_b64 exec, exec, s[26:27]
	s_waitcnt lgkmcnt(0)
	s_barrier
	s_and_saveexec_b64 s[26:27], vcc
	s_cbranch_execz .LBB115_14
; %bb.13:                               ;   in Loop: Header=BB115_4 Depth=2
	ds_read_b32 v80, v45 offset:8192
	s_waitcnt lgkmcnt(0)
	s_nop 0
	v_mov_b32_dpp v81, v80 row_shr:1 row_mask:0xf bank_mask:0xf
	v_cndmask_b32_e64 v81, v81, 0, s[18:19]
	v_add_u32_e32 v80, v81, v80
	s_nop 1
	v_mov_b32_dpp v81, v80 row_shr:2 row_mask:0xf bank_mask:0xf
	v_cndmask_b32_e64 v81, 0, v81, s[20:21]
	v_add_u32_e32 v80, v80, v81
	ds_write_b32 v45, v80 offset:8192
.LBB115_14:                             ;   in Loop: Header=BB115_4 Depth=2
	s_or_b64 exec, exec, s[26:27]
	v_mov_b32_e32 v80, 0
	s_waitcnt lgkmcnt(0)
	s_barrier
	s_and_saveexec_b64 s[26:27], s[0:1]
	s_cbranch_execz .LBB115_3
; %bb.15:                               ;   in Loop: Header=BB115_4 Depth=2
	ds_read_b32 v80, v46 offset:8188
	s_branch .LBB115_3
.LBB115_16:
	ds_read_u16 v0, v79
	ds_read_u16 v1, v78
	;; [unrolled: 1-line block ×16, first 2 shown]
	s_lshl_b64 s[0:1], s[24:25], 2
	s_add_u32 s0, s22, s0
	s_waitcnt lgkmcnt(14)
	v_add_u32_sdwa v3, v0, v77 dst_sel:DWORD dst_unused:UNUSED_PAD src0_sel:DWORD src1_sel:WORD_0
	v_add_u32_sdwa v2, v1, v75 dst_sel:DWORD dst_unused:UNUSED_PAD src0_sel:DWORD src1_sel:WORD_0
	s_waitcnt lgkmcnt(13)
	v_add_u32_sdwa v1, v4, v73 dst_sel:DWORD dst_unused:UNUSED_PAD src0_sel:DWORD src1_sel:WORD_0
	s_waitcnt lgkmcnt(12)
	;; [unrolled: 2-line block ×13, first 2 shown]
	v_add_u32_sdwa v12, v18, v48 dst_sel:DWORD dst_unused:UNUSED_PAD src0_sel:DWORD src1_sel:WORD_0
	s_addc_u32 s1, s23, s1
	v_lshlrev_b32_e32 v16, 2, v34
	v_add_u32_sdwa v11, v11, v61 dst_sel:DWORD dst_unused:UNUSED_PAD src0_sel:DWORD src1_sel:WORD_0
	global_store_dwordx4 v16, v[12:15], s[0:1]
	global_store_dwordx4 v16, v[8:11], s[0:1] offset:16
	global_store_dwordx4 v16, v[4:7], s[0:1] offset:32
	;; [unrolled: 1-line block ×3, first 2 shown]
	s_endpgm
	.section	.rodata,"a",@progbits
	.p2align	6, 0x0
	.amdhsa_kernel _Z11rank_kernelIxLj4ELb0EL18RadixRankAlgorithm1ELj256ELj16ELj10EEvPKT_Pi
		.amdhsa_group_segment_fixed_size 8208
		.amdhsa_private_segment_fixed_size 0
		.amdhsa_kernarg_size 16
		.amdhsa_user_sgpr_count 6
		.amdhsa_user_sgpr_private_segment_buffer 1
		.amdhsa_user_sgpr_dispatch_ptr 0
		.amdhsa_user_sgpr_queue_ptr 0
		.amdhsa_user_sgpr_kernarg_segment_ptr 1
		.amdhsa_user_sgpr_dispatch_id 0
		.amdhsa_user_sgpr_flat_scratch_init 0
		.amdhsa_user_sgpr_kernarg_preload_length 0
		.amdhsa_user_sgpr_kernarg_preload_offset 0
		.amdhsa_user_sgpr_private_segment_size 0
		.amdhsa_uses_dynamic_stack 0
		.amdhsa_system_sgpr_private_segment_wavefront_offset 0
		.amdhsa_system_sgpr_workgroup_id_x 1
		.amdhsa_system_sgpr_workgroup_id_y 0
		.amdhsa_system_sgpr_workgroup_id_z 0
		.amdhsa_system_sgpr_workgroup_info 0
		.amdhsa_system_vgpr_workitem_id 0
		.amdhsa_next_free_vgpr 82
		.amdhsa_next_free_sgpr 40
		.amdhsa_accum_offset 84
		.amdhsa_reserve_vcc 1
		.amdhsa_reserve_flat_scratch 0
		.amdhsa_float_round_mode_32 0
		.amdhsa_float_round_mode_16_64 0
		.amdhsa_float_denorm_mode_32 3
		.amdhsa_float_denorm_mode_16_64 3
		.amdhsa_dx10_clamp 1
		.amdhsa_ieee_mode 1
		.amdhsa_fp16_overflow 0
		.amdhsa_tg_split 0
		.amdhsa_exception_fp_ieee_invalid_op 0
		.amdhsa_exception_fp_denorm_src 0
		.amdhsa_exception_fp_ieee_div_zero 0
		.amdhsa_exception_fp_ieee_overflow 0
		.amdhsa_exception_fp_ieee_underflow 0
		.amdhsa_exception_fp_ieee_inexact 0
		.amdhsa_exception_int_div_zero 0
	.end_amdhsa_kernel
	.section	.text._Z11rank_kernelIxLj4ELb0EL18RadixRankAlgorithm1ELj256ELj16ELj10EEvPKT_Pi,"axG",@progbits,_Z11rank_kernelIxLj4ELb0EL18RadixRankAlgorithm1ELj256ELj16ELj10EEvPKT_Pi,comdat
.Lfunc_end115:
	.size	_Z11rank_kernelIxLj4ELb0EL18RadixRankAlgorithm1ELj256ELj16ELj10EEvPKT_Pi, .Lfunc_end115-_Z11rank_kernelIxLj4ELb0EL18RadixRankAlgorithm1ELj256ELj16ELj10EEvPKT_Pi
                                        ; -- End function
	.section	.AMDGPU.csdata,"",@progbits
; Kernel info:
; codeLenInByte = 2444
; NumSgprs: 44
; NumVgprs: 82
; NumAgprs: 0
; TotalNumVgprs: 82
; ScratchSize: 0
; MemoryBound: 0
; FloatMode: 240
; IeeeMode: 1
; LDSByteSize: 8208 bytes/workgroup (compile time only)
; SGPRBlocks: 5
; VGPRBlocks: 10
; NumSGPRsForWavesPerEU: 44
; NumVGPRsForWavesPerEU: 82
; AccumOffset: 84
; Occupancy: 5
; WaveLimiterHint : 0
; COMPUTE_PGM_RSRC2:SCRATCH_EN: 0
; COMPUTE_PGM_RSRC2:USER_SGPR: 6
; COMPUTE_PGM_RSRC2:TRAP_HANDLER: 0
; COMPUTE_PGM_RSRC2:TGID_X_EN: 1
; COMPUTE_PGM_RSRC2:TGID_Y_EN: 0
; COMPUTE_PGM_RSRC2:TGID_Z_EN: 0
; COMPUTE_PGM_RSRC2:TIDIG_COMP_CNT: 0
; COMPUTE_PGM_RSRC3_GFX90A:ACCUM_OFFSET: 20
; COMPUTE_PGM_RSRC3_GFX90A:TG_SPLIT: 0
	.section	.text._Z11rank_kernelIxLj4ELb0EL18RadixRankAlgorithm2ELj256ELj16ELj10EEvPKT_Pi,"axG",@progbits,_Z11rank_kernelIxLj4ELb0EL18RadixRankAlgorithm2ELj256ELj16ELj10EEvPKT_Pi,comdat
	.protected	_Z11rank_kernelIxLj4ELb0EL18RadixRankAlgorithm2ELj256ELj16ELj10EEvPKT_Pi ; -- Begin function _Z11rank_kernelIxLj4ELb0EL18RadixRankAlgorithm2ELj256ELj16ELj10EEvPKT_Pi
	.globl	_Z11rank_kernelIxLj4ELb0EL18RadixRankAlgorithm2ELj256ELj16ELj10EEvPKT_Pi
	.p2align	8
	.type	_Z11rank_kernelIxLj4ELb0EL18RadixRankAlgorithm2ELj256ELj16ELj10EEvPKT_Pi,@function
_Z11rank_kernelIxLj4ELb0EL18RadixRankAlgorithm2ELj256ELj16ELj10EEvPKT_Pi: ; @_Z11rank_kernelIxLj4ELb0EL18RadixRankAlgorithm2ELj256ELj16ELj10EEvPKT_Pi
; %bb.0:
	s_load_dwordx4 s[24:27], s[4:5], 0x0
	s_load_dword s22, s[4:5], 0x1c
	s_lshl_b32 s28, s6, 12
	s_mov_b32 s29, 0
	s_lshl_b64 s[0:1], s[28:29], 3
	s_waitcnt lgkmcnt(0)
	s_add_u32 s0, s24, s0
	v_and_b32_e32 v36, 0x3ff, v0
	s_addc_u32 s1, s25, s1
	v_lshlrev_b32_e32 v1, 7, v36
	global_load_dwordx4 v[2:5], v1, s[0:1]
	global_load_dwordx4 v[6:9], v1, s[0:1] offset:16
	global_load_dwordx4 v[10:13], v1, s[0:1] offset:32
	;; [unrolled: 1-line block ×7, first 2 shown]
	v_mbcnt_lo_u32_b32 v1, -1, 0
	v_mbcnt_hi_u32_b32 v38, -1, v1
	v_bfe_u32 v35, v0, 10, 10
	v_bfe_u32 v37, v0, 20, 10
	v_add_u32_e32 v42, -1, v38
	v_and_b32_e32 v43, 64, v38
	s_lshr_b32 s23, s22, 16
	v_and_b32_e32 v39, 15, v38
	v_or_b32_e32 v41, 63, v36
	v_lshrrev_b32_e32 v44, 4, v36
	v_cmp_lt_i32_e64 s[18:19], v42, v43
	s_and_b32 s22, s22, 0xffff
	v_mad_u32_u24 v35, v37, s23, v35
	v_lshlrev_b32_e32 v0, 4, v36
	v_lshlrev_b32_e32 v1, 2, v36
	v_and_b32_e32 v40, 16, v38
	v_cmp_lt_u32_e32 vcc, 31, v38
	v_cmp_gt_u32_e64 s[0:1], 4, v36
	v_cmp_lt_u32_e64 s[2:3], 63, v36
	v_cmp_eq_u32_e64 s[4:5], 0, v38
	v_and_b32_e32 v45, 3, v38
	v_cmp_eq_u32_e64 s[6:7], 0, v39
	v_cmp_lt_u32_e64 s[8:9], 1, v39
	v_cmp_lt_u32_e64 s[10:11], 3, v39
	;; [unrolled: 1-line block ×3, first 2 shown]
	v_cmp_eq_u32_e64 s[16:17], v41, v36
	v_cndmask_b32_e64 v39, v42, v38, s[18:19]
	v_and_b32_e32 v38, 12, v44
	v_mad_u64_u32 v[36:37], s[22:23], v35, s22, v[36:37]
	v_mov_b32_e32 v34, 0
	v_cmp_eq_u32_e64 s[14:15], 0, v40
	v_cmp_eq_u32_e64 s[18:19], 0, v45
	v_cmp_lt_u32_e64 s[20:21], 1, v45
	v_lshlrev_b32_e32 v39, 2, v39
	v_add_u32_e32 v40, -4, v38
	v_lshrrev_b32_e32 v41, 6, v36
	s_mov_b32 s33, s29
	s_waitcnt vmcnt(7)
	v_xor_b32_e32 v3, 0x80000000, v3
	v_xor_b32_e32 v5, 0x80000000, v5
	s_waitcnt vmcnt(6)
	v_xor_b32_e32 v7, 0x80000000, v7
	v_xor_b32_e32 v9, 0x80000000, v9
	;; [unrolled: 3-line block ×8, first 2 shown]
	s_branch .LBB116_2
.LBB116_1:                              ;   in Loop: Header=BB116_2 Depth=1
	s_add_i32 s33, s33, 1
	s_cmp_eq_u32 s33, 10
	s_cbranch_scc1 .LBB116_42
.LBB116_2:                              ; =>This Loop Header: Depth=1
                                        ;     Child Loop BB116_4 Depth 2
	s_mov_b64 s[30:31], 60
	s_mov_b32 s34, -4
	s_branch .LBB116_4
.LBB116_3:                              ;   in Loop: Header=BB116_4 Depth=2
	s_or_b64 exec, exec, s[22:23]
	s_waitcnt lgkmcnt(0)
	v_add_u32_e32 v36, v37, v36
	ds_bpermute_b32 v36, v39, v36
	s_add_i32 s34, s34, 4
	s_add_u32 s30, s30, -4
	s_addc_u32 s31, s31, -1
	s_cmp_lt_u32 s34, 60
	s_waitcnt lgkmcnt(0)
	v_cndmask_b32_e64 v36, v36, v37, s[4:5]
	ds_write_b32 v1, v36 offset:16
	s_waitcnt lgkmcnt(0)
	s_barrier
	s_cbranch_scc0 .LBB116_1
.LBB116_4:                              ;   Parent Loop BB116_2 Depth=1
                                        ; =>  This Inner Loop Header: Depth=2
	v_lshlrev_b64 v[36:37], s30, v[2:3]
	v_lshrrev_b32_e32 v43, 28, v37
	v_mad_u32_u24 v35, v43, 5, v41
	v_lshl_add_u32 v42, v35, 2, 16
	v_bfe_u32 v35, v37, 28, 1
	v_add_co_u32_e64 v44, s[22:23], -1, v35
	v_addc_co_u32_e64 v45, s[22:23], 0, -1, s[22:23]
	v_cmp_ne_u32_e64 s[22:23], 0, v35
	v_xor_b32_e32 v35, s23, v45
	v_and_b32_e32 v45, exec_hi, v35
	v_lshlrev_b32_e32 v35, 30, v43
	v_xor_b32_e32 v44, s22, v44
	v_cmp_gt_i64_e64 s[22:23], 0, v[34:35]
	v_not_b32_e32 v35, v35
	v_ashrrev_i32_e32 v35, 31, v35
	v_and_b32_e32 v44, exec_lo, v44
	v_xor_b32_e32 v46, s23, v35
	v_xor_b32_e32 v35, s22, v35
	v_and_b32_e32 v44, v44, v35
	v_lshlrev_b32_e32 v35, 29, v43
	v_cmp_gt_i64_e64 s[22:23], 0, v[34:35]
	v_not_b32_e32 v35, v35
	v_ashrrev_i32_e32 v35, 31, v35
	v_xor_b32_e32 v43, s23, v35
	v_xor_b32_e32 v35, s22, v35
	v_cmp_gt_i64_e64 s[22:23], 0, v[36:37]
	v_not_b32_e32 v36, v37
	v_ashrrev_i32_e32 v36, 31, v36
	v_and_b32_e32 v45, v45, v46
	v_and_b32_e32 v35, v44, v35
	v_xor_b32_e32 v37, s23, v36
	v_xor_b32_e32 v36, s22, v36
	v_and_b32_e32 v43, v45, v43
	v_and_b32_e32 v36, v35, v36
	;; [unrolled: 1-line block ×3, first 2 shown]
	v_mbcnt_lo_u32_b32 v35, v36, 0
	v_mbcnt_hi_u32_b32 v43, v37, v35
	v_cmp_eq_u32_e64 s[22:23], 0, v43
	v_cmp_ne_u64_e64 s[24:25], 0, v[36:37]
	s_and_b64 s[24:25], s[24:25], s[22:23]
	ds_write_b32 v1, v34 offset:16
	s_waitcnt lgkmcnt(0)
	s_barrier
	s_waitcnt lgkmcnt(0)
	; wave barrier
	s_and_saveexec_b64 s[22:23], s[24:25]
	s_cbranch_execz .LBB116_6
; %bb.5:                                ;   in Loop: Header=BB116_4 Depth=2
	v_bcnt_u32_b32 v35, v36, 0
	v_bcnt_u32_b32 v35, v37, v35
	ds_write_b32 v42, v35
.LBB116_6:                              ;   in Loop: Header=BB116_4 Depth=2
	s_or_b64 exec, exec, s[22:23]
	v_lshlrev_b64 v[36:37], s30, v[4:5]
	v_lshrrev_b32_e32 v46, 28, v37
	v_mul_u32_u24_e32 v35, 5, v46
	v_add_lshl_u32 v35, v41, v35, 2
	; wave barrier
	v_add_u32_e32 v45, 16, v35
	ds_read_b32 v44, v35 offset:16
	v_bfe_u32 v35, v37, 28, 1
	v_add_co_u32_e64 v47, s[22:23], -1, v35
	v_addc_co_u32_e64 v48, s[22:23], 0, -1, s[22:23]
	v_cmp_ne_u32_e64 s[22:23], 0, v35
	v_xor_b32_e32 v35, s23, v48
	v_and_b32_e32 v48, exec_hi, v35
	v_lshlrev_b32_e32 v35, 30, v46
	v_xor_b32_e32 v47, s22, v47
	v_cmp_gt_i64_e64 s[22:23], 0, v[34:35]
	v_not_b32_e32 v35, v35
	v_ashrrev_i32_e32 v35, 31, v35
	v_and_b32_e32 v47, exec_lo, v47
	v_xor_b32_e32 v49, s23, v35
	v_xor_b32_e32 v35, s22, v35
	v_and_b32_e32 v47, v47, v35
	v_lshlrev_b32_e32 v35, 29, v46
	v_cmp_gt_i64_e64 s[22:23], 0, v[34:35]
	v_not_b32_e32 v35, v35
	v_ashrrev_i32_e32 v35, 31, v35
	v_xor_b32_e32 v46, s23, v35
	v_xor_b32_e32 v35, s22, v35
	v_cmp_gt_i64_e64 s[22:23], 0, v[36:37]
	v_not_b32_e32 v36, v37
	v_ashrrev_i32_e32 v36, 31, v36
	v_and_b32_e32 v48, v48, v49
	v_and_b32_e32 v35, v47, v35
	v_xor_b32_e32 v37, s23, v36
	v_xor_b32_e32 v36, s22, v36
	v_and_b32_e32 v46, v48, v46
	v_and_b32_e32 v36, v35, v36
	;; [unrolled: 1-line block ×3, first 2 shown]
	v_mbcnt_lo_u32_b32 v35, v36, 0
	v_mbcnt_hi_u32_b32 v46, v37, v35
	v_cmp_eq_u32_e64 s[22:23], 0, v46
	v_cmp_ne_u64_e64 s[24:25], 0, v[36:37]
	s_and_b64 s[24:25], s[24:25], s[22:23]
	; wave barrier
	s_and_saveexec_b64 s[22:23], s[24:25]
	s_cbranch_execz .LBB116_8
; %bb.7:                                ;   in Loop: Header=BB116_4 Depth=2
	v_bcnt_u32_b32 v35, v36, 0
	v_bcnt_u32_b32 v35, v37, v35
	s_waitcnt lgkmcnt(0)
	v_add_u32_e32 v35, v44, v35
	ds_write_b32 v45, v35
.LBB116_8:                              ;   in Loop: Header=BB116_4 Depth=2
	s_or_b64 exec, exec, s[22:23]
	v_lshlrev_b64 v[36:37], s30, v[6:7]
	v_lshrrev_b32_e32 v49, 28, v37
	v_mul_u32_u24_e32 v35, 5, v49
	v_add_lshl_u32 v35, v41, v35, 2
	; wave barrier
	v_add_u32_e32 v48, 16, v35
	ds_read_b32 v47, v35 offset:16
	v_bfe_u32 v35, v37, 28, 1
	v_add_co_u32_e64 v50, s[22:23], -1, v35
	v_addc_co_u32_e64 v51, s[22:23], 0, -1, s[22:23]
	v_cmp_ne_u32_e64 s[22:23], 0, v35
	v_xor_b32_e32 v35, s23, v51
	v_and_b32_e32 v51, exec_hi, v35
	v_lshlrev_b32_e32 v35, 30, v49
	v_xor_b32_e32 v50, s22, v50
	v_cmp_gt_i64_e64 s[22:23], 0, v[34:35]
	v_not_b32_e32 v35, v35
	v_ashrrev_i32_e32 v35, 31, v35
	v_and_b32_e32 v50, exec_lo, v50
	v_xor_b32_e32 v52, s23, v35
	v_xor_b32_e32 v35, s22, v35
	v_and_b32_e32 v50, v50, v35
	v_lshlrev_b32_e32 v35, 29, v49
	v_cmp_gt_i64_e64 s[22:23], 0, v[34:35]
	v_not_b32_e32 v35, v35
	v_ashrrev_i32_e32 v35, 31, v35
	v_xor_b32_e32 v49, s23, v35
	v_xor_b32_e32 v35, s22, v35
	v_cmp_gt_i64_e64 s[22:23], 0, v[36:37]
	v_not_b32_e32 v36, v37
	v_ashrrev_i32_e32 v36, 31, v36
	v_and_b32_e32 v51, v51, v52
	v_and_b32_e32 v35, v50, v35
	v_xor_b32_e32 v37, s23, v36
	v_xor_b32_e32 v36, s22, v36
	v_and_b32_e32 v49, v51, v49
	v_and_b32_e32 v36, v35, v36
	;; [unrolled: 1-line block ×3, first 2 shown]
	v_mbcnt_lo_u32_b32 v35, v36, 0
	v_mbcnt_hi_u32_b32 v49, v37, v35
	v_cmp_eq_u32_e64 s[22:23], 0, v49
	v_cmp_ne_u64_e64 s[24:25], 0, v[36:37]
	s_and_b64 s[24:25], s[24:25], s[22:23]
	; wave barrier
	s_and_saveexec_b64 s[22:23], s[24:25]
	s_cbranch_execz .LBB116_10
; %bb.9:                                ;   in Loop: Header=BB116_4 Depth=2
	v_bcnt_u32_b32 v35, v36, 0
	v_bcnt_u32_b32 v35, v37, v35
	s_waitcnt lgkmcnt(0)
	v_add_u32_e32 v35, v47, v35
	ds_write_b32 v48, v35
.LBB116_10:                             ;   in Loop: Header=BB116_4 Depth=2
	s_or_b64 exec, exec, s[22:23]
	v_lshlrev_b64 v[36:37], s30, v[8:9]
	v_lshrrev_b32_e32 v52, 28, v37
	v_mul_u32_u24_e32 v35, 5, v52
	v_add_lshl_u32 v35, v41, v35, 2
	; wave barrier
	v_add_u32_e32 v51, 16, v35
	ds_read_b32 v50, v35 offset:16
	v_bfe_u32 v35, v37, 28, 1
	v_add_co_u32_e64 v53, s[22:23], -1, v35
	v_addc_co_u32_e64 v54, s[22:23], 0, -1, s[22:23]
	v_cmp_ne_u32_e64 s[22:23], 0, v35
	v_xor_b32_e32 v35, s23, v54
	v_and_b32_e32 v54, exec_hi, v35
	v_lshlrev_b32_e32 v35, 30, v52
	v_xor_b32_e32 v53, s22, v53
	v_cmp_gt_i64_e64 s[22:23], 0, v[34:35]
	v_not_b32_e32 v35, v35
	v_ashrrev_i32_e32 v35, 31, v35
	v_and_b32_e32 v53, exec_lo, v53
	v_xor_b32_e32 v55, s23, v35
	v_xor_b32_e32 v35, s22, v35
	v_and_b32_e32 v53, v53, v35
	v_lshlrev_b32_e32 v35, 29, v52
	v_cmp_gt_i64_e64 s[22:23], 0, v[34:35]
	v_not_b32_e32 v35, v35
	v_ashrrev_i32_e32 v35, 31, v35
	v_xor_b32_e32 v52, s23, v35
	v_xor_b32_e32 v35, s22, v35
	v_cmp_gt_i64_e64 s[22:23], 0, v[36:37]
	v_not_b32_e32 v36, v37
	v_ashrrev_i32_e32 v36, 31, v36
	v_and_b32_e32 v54, v54, v55
	v_and_b32_e32 v35, v53, v35
	v_xor_b32_e32 v37, s23, v36
	v_xor_b32_e32 v36, s22, v36
	v_and_b32_e32 v52, v54, v52
	v_and_b32_e32 v36, v35, v36
	v_and_b32_e32 v37, v52, v37
	v_mbcnt_lo_u32_b32 v35, v36, 0
	v_mbcnt_hi_u32_b32 v52, v37, v35
	v_cmp_eq_u32_e64 s[22:23], 0, v52
	v_cmp_ne_u64_e64 s[24:25], 0, v[36:37]
	s_and_b64 s[24:25], s[24:25], s[22:23]
	; wave barrier
	s_and_saveexec_b64 s[22:23], s[24:25]
	s_cbranch_execz .LBB116_12
; %bb.11:                               ;   in Loop: Header=BB116_4 Depth=2
	v_bcnt_u32_b32 v35, v36, 0
	v_bcnt_u32_b32 v35, v37, v35
	s_waitcnt lgkmcnt(0)
	v_add_u32_e32 v35, v50, v35
	ds_write_b32 v51, v35
.LBB116_12:                             ;   in Loop: Header=BB116_4 Depth=2
	s_or_b64 exec, exec, s[22:23]
	v_lshlrev_b64 v[36:37], s30, v[10:11]
	v_lshrrev_b32_e32 v55, 28, v37
	v_mul_u32_u24_e32 v35, 5, v55
	v_add_lshl_u32 v35, v41, v35, 2
	; wave barrier
	v_add_u32_e32 v54, 16, v35
	ds_read_b32 v53, v35 offset:16
	v_bfe_u32 v35, v37, 28, 1
	v_add_co_u32_e64 v56, s[22:23], -1, v35
	v_addc_co_u32_e64 v57, s[22:23], 0, -1, s[22:23]
	v_cmp_ne_u32_e64 s[22:23], 0, v35
	v_xor_b32_e32 v35, s23, v57
	v_and_b32_e32 v57, exec_hi, v35
	v_lshlrev_b32_e32 v35, 30, v55
	v_xor_b32_e32 v56, s22, v56
	v_cmp_gt_i64_e64 s[22:23], 0, v[34:35]
	v_not_b32_e32 v35, v35
	v_ashrrev_i32_e32 v35, 31, v35
	v_and_b32_e32 v56, exec_lo, v56
	v_xor_b32_e32 v58, s23, v35
	v_xor_b32_e32 v35, s22, v35
	v_and_b32_e32 v56, v56, v35
	v_lshlrev_b32_e32 v35, 29, v55
	v_cmp_gt_i64_e64 s[22:23], 0, v[34:35]
	v_not_b32_e32 v35, v35
	v_ashrrev_i32_e32 v35, 31, v35
	v_xor_b32_e32 v55, s23, v35
	v_xor_b32_e32 v35, s22, v35
	v_cmp_gt_i64_e64 s[22:23], 0, v[36:37]
	v_not_b32_e32 v36, v37
	v_ashrrev_i32_e32 v36, 31, v36
	v_and_b32_e32 v57, v57, v58
	v_and_b32_e32 v35, v56, v35
	v_xor_b32_e32 v37, s23, v36
	v_xor_b32_e32 v36, s22, v36
	v_and_b32_e32 v55, v57, v55
	v_and_b32_e32 v36, v35, v36
	v_and_b32_e32 v37, v55, v37
	v_mbcnt_lo_u32_b32 v35, v36, 0
	v_mbcnt_hi_u32_b32 v55, v37, v35
	v_cmp_eq_u32_e64 s[22:23], 0, v55
	v_cmp_ne_u64_e64 s[24:25], 0, v[36:37]
	s_and_b64 s[24:25], s[24:25], s[22:23]
	; wave barrier
	s_and_saveexec_b64 s[22:23], s[24:25]
	s_cbranch_execz .LBB116_14
; %bb.13:                               ;   in Loop: Header=BB116_4 Depth=2
	v_bcnt_u32_b32 v35, v36, 0
	v_bcnt_u32_b32 v35, v37, v35
	s_waitcnt lgkmcnt(0)
	v_add_u32_e32 v35, v53, v35
	ds_write_b32 v54, v35
.LBB116_14:                             ;   in Loop: Header=BB116_4 Depth=2
	s_or_b64 exec, exec, s[22:23]
	v_lshlrev_b64 v[36:37], s30, v[12:13]
	v_lshrrev_b32_e32 v58, 28, v37
	v_mul_u32_u24_e32 v35, 5, v58
	v_add_lshl_u32 v35, v41, v35, 2
	; wave barrier
	v_add_u32_e32 v57, 16, v35
	ds_read_b32 v56, v35 offset:16
	v_bfe_u32 v35, v37, 28, 1
	v_add_co_u32_e64 v59, s[22:23], -1, v35
	v_addc_co_u32_e64 v60, s[22:23], 0, -1, s[22:23]
	v_cmp_ne_u32_e64 s[22:23], 0, v35
	v_xor_b32_e32 v35, s23, v60
	v_and_b32_e32 v60, exec_hi, v35
	v_lshlrev_b32_e32 v35, 30, v58
	v_xor_b32_e32 v59, s22, v59
	v_cmp_gt_i64_e64 s[22:23], 0, v[34:35]
	v_not_b32_e32 v35, v35
	v_ashrrev_i32_e32 v35, 31, v35
	v_and_b32_e32 v59, exec_lo, v59
	v_xor_b32_e32 v61, s23, v35
	v_xor_b32_e32 v35, s22, v35
	v_and_b32_e32 v59, v59, v35
	v_lshlrev_b32_e32 v35, 29, v58
	v_cmp_gt_i64_e64 s[22:23], 0, v[34:35]
	v_not_b32_e32 v35, v35
	v_ashrrev_i32_e32 v35, 31, v35
	v_xor_b32_e32 v58, s23, v35
	v_xor_b32_e32 v35, s22, v35
	v_cmp_gt_i64_e64 s[22:23], 0, v[36:37]
	v_not_b32_e32 v36, v37
	v_ashrrev_i32_e32 v36, 31, v36
	v_and_b32_e32 v60, v60, v61
	v_and_b32_e32 v35, v59, v35
	v_xor_b32_e32 v37, s23, v36
	v_xor_b32_e32 v36, s22, v36
	v_and_b32_e32 v58, v60, v58
	v_and_b32_e32 v36, v35, v36
	v_and_b32_e32 v37, v58, v37
	v_mbcnt_lo_u32_b32 v35, v36, 0
	v_mbcnt_hi_u32_b32 v58, v37, v35
	v_cmp_eq_u32_e64 s[22:23], 0, v58
	v_cmp_ne_u64_e64 s[24:25], 0, v[36:37]
	s_and_b64 s[24:25], s[24:25], s[22:23]
	; wave barrier
	s_and_saveexec_b64 s[22:23], s[24:25]
	s_cbranch_execz .LBB116_16
; %bb.15:                               ;   in Loop: Header=BB116_4 Depth=2
	v_bcnt_u32_b32 v35, v36, 0
	v_bcnt_u32_b32 v35, v37, v35
	s_waitcnt lgkmcnt(0)
	v_add_u32_e32 v35, v56, v35
	ds_write_b32 v57, v35
.LBB116_16:                             ;   in Loop: Header=BB116_4 Depth=2
	s_or_b64 exec, exec, s[22:23]
	v_lshlrev_b64 v[36:37], s30, v[14:15]
	v_lshrrev_b32_e32 v61, 28, v37
	v_mul_u32_u24_e32 v35, 5, v61
	v_add_lshl_u32 v35, v41, v35, 2
	; wave barrier
	v_add_u32_e32 v60, 16, v35
	ds_read_b32 v59, v35 offset:16
	v_bfe_u32 v35, v37, 28, 1
	v_add_co_u32_e64 v62, s[22:23], -1, v35
	v_addc_co_u32_e64 v63, s[22:23], 0, -1, s[22:23]
	v_cmp_ne_u32_e64 s[22:23], 0, v35
	v_xor_b32_e32 v35, s23, v63
	v_and_b32_e32 v63, exec_hi, v35
	v_lshlrev_b32_e32 v35, 30, v61
	v_xor_b32_e32 v62, s22, v62
	v_cmp_gt_i64_e64 s[22:23], 0, v[34:35]
	v_not_b32_e32 v35, v35
	v_ashrrev_i32_e32 v35, 31, v35
	v_and_b32_e32 v62, exec_lo, v62
	v_xor_b32_e32 v64, s23, v35
	v_xor_b32_e32 v35, s22, v35
	v_and_b32_e32 v62, v62, v35
	v_lshlrev_b32_e32 v35, 29, v61
	v_cmp_gt_i64_e64 s[22:23], 0, v[34:35]
	v_not_b32_e32 v35, v35
	v_ashrrev_i32_e32 v35, 31, v35
	v_xor_b32_e32 v61, s23, v35
	v_xor_b32_e32 v35, s22, v35
	v_cmp_gt_i64_e64 s[22:23], 0, v[36:37]
	v_not_b32_e32 v36, v37
	v_ashrrev_i32_e32 v36, 31, v36
	v_and_b32_e32 v63, v63, v64
	v_and_b32_e32 v35, v62, v35
	v_xor_b32_e32 v37, s23, v36
	v_xor_b32_e32 v36, s22, v36
	v_and_b32_e32 v61, v63, v61
	v_and_b32_e32 v36, v35, v36
	v_and_b32_e32 v37, v61, v37
	v_mbcnt_lo_u32_b32 v35, v36, 0
	v_mbcnt_hi_u32_b32 v61, v37, v35
	v_cmp_eq_u32_e64 s[22:23], 0, v61
	v_cmp_ne_u64_e64 s[24:25], 0, v[36:37]
	s_and_b64 s[24:25], s[24:25], s[22:23]
	; wave barrier
	s_and_saveexec_b64 s[22:23], s[24:25]
	s_cbranch_execz .LBB116_18
; %bb.17:                               ;   in Loop: Header=BB116_4 Depth=2
	v_bcnt_u32_b32 v35, v36, 0
	v_bcnt_u32_b32 v35, v37, v35
	s_waitcnt lgkmcnt(0)
	v_add_u32_e32 v35, v59, v35
	ds_write_b32 v60, v35
.LBB116_18:                             ;   in Loop: Header=BB116_4 Depth=2
	s_or_b64 exec, exec, s[22:23]
	v_lshlrev_b64 v[36:37], s30, v[16:17]
	v_lshrrev_b32_e32 v64, 28, v37
	v_mul_u32_u24_e32 v35, 5, v64
	v_add_lshl_u32 v35, v41, v35, 2
	; wave barrier
	v_add_u32_e32 v63, 16, v35
	ds_read_b32 v62, v35 offset:16
	v_bfe_u32 v35, v37, 28, 1
	v_add_co_u32_e64 v65, s[22:23], -1, v35
	v_addc_co_u32_e64 v66, s[22:23], 0, -1, s[22:23]
	v_cmp_ne_u32_e64 s[22:23], 0, v35
	v_xor_b32_e32 v35, s23, v66
	v_and_b32_e32 v66, exec_hi, v35
	v_lshlrev_b32_e32 v35, 30, v64
	v_xor_b32_e32 v65, s22, v65
	v_cmp_gt_i64_e64 s[22:23], 0, v[34:35]
	v_not_b32_e32 v35, v35
	v_ashrrev_i32_e32 v35, 31, v35
	v_and_b32_e32 v65, exec_lo, v65
	v_xor_b32_e32 v67, s23, v35
	v_xor_b32_e32 v35, s22, v35
	v_and_b32_e32 v65, v65, v35
	v_lshlrev_b32_e32 v35, 29, v64
	v_cmp_gt_i64_e64 s[22:23], 0, v[34:35]
	v_not_b32_e32 v35, v35
	v_ashrrev_i32_e32 v35, 31, v35
	v_xor_b32_e32 v64, s23, v35
	v_xor_b32_e32 v35, s22, v35
	v_cmp_gt_i64_e64 s[22:23], 0, v[36:37]
	v_not_b32_e32 v36, v37
	v_ashrrev_i32_e32 v36, 31, v36
	v_and_b32_e32 v66, v66, v67
	v_and_b32_e32 v35, v65, v35
	v_xor_b32_e32 v37, s23, v36
	v_xor_b32_e32 v36, s22, v36
	v_and_b32_e32 v64, v66, v64
	v_and_b32_e32 v36, v35, v36
	v_and_b32_e32 v37, v64, v37
	v_mbcnt_lo_u32_b32 v35, v36, 0
	v_mbcnt_hi_u32_b32 v64, v37, v35
	v_cmp_eq_u32_e64 s[22:23], 0, v64
	v_cmp_ne_u64_e64 s[24:25], 0, v[36:37]
	s_and_b64 s[24:25], s[24:25], s[22:23]
	; wave barrier
	s_and_saveexec_b64 s[22:23], s[24:25]
	s_cbranch_execz .LBB116_20
; %bb.19:                               ;   in Loop: Header=BB116_4 Depth=2
	v_bcnt_u32_b32 v35, v36, 0
	v_bcnt_u32_b32 v35, v37, v35
	s_waitcnt lgkmcnt(0)
	v_add_u32_e32 v35, v62, v35
	ds_write_b32 v63, v35
.LBB116_20:                             ;   in Loop: Header=BB116_4 Depth=2
	s_or_b64 exec, exec, s[22:23]
	v_lshlrev_b64 v[36:37], s30, v[18:19]
	v_lshrrev_b32_e32 v67, 28, v37
	v_mul_u32_u24_e32 v35, 5, v67
	v_add_lshl_u32 v35, v41, v35, 2
	; wave barrier
	v_add_u32_e32 v66, 16, v35
	ds_read_b32 v65, v35 offset:16
	v_bfe_u32 v35, v37, 28, 1
	v_add_co_u32_e64 v68, s[22:23], -1, v35
	v_addc_co_u32_e64 v69, s[22:23], 0, -1, s[22:23]
	v_cmp_ne_u32_e64 s[22:23], 0, v35
	v_xor_b32_e32 v35, s23, v69
	v_and_b32_e32 v69, exec_hi, v35
	v_lshlrev_b32_e32 v35, 30, v67
	v_xor_b32_e32 v68, s22, v68
	v_cmp_gt_i64_e64 s[22:23], 0, v[34:35]
	v_not_b32_e32 v35, v35
	v_ashrrev_i32_e32 v35, 31, v35
	v_and_b32_e32 v68, exec_lo, v68
	v_xor_b32_e32 v70, s23, v35
	v_xor_b32_e32 v35, s22, v35
	v_and_b32_e32 v68, v68, v35
	v_lshlrev_b32_e32 v35, 29, v67
	v_cmp_gt_i64_e64 s[22:23], 0, v[34:35]
	v_not_b32_e32 v35, v35
	v_ashrrev_i32_e32 v35, 31, v35
	v_xor_b32_e32 v67, s23, v35
	v_xor_b32_e32 v35, s22, v35
	v_cmp_gt_i64_e64 s[22:23], 0, v[36:37]
	v_not_b32_e32 v36, v37
	v_ashrrev_i32_e32 v36, 31, v36
	v_and_b32_e32 v69, v69, v70
	v_and_b32_e32 v35, v68, v35
	v_xor_b32_e32 v37, s23, v36
	v_xor_b32_e32 v36, s22, v36
	v_and_b32_e32 v67, v69, v67
	v_and_b32_e32 v36, v35, v36
	v_and_b32_e32 v37, v67, v37
	v_mbcnt_lo_u32_b32 v35, v36, 0
	v_mbcnt_hi_u32_b32 v67, v37, v35
	v_cmp_eq_u32_e64 s[22:23], 0, v67
	v_cmp_ne_u64_e64 s[24:25], 0, v[36:37]
	s_and_b64 s[24:25], s[24:25], s[22:23]
	; wave barrier
	s_and_saveexec_b64 s[22:23], s[24:25]
	s_cbranch_execz .LBB116_22
; %bb.21:                               ;   in Loop: Header=BB116_4 Depth=2
	v_bcnt_u32_b32 v35, v36, 0
	v_bcnt_u32_b32 v35, v37, v35
	s_waitcnt lgkmcnt(0)
	v_add_u32_e32 v35, v65, v35
	ds_write_b32 v66, v35
.LBB116_22:                             ;   in Loop: Header=BB116_4 Depth=2
	s_or_b64 exec, exec, s[22:23]
	v_lshlrev_b64 v[36:37], s30, v[20:21]
	v_lshrrev_b32_e32 v70, 28, v37
	v_mul_u32_u24_e32 v35, 5, v70
	v_add_lshl_u32 v35, v41, v35, 2
	; wave barrier
	v_add_u32_e32 v69, 16, v35
	ds_read_b32 v68, v35 offset:16
	v_bfe_u32 v35, v37, 28, 1
	v_add_co_u32_e64 v71, s[22:23], -1, v35
	v_addc_co_u32_e64 v72, s[22:23], 0, -1, s[22:23]
	v_cmp_ne_u32_e64 s[22:23], 0, v35
	v_xor_b32_e32 v35, s23, v72
	v_and_b32_e32 v72, exec_hi, v35
	v_lshlrev_b32_e32 v35, 30, v70
	v_xor_b32_e32 v71, s22, v71
	v_cmp_gt_i64_e64 s[22:23], 0, v[34:35]
	v_not_b32_e32 v35, v35
	v_ashrrev_i32_e32 v35, 31, v35
	v_and_b32_e32 v71, exec_lo, v71
	v_xor_b32_e32 v73, s23, v35
	v_xor_b32_e32 v35, s22, v35
	v_and_b32_e32 v71, v71, v35
	v_lshlrev_b32_e32 v35, 29, v70
	v_cmp_gt_i64_e64 s[22:23], 0, v[34:35]
	v_not_b32_e32 v35, v35
	v_ashrrev_i32_e32 v35, 31, v35
	v_xor_b32_e32 v70, s23, v35
	v_xor_b32_e32 v35, s22, v35
	v_cmp_gt_i64_e64 s[22:23], 0, v[36:37]
	v_not_b32_e32 v36, v37
	v_ashrrev_i32_e32 v36, 31, v36
	v_and_b32_e32 v72, v72, v73
	v_and_b32_e32 v35, v71, v35
	v_xor_b32_e32 v37, s23, v36
	v_xor_b32_e32 v36, s22, v36
	v_and_b32_e32 v70, v72, v70
	v_and_b32_e32 v36, v35, v36
	v_and_b32_e32 v37, v70, v37
	v_mbcnt_lo_u32_b32 v35, v36, 0
	v_mbcnt_hi_u32_b32 v70, v37, v35
	v_cmp_eq_u32_e64 s[22:23], 0, v70
	v_cmp_ne_u64_e64 s[24:25], 0, v[36:37]
	s_and_b64 s[24:25], s[24:25], s[22:23]
	; wave barrier
	s_and_saveexec_b64 s[22:23], s[24:25]
	s_cbranch_execz .LBB116_24
; %bb.23:                               ;   in Loop: Header=BB116_4 Depth=2
	v_bcnt_u32_b32 v35, v36, 0
	v_bcnt_u32_b32 v35, v37, v35
	s_waitcnt lgkmcnt(0)
	v_add_u32_e32 v35, v68, v35
	ds_write_b32 v69, v35
.LBB116_24:                             ;   in Loop: Header=BB116_4 Depth=2
	s_or_b64 exec, exec, s[22:23]
	v_lshlrev_b64 v[36:37], s30, v[22:23]
	v_lshrrev_b32_e32 v73, 28, v37
	v_mul_u32_u24_e32 v35, 5, v73
	v_add_lshl_u32 v35, v41, v35, 2
	; wave barrier
	v_add_u32_e32 v72, 16, v35
	ds_read_b32 v71, v35 offset:16
	v_bfe_u32 v35, v37, 28, 1
	v_add_co_u32_e64 v74, s[22:23], -1, v35
	v_addc_co_u32_e64 v75, s[22:23], 0, -1, s[22:23]
	v_cmp_ne_u32_e64 s[22:23], 0, v35
	v_xor_b32_e32 v35, s23, v75
	v_and_b32_e32 v75, exec_hi, v35
	v_lshlrev_b32_e32 v35, 30, v73
	v_xor_b32_e32 v74, s22, v74
	v_cmp_gt_i64_e64 s[22:23], 0, v[34:35]
	v_not_b32_e32 v35, v35
	v_ashrrev_i32_e32 v35, 31, v35
	v_and_b32_e32 v74, exec_lo, v74
	v_xor_b32_e32 v76, s23, v35
	v_xor_b32_e32 v35, s22, v35
	v_and_b32_e32 v74, v74, v35
	v_lshlrev_b32_e32 v35, 29, v73
	v_cmp_gt_i64_e64 s[22:23], 0, v[34:35]
	v_not_b32_e32 v35, v35
	v_ashrrev_i32_e32 v35, 31, v35
	v_xor_b32_e32 v73, s23, v35
	v_xor_b32_e32 v35, s22, v35
	v_cmp_gt_i64_e64 s[22:23], 0, v[36:37]
	v_not_b32_e32 v36, v37
	v_ashrrev_i32_e32 v36, 31, v36
	v_and_b32_e32 v75, v75, v76
	v_and_b32_e32 v35, v74, v35
	v_xor_b32_e32 v37, s23, v36
	v_xor_b32_e32 v36, s22, v36
	v_and_b32_e32 v73, v75, v73
	v_and_b32_e32 v36, v35, v36
	v_and_b32_e32 v37, v73, v37
	v_mbcnt_lo_u32_b32 v35, v36, 0
	v_mbcnt_hi_u32_b32 v73, v37, v35
	v_cmp_eq_u32_e64 s[22:23], 0, v73
	v_cmp_ne_u64_e64 s[24:25], 0, v[36:37]
	s_and_b64 s[24:25], s[24:25], s[22:23]
	; wave barrier
	s_and_saveexec_b64 s[22:23], s[24:25]
	s_cbranch_execz .LBB116_26
; %bb.25:                               ;   in Loop: Header=BB116_4 Depth=2
	v_bcnt_u32_b32 v35, v36, 0
	v_bcnt_u32_b32 v35, v37, v35
	s_waitcnt lgkmcnt(0)
	v_add_u32_e32 v35, v71, v35
	ds_write_b32 v72, v35
.LBB116_26:                             ;   in Loop: Header=BB116_4 Depth=2
	s_or_b64 exec, exec, s[22:23]
	v_lshlrev_b64 v[36:37], s30, v[24:25]
	v_lshrrev_b32_e32 v76, 28, v37
	v_mul_u32_u24_e32 v35, 5, v76
	v_add_lshl_u32 v35, v41, v35, 2
	; wave barrier
	v_add_u32_e32 v75, 16, v35
	ds_read_b32 v74, v35 offset:16
	v_bfe_u32 v35, v37, 28, 1
	v_add_co_u32_e64 v77, s[22:23], -1, v35
	v_addc_co_u32_e64 v78, s[22:23], 0, -1, s[22:23]
	v_cmp_ne_u32_e64 s[22:23], 0, v35
	v_xor_b32_e32 v35, s23, v78
	v_and_b32_e32 v78, exec_hi, v35
	v_lshlrev_b32_e32 v35, 30, v76
	v_xor_b32_e32 v77, s22, v77
	v_cmp_gt_i64_e64 s[22:23], 0, v[34:35]
	v_not_b32_e32 v35, v35
	v_ashrrev_i32_e32 v35, 31, v35
	v_and_b32_e32 v77, exec_lo, v77
	v_xor_b32_e32 v79, s23, v35
	v_xor_b32_e32 v35, s22, v35
	v_and_b32_e32 v77, v77, v35
	v_lshlrev_b32_e32 v35, 29, v76
	v_cmp_gt_i64_e64 s[22:23], 0, v[34:35]
	v_not_b32_e32 v35, v35
	v_ashrrev_i32_e32 v35, 31, v35
	v_xor_b32_e32 v76, s23, v35
	v_xor_b32_e32 v35, s22, v35
	v_cmp_gt_i64_e64 s[22:23], 0, v[36:37]
	v_not_b32_e32 v36, v37
	v_ashrrev_i32_e32 v36, 31, v36
	v_and_b32_e32 v78, v78, v79
	v_and_b32_e32 v35, v77, v35
	v_xor_b32_e32 v37, s23, v36
	v_xor_b32_e32 v36, s22, v36
	v_and_b32_e32 v76, v78, v76
	v_and_b32_e32 v36, v35, v36
	v_and_b32_e32 v37, v76, v37
	v_mbcnt_lo_u32_b32 v35, v36, 0
	v_mbcnt_hi_u32_b32 v76, v37, v35
	v_cmp_eq_u32_e64 s[22:23], 0, v76
	v_cmp_ne_u64_e64 s[24:25], 0, v[36:37]
	s_and_b64 s[24:25], s[24:25], s[22:23]
	; wave barrier
	s_and_saveexec_b64 s[22:23], s[24:25]
	s_cbranch_execz .LBB116_28
; %bb.27:                               ;   in Loop: Header=BB116_4 Depth=2
	v_bcnt_u32_b32 v35, v36, 0
	v_bcnt_u32_b32 v35, v37, v35
	s_waitcnt lgkmcnt(0)
	v_add_u32_e32 v35, v74, v35
	ds_write_b32 v75, v35
.LBB116_28:                             ;   in Loop: Header=BB116_4 Depth=2
	s_or_b64 exec, exec, s[22:23]
	v_lshlrev_b64 v[36:37], s30, v[26:27]
	v_lshrrev_b32_e32 v78, 28, v37
	v_mul_u32_u24_e32 v35, 5, v78
	v_add_lshl_u32 v35, v41, v35, 2
	; wave barrier
	v_add_u32_e32 v79, 16, v35
	ds_read_b32 v77, v35 offset:16
	v_bfe_u32 v35, v37, 28, 1
	v_add_co_u32_e64 v80, s[22:23], -1, v35
	v_addc_co_u32_e64 v81, s[22:23], 0, -1, s[22:23]
	v_cmp_ne_u32_e64 s[22:23], 0, v35
	v_xor_b32_e32 v35, s23, v81
	v_and_b32_e32 v81, exec_hi, v35
	v_lshlrev_b32_e32 v35, 30, v78
	v_xor_b32_e32 v80, s22, v80
	v_cmp_gt_i64_e64 s[22:23], 0, v[34:35]
	v_not_b32_e32 v35, v35
	v_ashrrev_i32_e32 v35, 31, v35
	v_and_b32_e32 v80, exec_lo, v80
	v_xor_b32_e32 v82, s23, v35
	v_xor_b32_e32 v35, s22, v35
	v_and_b32_e32 v80, v80, v35
	v_lshlrev_b32_e32 v35, 29, v78
	v_cmp_gt_i64_e64 s[22:23], 0, v[34:35]
	v_not_b32_e32 v35, v35
	v_ashrrev_i32_e32 v35, 31, v35
	v_xor_b32_e32 v78, s23, v35
	v_xor_b32_e32 v35, s22, v35
	v_cmp_gt_i64_e64 s[22:23], 0, v[36:37]
	v_not_b32_e32 v36, v37
	v_ashrrev_i32_e32 v36, 31, v36
	v_and_b32_e32 v81, v81, v82
	v_and_b32_e32 v35, v80, v35
	v_xor_b32_e32 v37, s23, v36
	v_xor_b32_e32 v36, s22, v36
	v_and_b32_e32 v78, v81, v78
	v_and_b32_e32 v36, v35, v36
	v_and_b32_e32 v37, v78, v37
	v_mbcnt_lo_u32_b32 v35, v36, 0
	v_mbcnt_hi_u32_b32 v78, v37, v35
	v_cmp_eq_u32_e64 s[22:23], 0, v78
	v_cmp_ne_u64_e64 s[24:25], 0, v[36:37]
	s_and_b64 s[24:25], s[24:25], s[22:23]
	; wave barrier
	s_and_saveexec_b64 s[22:23], s[24:25]
	s_cbranch_execz .LBB116_30
; %bb.29:                               ;   in Loop: Header=BB116_4 Depth=2
	v_bcnt_u32_b32 v35, v36, 0
	v_bcnt_u32_b32 v35, v37, v35
	s_waitcnt lgkmcnt(0)
	v_add_u32_e32 v35, v77, v35
	ds_write_b32 v79, v35
.LBB116_30:                             ;   in Loop: Header=BB116_4 Depth=2
	s_or_b64 exec, exec, s[22:23]
	v_lshlrev_b64 v[36:37], s30, v[28:29]
	v_lshrrev_b32_e32 v81, 28, v37
	v_mul_u32_u24_e32 v35, 5, v81
	v_add_lshl_u32 v35, v41, v35, 2
	; wave barrier
	v_add_u32_e32 v82, 16, v35
	ds_read_b32 v80, v35 offset:16
	v_bfe_u32 v35, v37, 28, 1
	v_add_co_u32_e64 v83, s[22:23], -1, v35
	v_addc_co_u32_e64 v84, s[22:23], 0, -1, s[22:23]
	v_cmp_ne_u32_e64 s[22:23], 0, v35
	v_xor_b32_e32 v35, s23, v84
	v_and_b32_e32 v84, exec_hi, v35
	v_lshlrev_b32_e32 v35, 30, v81
	v_xor_b32_e32 v83, s22, v83
	v_cmp_gt_i64_e64 s[22:23], 0, v[34:35]
	v_not_b32_e32 v35, v35
	v_ashrrev_i32_e32 v35, 31, v35
	v_and_b32_e32 v83, exec_lo, v83
	v_xor_b32_e32 v85, s23, v35
	v_xor_b32_e32 v35, s22, v35
	v_and_b32_e32 v83, v83, v35
	v_lshlrev_b32_e32 v35, 29, v81
	v_cmp_gt_i64_e64 s[22:23], 0, v[34:35]
	v_not_b32_e32 v35, v35
	v_ashrrev_i32_e32 v35, 31, v35
	v_xor_b32_e32 v81, s23, v35
	v_xor_b32_e32 v35, s22, v35
	v_cmp_gt_i64_e64 s[22:23], 0, v[36:37]
	v_not_b32_e32 v36, v37
	v_ashrrev_i32_e32 v36, 31, v36
	v_and_b32_e32 v84, v84, v85
	v_and_b32_e32 v35, v83, v35
	v_xor_b32_e32 v37, s23, v36
	v_xor_b32_e32 v36, s22, v36
	v_and_b32_e32 v81, v84, v81
	v_and_b32_e32 v36, v35, v36
	v_and_b32_e32 v37, v81, v37
	v_mbcnt_lo_u32_b32 v35, v36, 0
	v_mbcnt_hi_u32_b32 v81, v37, v35
	v_cmp_eq_u32_e64 s[22:23], 0, v81
	v_cmp_ne_u64_e64 s[24:25], 0, v[36:37]
	s_and_b64 s[24:25], s[24:25], s[22:23]
	; wave barrier
	s_and_saveexec_b64 s[22:23], s[24:25]
	s_cbranch_execz .LBB116_32
; %bb.31:                               ;   in Loop: Header=BB116_4 Depth=2
	v_bcnt_u32_b32 v35, v36, 0
	v_bcnt_u32_b32 v35, v37, v35
	s_waitcnt lgkmcnt(0)
	v_add_u32_e32 v35, v80, v35
	ds_write_b32 v82, v35
.LBB116_32:                             ;   in Loop: Header=BB116_4 Depth=2
	s_or_b64 exec, exec, s[22:23]
	v_lshlrev_b64 v[36:37], s30, v[30:31]
	v_lshrrev_b32_e32 v84, 28, v37
	v_mul_u32_u24_e32 v35, 5, v84
	v_add_lshl_u32 v35, v41, v35, 2
	; wave barrier
	v_add_u32_e32 v85, 16, v35
	ds_read_b32 v83, v35 offset:16
	v_bfe_u32 v35, v37, 28, 1
	v_add_co_u32_e64 v86, s[22:23], -1, v35
	v_addc_co_u32_e64 v87, s[22:23], 0, -1, s[22:23]
	v_cmp_ne_u32_e64 s[22:23], 0, v35
	v_xor_b32_e32 v35, s23, v87
	v_and_b32_e32 v87, exec_hi, v35
	v_lshlrev_b32_e32 v35, 30, v84
	v_xor_b32_e32 v86, s22, v86
	v_cmp_gt_i64_e64 s[22:23], 0, v[34:35]
	v_not_b32_e32 v35, v35
	v_ashrrev_i32_e32 v35, 31, v35
	v_and_b32_e32 v86, exec_lo, v86
	v_xor_b32_e32 v88, s23, v35
	v_xor_b32_e32 v35, s22, v35
	v_and_b32_e32 v86, v86, v35
	v_lshlrev_b32_e32 v35, 29, v84
	v_cmp_gt_i64_e64 s[22:23], 0, v[34:35]
	v_not_b32_e32 v35, v35
	v_ashrrev_i32_e32 v35, 31, v35
	v_xor_b32_e32 v84, s23, v35
	v_xor_b32_e32 v35, s22, v35
	v_cmp_gt_i64_e64 s[22:23], 0, v[36:37]
	v_not_b32_e32 v36, v37
	v_ashrrev_i32_e32 v36, 31, v36
	v_and_b32_e32 v87, v87, v88
	v_and_b32_e32 v35, v86, v35
	v_xor_b32_e32 v37, s23, v36
	v_xor_b32_e32 v36, s22, v36
	v_and_b32_e32 v84, v87, v84
	v_and_b32_e32 v36, v35, v36
	v_and_b32_e32 v37, v84, v37
	v_mbcnt_lo_u32_b32 v35, v36, 0
	v_mbcnt_hi_u32_b32 v84, v37, v35
	v_cmp_eq_u32_e64 s[22:23], 0, v84
	v_cmp_ne_u64_e64 s[24:25], 0, v[36:37]
	s_and_b64 s[24:25], s[24:25], s[22:23]
	; wave barrier
	s_and_saveexec_b64 s[22:23], s[24:25]
	s_cbranch_execz .LBB116_34
; %bb.33:                               ;   in Loop: Header=BB116_4 Depth=2
	v_bcnt_u32_b32 v35, v36, 0
	v_bcnt_u32_b32 v35, v37, v35
	s_waitcnt lgkmcnt(0)
	v_add_u32_e32 v35, v83, v35
	ds_write_b32 v85, v35
.LBB116_34:                             ;   in Loop: Header=BB116_4 Depth=2
	s_or_b64 exec, exec, s[22:23]
	v_lshlrev_b64 v[36:37], s30, v[32:33]
	v_lshrrev_b32_e32 v88, 28, v37
	v_mul_u32_u24_e32 v35, 5, v88
	v_add_lshl_u32 v35, v41, v35, 2
	; wave barrier
	v_add_u32_e32 v87, 16, v35
	ds_read_b32 v86, v35 offset:16
	v_bfe_u32 v35, v37, 28, 1
	v_add_co_u32_e64 v89, s[22:23], -1, v35
	v_addc_co_u32_e64 v90, s[22:23], 0, -1, s[22:23]
	v_cmp_ne_u32_e64 s[22:23], 0, v35
	v_xor_b32_e32 v35, s23, v90
	v_and_b32_e32 v90, exec_hi, v35
	v_lshlrev_b32_e32 v35, 30, v88
	v_xor_b32_e32 v89, s22, v89
	v_cmp_gt_i64_e64 s[22:23], 0, v[34:35]
	v_not_b32_e32 v35, v35
	v_ashrrev_i32_e32 v35, 31, v35
	v_and_b32_e32 v89, exec_lo, v89
	v_xor_b32_e32 v91, s23, v35
	v_xor_b32_e32 v35, s22, v35
	v_and_b32_e32 v89, v89, v35
	v_lshlrev_b32_e32 v35, 29, v88
	v_cmp_gt_i64_e64 s[22:23], 0, v[34:35]
	v_not_b32_e32 v35, v35
	v_ashrrev_i32_e32 v35, 31, v35
	v_xor_b32_e32 v88, s23, v35
	v_xor_b32_e32 v35, s22, v35
	v_cmp_gt_i64_e64 s[22:23], 0, v[36:37]
	v_not_b32_e32 v36, v37
	v_ashrrev_i32_e32 v36, 31, v36
	v_and_b32_e32 v90, v90, v91
	v_and_b32_e32 v35, v89, v35
	v_xor_b32_e32 v37, s23, v36
	v_xor_b32_e32 v36, s22, v36
	v_and_b32_e32 v88, v90, v88
	v_and_b32_e32 v36, v35, v36
	v_and_b32_e32 v37, v88, v37
	v_mbcnt_lo_u32_b32 v35, v36, 0
	v_mbcnt_hi_u32_b32 v35, v37, v35
	v_cmp_eq_u32_e64 s[22:23], 0, v35
	v_cmp_ne_u64_e64 s[24:25], 0, v[36:37]
	s_and_b64 s[24:25], s[24:25], s[22:23]
	; wave barrier
	s_and_saveexec_b64 s[22:23], s[24:25]
	s_cbranch_execz .LBB116_36
; %bb.35:                               ;   in Loop: Header=BB116_4 Depth=2
	v_bcnt_u32_b32 v36, v36, 0
	v_bcnt_u32_b32 v36, v37, v36
	s_waitcnt lgkmcnt(0)
	v_add_u32_e32 v36, v86, v36
	ds_write_b32 v87, v36
.LBB116_36:                             ;   in Loop: Header=BB116_4 Depth=2
	s_or_b64 exec, exec, s[22:23]
	; wave barrier
	s_waitcnt lgkmcnt(0)
	s_barrier
	ds_read_b32 v36, v1 offset:16
	s_waitcnt lgkmcnt(0)
	s_nop 0
	v_mov_b32_dpp v37, v36 row_shr:1 row_mask:0xf bank_mask:0xf
	v_cndmask_b32_e64 v37, v37, 0, s[6:7]
	v_add_u32_e32 v36, v37, v36
	s_nop 1
	v_mov_b32_dpp v37, v36 row_shr:2 row_mask:0xf bank_mask:0xf
	v_cndmask_b32_e64 v37, 0, v37, s[8:9]
	v_add_u32_e32 v36, v36, v37
	;; [unrolled: 4-line block ×4, first 2 shown]
	s_nop 1
	v_mov_b32_dpp v37, v36 row_bcast:15 row_mask:0xf bank_mask:0xf
	v_cndmask_b32_e64 v37, v37, 0, s[14:15]
	v_add_u32_e32 v36, v36, v37
	s_nop 1
	v_mov_b32_dpp v37, v36 row_bcast:31 row_mask:0xf bank_mask:0xf
	v_cndmask_b32_e32 v37, 0, v37, vcc
	v_add_u32_e32 v36, v36, v37
	s_and_saveexec_b64 s[22:23], s[16:17]
	s_xor_b64 s[22:23], exec, s[22:23]
	s_cbranch_execz .LBB116_38
; %bb.37:                               ;   in Loop: Header=BB116_4 Depth=2
	ds_write_b32 v38, v36
.LBB116_38:                             ;   in Loop: Header=BB116_4 Depth=2
	s_or_b64 exec, exec, s[22:23]
	s_waitcnt lgkmcnt(0)
	s_barrier
	s_and_saveexec_b64 s[22:23], s[0:1]
	s_cbranch_execz .LBB116_40
; %bb.39:                               ;   in Loop: Header=BB116_4 Depth=2
	ds_read_b32 v37, v1
	s_waitcnt lgkmcnt(0)
	s_nop 0
	v_mov_b32_dpp v88, v37 row_shr:1 row_mask:0xf bank_mask:0xf
	v_cndmask_b32_e64 v88, v88, 0, s[18:19]
	v_add_u32_e32 v37, v88, v37
	s_nop 1
	v_mov_b32_dpp v88, v37 row_shr:2 row_mask:0xf bank_mask:0xf
	v_cndmask_b32_e64 v88, 0, v88, s[20:21]
	v_add_u32_e32 v37, v37, v88
	ds_write_b32 v1, v37
.LBB116_40:                             ;   in Loop: Header=BB116_4 Depth=2
	s_or_b64 exec, exec, s[22:23]
	v_mov_b32_e32 v37, 0
	s_waitcnt lgkmcnt(0)
	s_barrier
	s_and_saveexec_b64 s[22:23], s[2:3]
	s_cbranch_execz .LBB116_3
; %bb.41:                               ;   in Loop: Header=BB116_4 Depth=2
	ds_read_b32 v37, v40
	s_branch .LBB116_3
.LBB116_42:
	ds_read_b32 v4, v87
	ds_read_b32 v5, v85
	;; [unrolled: 1-line block ×16, first 2 shown]
	s_lshl_b64 s[0:1], s[28:29], 2
	s_add_u32 s0, s26, s0
	s_addc_u32 s1, s27, s1
	v_lshlrev_b32_e32 v17, 2, v0
	s_waitcnt lgkmcnt(1)
	v_add3_u32 v1, v46, v44, v1
	s_waitcnt lgkmcnt(0)
	v_add_u32_e32 v0, v3, v43
	v_add3_u32 v3, v52, v50, v2
	v_add3_u32 v2, v49, v47, v16
	global_store_dwordx4 v17, v[0:3], s[0:1]
	s_nop 0
	v_add3_u32 v1, v58, v56, v14
	v_add3_u32 v0, v55, v53, v15
	v_add3_u32 v3, v64, v62, v12
	v_add3_u32 v2, v61, v59, v13
	global_store_dwordx4 v17, v[0:3], s[0:1] offset:16
	s_nop 0
	v_add3_u32 v1, v70, v68, v10
	v_add3_u32 v0, v67, v65, v11
	v_add3_u32 v3, v76, v74, v8
	v_add3_u32 v2, v73, v71, v9
	global_store_dwordx4 v17, v[0:3], s[0:1] offset:32
	;; [unrolled: 6-line block ×3, first 2 shown]
	s_endpgm
	.section	.rodata,"a",@progbits
	.p2align	6, 0x0
	.amdhsa_kernel _Z11rank_kernelIxLj4ELb0EL18RadixRankAlgorithm2ELj256ELj16ELj10EEvPKT_Pi
		.amdhsa_group_segment_fixed_size 1040
		.amdhsa_private_segment_fixed_size 0
		.amdhsa_kernarg_size 272
		.amdhsa_user_sgpr_count 6
		.amdhsa_user_sgpr_private_segment_buffer 1
		.amdhsa_user_sgpr_dispatch_ptr 0
		.amdhsa_user_sgpr_queue_ptr 0
		.amdhsa_user_sgpr_kernarg_segment_ptr 1
		.amdhsa_user_sgpr_dispatch_id 0
		.amdhsa_user_sgpr_flat_scratch_init 0
		.amdhsa_user_sgpr_kernarg_preload_length 0
		.amdhsa_user_sgpr_kernarg_preload_offset 0
		.amdhsa_user_sgpr_private_segment_size 0
		.amdhsa_uses_dynamic_stack 0
		.amdhsa_system_sgpr_private_segment_wavefront_offset 0
		.amdhsa_system_sgpr_workgroup_id_x 1
		.amdhsa_system_sgpr_workgroup_id_y 0
		.amdhsa_system_sgpr_workgroup_id_z 0
		.amdhsa_system_sgpr_workgroup_info 0
		.amdhsa_system_vgpr_workitem_id 2
		.amdhsa_next_free_vgpr 92
		.amdhsa_next_free_sgpr 35
		.amdhsa_accum_offset 92
		.amdhsa_reserve_vcc 1
		.amdhsa_reserve_flat_scratch 0
		.amdhsa_float_round_mode_32 0
		.amdhsa_float_round_mode_16_64 0
		.amdhsa_float_denorm_mode_32 3
		.amdhsa_float_denorm_mode_16_64 3
		.amdhsa_dx10_clamp 1
		.amdhsa_ieee_mode 1
		.amdhsa_fp16_overflow 0
		.amdhsa_tg_split 0
		.amdhsa_exception_fp_ieee_invalid_op 0
		.amdhsa_exception_fp_denorm_src 0
		.amdhsa_exception_fp_ieee_div_zero 0
		.amdhsa_exception_fp_ieee_overflow 0
		.amdhsa_exception_fp_ieee_underflow 0
		.amdhsa_exception_fp_ieee_inexact 0
		.amdhsa_exception_int_div_zero 0
	.end_amdhsa_kernel
	.section	.text._Z11rank_kernelIxLj4ELb0EL18RadixRankAlgorithm2ELj256ELj16ELj10EEvPKT_Pi,"axG",@progbits,_Z11rank_kernelIxLj4ELb0EL18RadixRankAlgorithm2ELj256ELj16ELj10EEvPKT_Pi,comdat
.Lfunc_end116:
	.size	_Z11rank_kernelIxLj4ELb0EL18RadixRankAlgorithm2ELj256ELj16ELj10EEvPKT_Pi, .Lfunc_end116-_Z11rank_kernelIxLj4ELb0EL18RadixRankAlgorithm2ELj256ELj16ELj10EEvPKT_Pi
                                        ; -- End function
	.section	.AMDGPU.csdata,"",@progbits
; Kernel info:
; codeLenInByte = 5520
; NumSgprs: 39
; NumVgprs: 92
; NumAgprs: 0
; TotalNumVgprs: 92
; ScratchSize: 0
; MemoryBound: 0
; FloatMode: 240
; IeeeMode: 1
; LDSByteSize: 1040 bytes/workgroup (compile time only)
; SGPRBlocks: 4
; VGPRBlocks: 11
; NumSGPRsForWavesPerEU: 39
; NumVGPRsForWavesPerEU: 92
; AccumOffset: 92
; Occupancy: 5
; WaveLimiterHint : 0
; COMPUTE_PGM_RSRC2:SCRATCH_EN: 0
; COMPUTE_PGM_RSRC2:USER_SGPR: 6
; COMPUTE_PGM_RSRC2:TRAP_HANDLER: 0
; COMPUTE_PGM_RSRC2:TGID_X_EN: 1
; COMPUTE_PGM_RSRC2:TGID_Y_EN: 0
; COMPUTE_PGM_RSRC2:TGID_Z_EN: 0
; COMPUTE_PGM_RSRC2:TIDIG_COMP_CNT: 2
; COMPUTE_PGM_RSRC3_GFX90A:ACCUM_OFFSET: 22
; COMPUTE_PGM_RSRC3_GFX90A:TG_SPLIT: 0
	.section	.text._Z11rank_kernelIxLj4ELb0EL18RadixRankAlgorithm0ELj256ELj32ELj10EEvPKT_Pi,"axG",@progbits,_Z11rank_kernelIxLj4ELb0EL18RadixRankAlgorithm0ELj256ELj32ELj10EEvPKT_Pi,comdat
	.protected	_Z11rank_kernelIxLj4ELb0EL18RadixRankAlgorithm0ELj256ELj32ELj10EEvPKT_Pi ; -- Begin function _Z11rank_kernelIxLj4ELb0EL18RadixRankAlgorithm0ELj256ELj32ELj10EEvPKT_Pi
	.globl	_Z11rank_kernelIxLj4ELb0EL18RadixRankAlgorithm0ELj256ELj32ELj10EEvPKT_Pi
	.p2align	8
	.type	_Z11rank_kernelIxLj4ELb0EL18RadixRankAlgorithm0ELj256ELj32ELj10EEvPKT_Pi,@function
_Z11rank_kernelIxLj4ELb0EL18RadixRankAlgorithm0ELj256ELj32ELj10EEvPKT_Pi: ; @_Z11rank_kernelIxLj4ELb0EL18RadixRankAlgorithm0ELj256ELj32ELj10EEvPKT_Pi
; %bb.0:
	s_load_dwordx4 s[20:23], s[4:5], 0x0
	s_lshl_b32 s24, s6, 13
	s_mov_b32 s25, 0
	s_lshl_b64 s[0:1], s[24:25], 3
	v_lshlrev_b32_e32 v1, 8, v0
	s_waitcnt lgkmcnt(0)
	s_add_u32 s0, s20, s0
	s_addc_u32 s1, s21, s1
	global_load_dwordx4 v[2:5], v1, s[0:1]
	global_load_dwordx4 v[6:9], v1, s[0:1] offset:16
	global_load_dwordx4 v[10:13], v1, s[0:1] offset:32
	;; [unrolled: 1-line block ×15, first 2 shown]
	v_mbcnt_lo_u32_b32 v1, -1, 0
	v_mbcnt_hi_u32_b32 v66, -1, v1
	v_or_b32_e32 v68, 63, v0
	v_cmp_eq_u32_e64 s[2:3], v68, v0
	v_add_u32_e32 v68, -1, v66
	v_and_b32_e32 v74, 64, v66
	v_cmp_lt_i32_e64 s[18:19], v68, v74
	v_lshrrev_b32_e32 v69, 4, v0
	v_and_b32_e32 v72, 15, v66
	v_and_b32_e32 v73, 16, v66
	v_cmp_lt_u32_e64 s[4:5], 31, v66
	v_cmp_eq_u32_e64 s[6:7], 0, v66
	v_and_b32_e32 v75, 3, v66
	v_cndmask_b32_e64 v66, v68, v66, s[18:19]
	s_movk_i32 s33, 0x700
	v_mov_b32_e32 v67, 0
	v_cmp_gt_u32_e32 vcc, 4, v0
	v_cmp_lt_u32_e64 s[0:1], 63, v0
	v_or_b32_e32 v1, 0x100, v0
	s_mov_b32 s34, s25
	v_lshlrev_b32_e32 v70, 2, v0
	v_and_b32_e32 v71, 12, v69
	v_cmp_eq_u32_e64 s[8:9], 0, v72
	v_cmp_lt_u32_e64 s[10:11], 1, v72
	v_cmp_lt_u32_e64 s[12:13], 3, v72
	v_cmp_lt_u32_e64 s[14:15], 7, v72
	v_cmp_eq_u32_e64 s[16:17], 0, v73
	v_cmp_eq_u32_e64 s[18:19], 0, v75
	v_cmp_lt_u32_e64 s[20:21], 1, v75
	v_lshlrev_b32_e32 v72, 2, v66
	v_lshlrev_b32_e32 v66, 5, v0
	s_waitcnt vmcnt(15)
	v_xor_b32_e32 v3, 0x80000000, v3
	v_xor_b32_e32 v5, 0x80000000, v5
	s_waitcnt vmcnt(14)
	v_xor_b32_e32 v7, 0x80000000, v7
	v_xor_b32_e32 v9, 0x80000000, v9
	;; [unrolled: 3-line block ×16, first 2 shown]
	s_branch .LBB117_2
.LBB117_1:                              ;   in Loop: Header=BB117_2 Depth=1
	s_add_i32 s34, s34, 1
	s_cmp_eq_u32 s34, 10
	s_cbranch_scc1 .LBB117_16
.LBB117_2:                              ; =>This Loop Header: Depth=1
                                        ;     Child Loop BB117_4 Depth 2
                                        ;       Child Loop BB117_6 Depth 3
	s_mov_b32 s35, 0
	s_branch .LBB117_4
.LBB117_3:                              ;   in Loop: Header=BB117_4 Depth=2
	s_or_b64 exec, exec, s[26:27]
	s_waitcnt lgkmcnt(0)
	v_add_u32_e32 v135, v136, v135
	ds_bpermute_b32 v135, v72, v135
	ds_read_b32 v138, v67 offset:8204
	s_add_i32 s26, s35, 4
	s_cmp_lt_u32 s35, 60
	s_mov_b32 s35, s26
	s_waitcnt lgkmcnt(1)
	v_cndmask_b32_e64 v135, v135, v136, s[6:7]
	ds_read2_b32 v[136:137], v66 offset1:1
	s_waitcnt lgkmcnt(1)
	v_lshl_add_u32 v135, v138, 16, v135
	ds_read2_b32 v[138:139], v66 offset0:2 offset1:3
	ds_read2_b32 v[140:141], v66 offset0:4 offset1:5
	ds_read_b32 v142, v66 offset:24
	s_waitcnt lgkmcnt(3)
	v_add_u32_e32 v136, v135, v136
	ds_write2_b32 v66, v135, v136 offset1:1
	v_add_u32_e32 v135, v137, v136
	s_waitcnt lgkmcnt(3)
	v_add_u32_e32 v136, v138, v135
	ds_write2_b32 v66, v135, v136 offset0:2 offset1:3
	v_add_u32_e32 v135, v139, v136
	s_waitcnt lgkmcnt(3)
	v_add_u32_e32 v136, v140, v135
	ds_write2_b32 v66, v135, v136 offset0:4 offset1:5
	;; [unrolled: 4-line block ×3, first 2 shown]
	s_waitcnt lgkmcnt(0)
	s_barrier
	s_cbranch_scc0 .LBB117_1
.LBB117_4:                              ;   Parent Loop BB117_2 Depth=1
                                        ; =>  This Loop Header: Depth=2
                                        ;       Child Loop BB117_6 Depth 3
	s_mov_b32 s36, 0
	s_mov_b64 s[26:27], 0
	v_pk_mov_b32 v[68:69], v[0:1], v[0:1] op_sel:[0,1]
	s_branch .LBB117_6
.LBB117_5:                              ;   in Loop: Header=BB117_6 Depth=3
	s_or_b64 exec, exec, s[30:31]
	s_add_i32 s36, s36, 2
	v_cmp_eq_u32_e64 s[28:29], 8, s36
	v_add_u32_e32 v69, 0x200, v69
	s_or_b64 s[26:27], s[28:29], s[26:27]
	v_add_u32_e32 v68, 0x200, v68
	s_andn2_b64 exec, exec, s[26:27]
	s_cbranch_execz .LBB117_10
.LBB117_6:                              ;   Parent Loop BB117_2 Depth=1
                                        ;     Parent Loop BB117_4 Depth=2
                                        ; =>    This Inner Loop Header: Depth=3
	s_or_b32 s28, s36, 1
	v_cmp_le_u32_e64 s[28:29], s28, 7
	v_cmp_le_u32_e64 s[38:39], s36, 7
	s_and_saveexec_b64 s[30:31], s[38:39]
	s_cbranch_execz .LBB117_8
; %bb.7:                                ;   in Loop: Header=BB117_6 Depth=3
	v_lshlrev_b32_e32 v73, 2, v68
	ds_write_b32 v73, v67
.LBB117_8:                              ;   in Loop: Header=BB117_6 Depth=3
	s_or_b64 exec, exec, s[30:31]
	s_and_saveexec_b64 s[30:31], s[28:29]
	s_cbranch_execz .LBB117_5
; %bb.9:                                ;   in Loop: Header=BB117_6 Depth=3
	v_lshlrev_b32_e32 v73, 2, v69
	ds_write_b32 v73, v67
	s_branch .LBB117_5
.LBB117_10:                             ;   in Loop: Header=BB117_4 Depth=2
	s_or_b64 exec, exec, s[26:27]
	s_sub_i32 s26, 60, s35
	v_lshlrev_b64 v[68:69], s26, v[2:3]
	v_lshrrev_b32_e32 v68, 20, v69
	v_lshrrev_b32_e32 v69, 30, v69
	v_and_or_b32 v68, v68, s33, v0
	v_and_b32_e32 v69, 2, v69
	v_lshl_or_b32 v69, v68, 2, v69
	ds_read_u16 v68, v69
	v_lshlrev_b64 v[74:75], s26, v[4:5]
	v_lshrrev_b32_e32 v73, 20, v75
	v_and_or_b32 v73, v73, s33, v0
	v_lshlrev_b64 v[76:77], s26, v[6:7]
	s_waitcnt lgkmcnt(0)
	v_add_u16_e32 v74, 1, v68
	ds_write_b16 v69, v74
	v_lshrrev_b32_e32 v74, 30, v75
	v_and_b32_e32 v74, 2, v74
	v_lshl_or_b32 v75, v73, 2, v74
	ds_read_u16 v73, v75
	v_lshrrev_b32_e32 v76, 30, v77
	v_and_b32_e32 v76, 2, v76
	v_lshlrev_b64 v[78:79], s26, v[8:9]
	v_lshrrev_b32_e32 v78, 30, v79
	s_waitcnt lgkmcnt(0)
	v_add_u16_e32 v74, 1, v73
	ds_write_b16 v75, v74
	v_lshrrev_b32_e32 v74, 20, v77
	v_and_or_b32 v74, v74, s33, v0
	v_lshl_or_b32 v77, v74, 2, v76
	ds_read_u16 v74, v77
	v_and_b32_e32 v78, 2, v78
	v_lshlrev_b64 v[80:81], s26, v[10:11]
	v_lshrrev_b32_e32 v80, 30, v81
	v_and_b32_e32 v80, 2, v80
	s_waitcnt lgkmcnt(0)
	v_add_u16_e32 v76, 1, v74
	ds_write_b16 v77, v76
	v_lshrrev_b32_e32 v76, 20, v79
	v_and_or_b32 v76, v76, s33, v0
	v_lshl_or_b32 v79, v76, 2, v78
	ds_read_u16 v76, v79
	v_lshlrev_b64 v[82:83], s26, v[12:13]
	v_lshrrev_b32_e32 v82, 30, v83
	v_and_b32_e32 v82, 2, v82
	v_lshlrev_b64 v[84:85], s26, v[14:15]
	s_waitcnt lgkmcnt(0)
	v_add_u16_e32 v78, 1, v76
	ds_write_b16 v79, v78
	v_lshrrev_b32_e32 v78, 20, v81
	v_and_or_b32 v78, v78, s33, v0
	v_lshl_or_b32 v81, v78, 2, v80
	ds_read_u16 v78, v81
	v_lshrrev_b32_e32 v84, 30, v85
	v_and_b32_e32 v84, 2, v84
	v_lshlrev_b64 v[90:91], s26, v[18:19]
	v_lshrrev_b32_e32 v87, 30, v91
	s_waitcnt lgkmcnt(0)
	v_add_u16_e32 v80, 1, v78
	ds_write_b16 v81, v80
	v_lshrrev_b32_e32 v80, 20, v83
	v_and_or_b32 v80, v80, s33, v0
	v_lshl_or_b32 v83, v80, 2, v82
	ds_read_u16 v80, v83
	v_and_b32_e32 v87, 2, v87
	v_lshlrev_b64 v[92:93], s26, v[22:23]
	v_lshrrev_b32_e32 v92, 30, v93
	v_and_b32_e32 v92, 2, v92
	s_waitcnt lgkmcnt(0)
	v_add_u16_e32 v82, 1, v80
	ds_write_b16 v83, v82
	v_lshrrev_b32_e32 v82, 20, v85
	v_and_or_b32 v82, v82, s33, v0
	v_lshl_or_b32 v86, v82, 2, v84
	ds_read_u16 v82, v86
	v_lshlrev_b64 v[94:95], s26, v[24:25]
	v_lshrrev_b32_e32 v94, 30, v95
	v_and_b32_e32 v94, 2, v94
	v_lshlrev_b64 v[96:97], s26, v[26:27]
	s_waitcnt lgkmcnt(0)
	v_add_u16_e32 v84, 1, v82
	ds_write_b16 v86, v84
	v_lshlrev_b64 v[84:85], s26, v[16:17]
	v_lshrrev_b32_e32 v84, 20, v85
	v_lshrrev_b32_e32 v85, 30, v85
	v_and_or_b32 v84, v84, s33, v0
	v_and_b32_e32 v85, 2, v85
	v_lshl_or_b32 v89, v84, 2, v85
	ds_read_u16 v84, v89
	v_lshrrev_b32_e32 v96, 30, v97
	v_and_b32_e32 v96, 2, v96
	v_lshlrev_b64 v[98:99], s26, v[28:29]
	v_lshrrev_b32_e32 v98, 30, v99
	s_waitcnt lgkmcnt(0)
	v_add_u16_e32 v85, 1, v84
	ds_write_b16 v89, v85
	v_lshrrev_b32_e32 v85, 20, v91
	v_and_or_b32 v85, v85, s33, v0
	v_lshl_or_b32 v87, v85, 2, v87
	ds_read_u16 v85, v87
	v_lshlrev_b64 v[90:91], s26, v[20:21]
	v_lshrrev_b32_e32 v90, 30, v91
	v_and_b32_e32 v90, 2, v90
	v_and_b32_e32 v98, 2, v98
	s_waitcnt lgkmcnt(0)
	v_add_u16_e32 v88, 1, v85
	ds_write_b16 v87, v88
	v_lshrrev_b32_e32 v88, 20, v91
	v_and_or_b32 v88, v88, s33, v0
	v_lshl_or_b32 v91, v88, 2, v90
	ds_read_u16 v88, v91
	v_lshlrev_b64 v[100:101], s26, v[30:31]
	v_lshrrev_b32_e32 v100, 30, v101
	v_and_b32_e32 v100, 2, v100
	v_lshlrev_b64 v[106:107], s26, v[34:35]
	s_waitcnt lgkmcnt(0)
	v_add_u16_e32 v90, 1, v88
	ds_write_b16 v91, v90
	v_lshrrev_b32_e32 v90, 20, v93
	v_and_or_b32 v90, v90, s33, v0
	v_lshl_or_b32 v93, v90, 2, v92
	ds_read_u16 v90, v93
	v_lshrrev_b32_e32 v103, 30, v107
	v_and_b32_e32 v103, 2, v103
	v_lshlrev_b64 v[116:117], s26, v[42:43]
	v_lshrrev_b32_e32 v109, 30, v117
	s_waitcnt lgkmcnt(0)
	v_add_u16_e32 v92, 1, v90
	ds_write_b16 v93, v92
	v_lshrrev_b32_e32 v92, 20, v95
	v_and_or_b32 v92, v92, s33, v0
	v_lshl_or_b32 v95, v92, 2, v94
	ds_read_u16 v92, v95
	v_and_b32_e32 v109, 2, v109
	v_lshlrev_b64 v[118:119], s26, v[44:45]
	v_lshrrev_b32_e32 v111, 30, v119
	v_and_b32_e32 v111, 2, v111
	s_waitcnt lgkmcnt(0)
	v_add_u16_e32 v94, 1, v92
	ds_write_b16 v95, v94
	v_lshrrev_b32_e32 v94, 20, v97
	v_and_or_b32 v94, v94, s33, v0
	v_lshl_or_b32 v97, v94, 2, v96
	ds_read_u16 v94, v97
	v_lshlrev_b64 v[120:121], s26, v[46:47]
	v_lshrrev_b32_e32 v113, 30, v121
	v_and_b32_e32 v113, 2, v113
	v_lshlrev_b64 v[122:123], s26, v[48:49]
	s_waitcnt lgkmcnt(0)
	v_add_u16_e32 v96, 1, v94
	ds_write_b16 v97, v96
	v_lshrrev_b32_e32 v96, 20, v99
	v_and_or_b32 v96, v96, s33, v0
	v_lshl_or_b32 v99, v96, 2, v98
	ds_read_u16 v96, v99
	v_lshrrev_b32_e32 v114, 30, v123
	v_and_b32_e32 v114, 2, v114
	v_lshlrev_b64 v[124:125], s26, v[50:51]
	v_lshrrev_b32_e32 v116, 30, v125
	s_waitcnt lgkmcnt(0)
	v_add_u16_e32 v98, 1, v96
	ds_write_b16 v99, v98
	v_lshrrev_b32_e32 v98, 20, v101
	v_and_or_b32 v98, v98, s33, v0
	v_lshl_or_b32 v102, v98, 2, v100
	ds_read_u16 v98, v102
	v_and_b32_e32 v116, 2, v116
	v_lshlrev_b64 v[134:135], s26, v[62:63]
	v_lshrrev_b32_e32 v127, 30, v135
	v_and_b32_e32 v127, 2, v127
	s_waitcnt lgkmcnt(0)
	v_add_u16_e32 v100, 1, v98
	ds_write_b16 v102, v100
	v_lshlrev_b64 v[100:101], s26, v[32:33]
	v_lshrrev_b32_e32 v100, 20, v101
	v_lshrrev_b32_e32 v101, 30, v101
	v_and_or_b32 v100, v100, s33, v0
	v_and_b32_e32 v101, 2, v101
	v_lshl_or_b32 v104, v100, 2, v101
	ds_read_u16 v100, v104
	s_waitcnt lgkmcnt(0)
	v_add_u16_e32 v101, 1, v100
	ds_write_b16 v104, v101
	v_lshrrev_b32_e32 v101, 20, v107
	v_and_or_b32 v101, v101, s33, v0
	v_lshl_or_b32 v108, v101, 2, v103
	ds_read_u16 v101, v108
	v_lshlrev_b64 v[106:107], s26, v[36:37]
	v_lshrrev_b32_e32 v105, 30, v107
	v_and_b32_e32 v105, 2, v105
	s_waitcnt lgkmcnt(0)
	v_add_u16_e32 v103, 1, v101
	ds_write_b16 v108, v103
	v_lshrrev_b32_e32 v103, 20, v107
	v_and_or_b32 v103, v103, s33, v0
	v_lshl_or_b32 v110, v103, 2, v105
	ds_read_u16 v103, v110
	v_lshlrev_b64 v[106:107], s26, v[38:39]
	v_lshrrev_b32_e32 v106, 30, v107
	v_and_b32_e32 v106, 2, v106
	s_waitcnt lgkmcnt(0)
	v_add_u16_e32 v105, 1, v103
	ds_write_b16 v110, v105
	v_lshrrev_b32_e32 v105, 20, v107
	v_and_or_b32 v105, v105, s33, v0
	v_lshl_or_b32 v112, v105, 2, v106
	ds_read_u16 v105, v112
	s_waitcnt lgkmcnt(0)
	v_add_u16_e32 v106, 1, v105
	ds_write_b16 v112, v106
	v_lshlrev_b64 v[106:107], s26, v[40:41]
	v_lshrrev_b32_e32 v106, 20, v107
	v_lshrrev_b32_e32 v107, 30, v107
	v_and_or_b32 v106, v106, s33, v0
	v_and_b32_e32 v107, 2, v107
	v_lshl_or_b32 v115, v106, 2, v107
	ds_read_u16 v106, v115
	s_waitcnt lgkmcnt(0)
	v_add_u16_e32 v107, 1, v106
	ds_write_b16 v115, v107
	v_lshrrev_b32_e32 v107, 20, v117
	v_and_or_b32 v107, v107, s33, v0
	v_lshl_or_b32 v117, v107, 2, v109
	ds_read_u16 v107, v117
	s_waitcnt lgkmcnt(0)
	v_add_u16_e32 v109, 1, v107
	ds_write_b16 v117, v109
	v_lshrrev_b32_e32 v109, 20, v119
	v_and_or_b32 v109, v109, s33, v0
	;; [unrolled: 7-line block ×5, first 2 shown]
	v_lshl_or_b32 v126, v114, 2, v116
	ds_read_u16 v114, v126
	v_lshlrev_b64 v[124:125], s26, v[52:53]
	v_lshrrev_b32_e32 v118, 30, v125
	v_and_b32_e32 v118, 2, v118
	s_waitcnt lgkmcnt(0)
	v_add_u16_e32 v116, 1, v114
	ds_write_b16 v126, v116
	v_lshrrev_b32_e32 v116, 20, v125
	v_and_or_b32 v116, v116, s33, v0
	v_lshl_or_b32 v128, v116, 2, v118
	ds_read_u16 v116, v128
	v_lshlrev_b64 v[124:125], s26, v[54:55]
	v_lshrrev_b32_e32 v120, 30, v125
	v_and_b32_e32 v120, 2, v120
	s_waitcnt lgkmcnt(0)
	v_add_u16_e32 v118, 1, v116
	ds_write_b16 v128, v118
	v_lshrrev_b32_e32 v118, 20, v125
	v_and_or_b32 v118, v118, s33, v0
	;; [unrolled: 10-line block ×4, first 2 shown]
	v_lshl_or_b32 v131, v122, 2, v124
	ds_read_u16 v122, v131
	s_waitcnt lgkmcnt(0)
	v_add_u16_e32 v124, 1, v122
	ds_write_b16 v131, v124
	v_lshlrev_b64 v[124:125], s26, v[60:61]
	v_lshrrev_b32_e32 v124, 20, v125
	v_lshrrev_b32_e32 v125, 30, v125
	v_and_or_b32 v124, v124, s33, v0
	v_and_b32_e32 v125, 2, v125
	v_lshl_or_b32 v132, v124, 2, v125
	ds_read_u16 v124, v132
	s_waitcnt lgkmcnt(0)
	v_add_u16_e32 v125, 1, v124
	ds_write_b16 v132, v125
	v_lshrrev_b32_e32 v125, 20, v135
	v_and_or_b32 v125, v125, s33, v0
	v_lshl_or_b32 v133, v125, 2, v127
	ds_read_u16 v125, v133
	v_lshlrev_b64 v[134:135], s26, v[64:65]
	v_lshrrev_b32_e32 v134, 30, v135
	v_and_b32_e32 v134, 2, v134
	s_waitcnt lgkmcnt(0)
	v_add_u16_e32 v127, 1, v125
	ds_write_b16 v133, v127
	v_lshrrev_b32_e32 v127, 20, v135
	v_and_or_b32 v127, v127, s33, v0
	v_lshl_or_b32 v134, v127, 2, v134
	ds_read_u16 v127, v134
	s_waitcnt lgkmcnt(0)
	v_add_u16_e32 v135, 1, v127
	ds_write_b16 v134, v135
	s_waitcnt lgkmcnt(0)
	s_barrier
	ds_read2_b32 v[136:137], v66 offset1:1
	ds_read2_b32 v[138:139], v66 offset0:2 offset1:3
	ds_read2_b32 v[140:141], v66 offset0:4 offset1:5
	ds_read2_b32 v[142:143], v66 offset0:6 offset1:7
	s_waitcnt lgkmcnt(3)
	v_add_u32_e32 v135, v137, v136
	s_waitcnt lgkmcnt(2)
	v_add3_u32 v135, v135, v138, v139
	s_waitcnt lgkmcnt(1)
	v_add3_u32 v135, v135, v140, v141
	;; [unrolled: 2-line block ×3, first 2 shown]
	s_nop 1
	v_mov_b32_dpp v136, v135 row_shr:1 row_mask:0xf bank_mask:0xf
	v_cndmask_b32_e64 v136, v136, 0, s[8:9]
	v_add_u32_e32 v135, v136, v135
	s_nop 1
	v_mov_b32_dpp v136, v135 row_shr:2 row_mask:0xf bank_mask:0xf
	v_cndmask_b32_e64 v136, 0, v136, s[10:11]
	v_add_u32_e32 v135, v135, v136
	;; [unrolled: 4-line block ×4, first 2 shown]
	s_nop 1
	v_mov_b32_dpp v136, v135 row_bcast:15 row_mask:0xf bank_mask:0xf
	v_cndmask_b32_e64 v136, v136, 0, s[16:17]
	v_add_u32_e32 v135, v135, v136
	s_nop 1
	v_mov_b32_dpp v136, v135 row_bcast:31 row_mask:0xf bank_mask:0xf
	v_cndmask_b32_e64 v136, 0, v136, s[4:5]
	v_add_u32_e32 v135, v135, v136
	s_and_saveexec_b64 s[26:27], s[2:3]
	s_cbranch_execz .LBB117_12
; %bb.11:                               ;   in Loop: Header=BB117_4 Depth=2
	ds_write_b32 v71, v135 offset:8192
.LBB117_12:                             ;   in Loop: Header=BB117_4 Depth=2
	s_or_b64 exec, exec, s[26:27]
	s_waitcnt lgkmcnt(0)
	s_barrier
	s_and_saveexec_b64 s[26:27], vcc
	s_cbranch_execz .LBB117_14
; %bb.13:                               ;   in Loop: Header=BB117_4 Depth=2
	ds_read_b32 v136, v70 offset:8192
	s_waitcnt lgkmcnt(0)
	s_nop 0
	v_mov_b32_dpp v137, v136 row_shr:1 row_mask:0xf bank_mask:0xf
	v_cndmask_b32_e64 v137, v137, 0, s[18:19]
	v_add_u32_e32 v136, v137, v136
	s_nop 1
	v_mov_b32_dpp v137, v136 row_shr:2 row_mask:0xf bank_mask:0xf
	v_cndmask_b32_e64 v137, 0, v137, s[20:21]
	v_add_u32_e32 v136, v136, v137
	ds_write_b32 v70, v136 offset:8192
.LBB117_14:                             ;   in Loop: Header=BB117_4 Depth=2
	s_or_b64 exec, exec, s[26:27]
	v_mov_b32_e32 v136, 0
	s_waitcnt lgkmcnt(0)
	s_barrier
	s_and_saveexec_b64 s[26:27], s[0:1]
	s_cbranch_execz .LBB117_3
; %bb.15:                               ;   in Loop: Header=BB117_4 Depth=2
	ds_read_b32 v136, v71 offset:8188
	s_branch .LBB117_3
.LBB117_16:
	ds_read_u16 v31, v134
	ds_read_u16 v30, v133
	;; [unrolled: 1-line block ×32, first 2 shown]
	s_lshl_b64 s[0:1], s[24:25], 2
	s_add_u32 s0, s22, s0
	s_waitcnt lgkmcnt(8)
	v_add_u32_sdwa v0, v0, v68 dst_sel:DWORD dst_unused:UNUSED_PAD src0_sel:DWORD src1_sel:WORD_0
	v_add_u32_sdwa v1, v1, v73 dst_sel:DWORD dst_unused:UNUSED_PAD src0_sel:DWORD src1_sel:WORD_0
	v_add_u32_sdwa v2, v2, v74 dst_sel:DWORD dst_unused:UNUSED_PAD src0_sel:DWORD src1_sel:WORD_0
	v_add_u32_sdwa v3, v3, v76 dst_sel:DWORD dst_unused:UNUSED_PAD src0_sel:DWORD src1_sel:WORD_0
	s_addc_u32 s1, s23, s1
	v_lshlrev_b32_e32 v32, 2, v66
	v_add_u32_sdwa v4, v4, v78 dst_sel:DWORD dst_unused:UNUSED_PAD src0_sel:DWORD src1_sel:WORD_0
	v_add_u32_sdwa v5, v5, v80 dst_sel:DWORD dst_unused:UNUSED_PAD src0_sel:DWORD src1_sel:WORD_0
	;; [unrolled: 1-line block ×4, first 2 shown]
	s_waitcnt lgkmcnt(0)
	v_add_u32_sdwa v8, v8, v85 dst_sel:DWORD dst_unused:UNUSED_PAD src0_sel:DWORD src1_sel:WORD_0
	v_add_u32_sdwa v9, v9, v88 dst_sel:DWORD dst_unused:UNUSED_PAD src0_sel:DWORD src1_sel:WORD_0
	;; [unrolled: 1-line block ×24, first 2 shown]
	global_store_dwordx4 v32, v[0:3], s[0:1]
	global_store_dwordx4 v32, v[4:7], s[0:1] offset:16
	global_store_dwordx4 v32, v[8:11], s[0:1] offset:32
	;; [unrolled: 1-line block ×7, first 2 shown]
	s_endpgm
	.section	.rodata,"a",@progbits
	.p2align	6, 0x0
	.amdhsa_kernel _Z11rank_kernelIxLj4ELb0EL18RadixRankAlgorithm0ELj256ELj32ELj10EEvPKT_Pi
		.amdhsa_group_segment_fixed_size 8208
		.amdhsa_private_segment_fixed_size 0
		.amdhsa_kernarg_size 16
		.amdhsa_user_sgpr_count 6
		.amdhsa_user_sgpr_private_segment_buffer 1
		.amdhsa_user_sgpr_dispatch_ptr 0
		.amdhsa_user_sgpr_queue_ptr 0
		.amdhsa_user_sgpr_kernarg_segment_ptr 1
		.amdhsa_user_sgpr_dispatch_id 0
		.amdhsa_user_sgpr_flat_scratch_init 0
		.amdhsa_user_sgpr_kernarg_preload_length 0
		.amdhsa_user_sgpr_kernarg_preload_offset 0
		.amdhsa_user_sgpr_private_segment_size 0
		.amdhsa_uses_dynamic_stack 0
		.amdhsa_system_sgpr_private_segment_wavefront_offset 0
		.amdhsa_system_sgpr_workgroup_id_x 1
		.amdhsa_system_sgpr_workgroup_id_y 0
		.amdhsa_system_sgpr_workgroup_id_z 0
		.amdhsa_system_sgpr_workgroup_info 0
		.amdhsa_system_vgpr_workitem_id 0
		.amdhsa_next_free_vgpr 144
		.amdhsa_next_free_sgpr 40
		.amdhsa_accum_offset 144
		.amdhsa_reserve_vcc 1
		.amdhsa_reserve_flat_scratch 0
		.amdhsa_float_round_mode_32 0
		.amdhsa_float_round_mode_16_64 0
		.amdhsa_float_denorm_mode_32 3
		.amdhsa_float_denorm_mode_16_64 3
		.amdhsa_dx10_clamp 1
		.amdhsa_ieee_mode 1
		.amdhsa_fp16_overflow 0
		.amdhsa_tg_split 0
		.amdhsa_exception_fp_ieee_invalid_op 0
		.amdhsa_exception_fp_denorm_src 0
		.amdhsa_exception_fp_ieee_div_zero 0
		.amdhsa_exception_fp_ieee_overflow 0
		.amdhsa_exception_fp_ieee_underflow 0
		.amdhsa_exception_fp_ieee_inexact 0
		.amdhsa_exception_int_div_zero 0
	.end_amdhsa_kernel
	.section	.text._Z11rank_kernelIxLj4ELb0EL18RadixRankAlgorithm0ELj256ELj32ELj10EEvPKT_Pi,"axG",@progbits,_Z11rank_kernelIxLj4ELb0EL18RadixRankAlgorithm0ELj256ELj32ELj10EEvPKT_Pi,comdat
.Lfunc_end117:
	.size	_Z11rank_kernelIxLj4ELb0EL18RadixRankAlgorithm0ELj256ELj32ELj10EEvPKT_Pi, .Lfunc_end117-_Z11rank_kernelIxLj4ELb0EL18RadixRankAlgorithm0ELj256ELj32ELj10EEvPKT_Pi
                                        ; -- End function
	.section	.AMDGPU.csdata,"",@progbits
; Kernel info:
; codeLenInByte = 3912
; NumSgprs: 44
; NumVgprs: 144
; NumAgprs: 0
; TotalNumVgprs: 144
; ScratchSize: 0
; MemoryBound: 1
; FloatMode: 240
; IeeeMode: 1
; LDSByteSize: 8208 bytes/workgroup (compile time only)
; SGPRBlocks: 5
; VGPRBlocks: 17
; NumSGPRsForWavesPerEU: 44
; NumVGPRsForWavesPerEU: 144
; AccumOffset: 144
; Occupancy: 3
; WaveLimiterHint : 0
; COMPUTE_PGM_RSRC2:SCRATCH_EN: 0
; COMPUTE_PGM_RSRC2:USER_SGPR: 6
; COMPUTE_PGM_RSRC2:TRAP_HANDLER: 0
; COMPUTE_PGM_RSRC2:TGID_X_EN: 1
; COMPUTE_PGM_RSRC2:TGID_Y_EN: 0
; COMPUTE_PGM_RSRC2:TGID_Z_EN: 0
; COMPUTE_PGM_RSRC2:TIDIG_COMP_CNT: 0
; COMPUTE_PGM_RSRC3_GFX90A:ACCUM_OFFSET: 35
; COMPUTE_PGM_RSRC3_GFX90A:TG_SPLIT: 0
	.section	.text._Z11rank_kernelIxLj4ELb0EL18RadixRankAlgorithm1ELj256ELj32ELj10EEvPKT_Pi,"axG",@progbits,_Z11rank_kernelIxLj4ELb0EL18RadixRankAlgorithm1ELj256ELj32ELj10EEvPKT_Pi,comdat
	.protected	_Z11rank_kernelIxLj4ELb0EL18RadixRankAlgorithm1ELj256ELj32ELj10EEvPKT_Pi ; -- Begin function _Z11rank_kernelIxLj4ELb0EL18RadixRankAlgorithm1ELj256ELj32ELj10EEvPKT_Pi
	.globl	_Z11rank_kernelIxLj4ELb0EL18RadixRankAlgorithm1ELj256ELj32ELj10EEvPKT_Pi
	.p2align	8
	.type	_Z11rank_kernelIxLj4ELb0EL18RadixRankAlgorithm1ELj256ELj32ELj10EEvPKT_Pi,@function
_Z11rank_kernelIxLj4ELb0EL18RadixRankAlgorithm1ELj256ELj32ELj10EEvPKT_Pi: ; @_Z11rank_kernelIxLj4ELb0EL18RadixRankAlgorithm1ELj256ELj32ELj10EEvPKT_Pi
; %bb.0:
	s_load_dwordx4 s[20:23], s[4:5], 0x0
	s_lshl_b32 s24, s6, 13
	s_mov_b32 s25, 0
	s_lshl_b64 s[0:1], s[24:25], 3
	v_lshlrev_b32_e32 v1, 8, v0
	s_waitcnt lgkmcnt(0)
	s_add_u32 s0, s20, s0
	s_addc_u32 s1, s21, s1
	global_load_dwordx4 v[2:5], v1, s[0:1]
	global_load_dwordx4 v[6:9], v1, s[0:1] offset:16
	global_load_dwordx4 v[10:13], v1, s[0:1] offset:32
	;; [unrolled: 1-line block ×15, first 2 shown]
	v_mbcnt_lo_u32_b32 v1, -1, 0
	v_mbcnt_hi_u32_b32 v66, -1, v1
	v_or_b32_e32 v68, 63, v0
	v_cmp_eq_u32_e64 s[2:3], v68, v0
	v_add_u32_e32 v68, -1, v66
	v_and_b32_e32 v72, 64, v66
	v_cmp_lt_i32_e64 s[18:19], v68, v72
	v_lshrrev_b32_e32 v69, 4, v0
	v_and_b32_e32 v70, 15, v66
	v_and_b32_e32 v71, 16, v66
	v_cmp_lt_u32_e64 s[4:5], 31, v66
	v_cmp_eq_u32_e64 s[6:7], 0, v66
	v_and_b32_e32 v73, 3, v66
	v_cndmask_b32_e64 v66, v68, v66, s[18:19]
	s_movk_i32 s33, 0x700
	v_mov_b32_e32 v67, 0
	v_cmp_gt_u32_e32 vcc, 4, v0
	v_cmp_lt_u32_e64 s[0:1], 63, v0
	v_or_b32_e32 v1, 0x100, v0
	s_mov_b32 s34, s25
	v_lshlrev_b32_e32 v76, 2, v0
	v_and_b32_e32 v77, 12, v69
	v_cmp_eq_u32_e64 s[8:9], 0, v70
	v_cmp_lt_u32_e64 s[10:11], 1, v70
	v_cmp_lt_u32_e64 s[12:13], 3, v70
	;; [unrolled: 1-line block ×3, first 2 shown]
	v_cmp_eq_u32_e64 s[16:17], 0, v71
	v_cmp_eq_u32_e64 s[18:19], 0, v73
	v_cmp_lt_u32_e64 s[20:21], 1, v73
	v_lshlrev_b32_e32 v78, 2, v66
	v_lshlrev_b32_e32 v66, 5, v0
	s_waitcnt vmcnt(15)
	v_xor_b32_e32 v3, 0x80000000, v3
	v_xor_b32_e32 v5, 0x80000000, v5
	s_waitcnt vmcnt(14)
	v_xor_b32_e32 v7, 0x80000000, v7
	v_xor_b32_e32 v9, 0x80000000, v9
	;; [unrolled: 3-line block ×16, first 2 shown]
	s_branch .LBB118_2
.LBB118_1:                              ;   in Loop: Header=BB118_2 Depth=1
	s_add_i32 s34, s34, 1
	s_cmp_eq_u32 s34, 10
	s_cbranch_scc1 .LBB118_16
.LBB118_2:                              ; =>This Loop Header: Depth=1
                                        ;     Child Loop BB118_4 Depth 2
                                        ;       Child Loop BB118_6 Depth 3
	s_mov_b32 s35, 0
	s_branch .LBB118_4
.LBB118_3:                              ;   in Loop: Header=BB118_4 Depth=2
	s_or_b64 exec, exec, s[26:27]
	s_waitcnt lgkmcnt(0)
	v_add_u32_e32 v71, v143, v71
	ds_bpermute_b32 v71, v78, v71
	ds_read_b32 v144, v67 offset:8204
	s_add_i32 s26, s35, 4
	s_cmp_lt_u32 s35, 60
	s_mov_b32 s35, s26
	s_waitcnt lgkmcnt(1)
	v_cndmask_b32_e64 v71, v71, v143, s[6:7]
	s_waitcnt lgkmcnt(0)
	v_lshl_add_u32 v71, v144, 16, v71
	v_add_u32_e32 v74, v71, v74
	v_add_u32_e32 v75, v74, v75
	ds_write2_b32 v66, v71, v74 offset1:1
	v_add_u32_e32 v71, v75, v72
	v_add_u32_e32 v72, v71, v73
	;; [unrolled: 1-line block ×4, first 2 shown]
	ds_write2_b32 v66, v72, v68 offset0:4 offset1:5
	v_add_u32_e32 v68, v69, v70
	ds_write2_b32 v66, v75, v71 offset0:2 offset1:3
	ds_write2_b32 v66, v69, v68 offset0:6 offset1:7
	s_waitcnt lgkmcnt(0)
	s_barrier
	s_cbranch_scc0 .LBB118_1
.LBB118_4:                              ;   Parent Loop BB118_2 Depth=1
                                        ; =>  This Loop Header: Depth=2
                                        ;       Child Loop BB118_6 Depth 3
	s_mov_b32 s36, 0
	s_mov_b64 s[26:27], 0
	v_pk_mov_b32 v[68:69], v[0:1], v[0:1] op_sel:[0,1]
	s_branch .LBB118_6
.LBB118_5:                              ;   in Loop: Header=BB118_6 Depth=3
	s_or_b64 exec, exec, s[30:31]
	s_add_i32 s36, s36, 2
	v_cmp_eq_u32_e64 s[28:29], 8, s36
	v_add_u32_e32 v69, 0x200, v69
	s_or_b64 s[26:27], s[28:29], s[26:27]
	v_add_u32_e32 v68, 0x200, v68
	s_andn2_b64 exec, exec, s[26:27]
	s_cbranch_execz .LBB118_10
.LBB118_6:                              ;   Parent Loop BB118_2 Depth=1
                                        ;     Parent Loop BB118_4 Depth=2
                                        ; =>    This Inner Loop Header: Depth=3
	s_or_b32 s28, s36, 1
	v_cmp_le_u32_e64 s[28:29], s28, 7
	v_cmp_le_u32_e64 s[38:39], s36, 7
	s_and_saveexec_b64 s[30:31], s[38:39]
	s_cbranch_execz .LBB118_8
; %bb.7:                                ;   in Loop: Header=BB118_6 Depth=3
	v_lshlrev_b32_e32 v70, 2, v68
	ds_write_b32 v70, v67
.LBB118_8:                              ;   in Loop: Header=BB118_6 Depth=3
	s_or_b64 exec, exec, s[30:31]
	s_and_saveexec_b64 s[30:31], s[28:29]
	s_cbranch_execz .LBB118_5
; %bb.9:                                ;   in Loop: Header=BB118_6 Depth=3
	v_lshlrev_b32_e32 v70, 2, v69
	ds_write_b32 v70, v67
	s_branch .LBB118_5
.LBB118_10:                             ;   in Loop: Header=BB118_4 Depth=2
	s_or_b64 exec, exec, s[26:27]
	s_sub_i32 s26, 60, s35
	v_lshlrev_b64 v[68:69], s26, v[2:3]
	v_lshrrev_b32_e32 v68, 20, v69
	v_lshrrev_b32_e32 v69, 30, v69
	v_and_or_b32 v68, v68, s33, v0
	v_and_b32_e32 v69, 2, v69
	v_lshl_or_b32 v80, v68, 2, v69
	ds_read_u16 v79, v80
	v_lshlrev_b64 v[68:69], s26, v[4:5]
	v_lshrrev_b32_e32 v68, 20, v69
	v_lshrrev_b32_e32 v69, 30, v69
	v_and_or_b32 v68, v68, s33, v0
	s_waitcnt lgkmcnt(0)
	v_add_u16_e32 v70, 1, v79
	v_and_b32_e32 v69, 2, v69
	ds_write_b16 v80, v70
	v_lshl_or_b32 v83, v68, 2, v69
	ds_read_u16 v81, v83
	s_waitcnt lgkmcnt(0)
	v_add_u16_e32 v68, 1, v81
	ds_write_b16 v83, v68
	v_lshlrev_b64 v[68:69], s26, v[6:7]
	v_lshrrev_b32_e32 v68, 20, v69
	v_lshrrev_b32_e32 v69, 30, v69
	v_and_or_b32 v68, v68, s33, v0
	v_and_b32_e32 v69, 2, v69
	v_lshl_or_b32 v85, v68, 2, v69
	ds_read_u16 v82, v85
	s_waitcnt lgkmcnt(0)
	v_add_u16_e32 v68, 1, v82
	ds_write_b16 v85, v68
	v_lshlrev_b64 v[68:69], s26, v[8:9]
	v_lshrrev_b32_e32 v68, 20, v69
	v_lshrrev_b32_e32 v69, 30, v69
	v_and_or_b32 v68, v68, s33, v0
	v_and_b32_e32 v69, 2, v69
	;; [unrolled: 10-line block ×30, first 2 shown]
	v_lshl_or_b32 v142, v68, 2, v69
	ds_read_u16 v135, v142
	s_waitcnt lgkmcnt(0)
	v_add_u16_e32 v68, 1, v135
	ds_write_b16 v142, v68
	s_waitcnt lgkmcnt(0)
	s_barrier
	ds_read2_b32 v[74:75], v66 offset1:1
	ds_read2_b32 v[72:73], v66 offset0:2 offset1:3
	ds_read2_b32 v[68:69], v66 offset0:4 offset1:5
	;; [unrolled: 1-line block ×3, first 2 shown]
	s_waitcnt lgkmcnt(3)
	v_add_u32_e32 v143, v75, v74
	s_waitcnt lgkmcnt(2)
	v_add3_u32 v143, v143, v72, v73
	s_waitcnt lgkmcnt(1)
	v_add3_u32 v143, v143, v68, v69
	;; [unrolled: 2-line block ×3, first 2 shown]
	s_nop 1
	v_mov_b32_dpp v143, v71 row_shr:1 row_mask:0xf bank_mask:0xf
	v_cndmask_b32_e64 v143, v143, 0, s[8:9]
	v_add_u32_e32 v71, v143, v71
	s_nop 1
	v_mov_b32_dpp v143, v71 row_shr:2 row_mask:0xf bank_mask:0xf
	v_cndmask_b32_e64 v143, 0, v143, s[10:11]
	v_add_u32_e32 v71, v71, v143
	;; [unrolled: 4-line block ×4, first 2 shown]
	s_nop 1
	v_mov_b32_dpp v143, v71 row_bcast:15 row_mask:0xf bank_mask:0xf
	v_cndmask_b32_e64 v143, v143, 0, s[16:17]
	v_add_u32_e32 v71, v71, v143
	s_nop 1
	v_mov_b32_dpp v143, v71 row_bcast:31 row_mask:0xf bank_mask:0xf
	v_cndmask_b32_e64 v143, 0, v143, s[4:5]
	v_add_u32_e32 v71, v71, v143
	s_and_saveexec_b64 s[26:27], s[2:3]
	s_cbranch_execz .LBB118_12
; %bb.11:                               ;   in Loop: Header=BB118_4 Depth=2
	ds_write_b32 v77, v71 offset:8192
.LBB118_12:                             ;   in Loop: Header=BB118_4 Depth=2
	s_or_b64 exec, exec, s[26:27]
	s_waitcnt lgkmcnt(0)
	s_barrier
	s_and_saveexec_b64 s[26:27], vcc
	s_cbranch_execz .LBB118_14
; %bb.13:                               ;   in Loop: Header=BB118_4 Depth=2
	ds_read_b32 v143, v76 offset:8192
	s_waitcnt lgkmcnt(0)
	s_nop 0
	v_mov_b32_dpp v144, v143 row_shr:1 row_mask:0xf bank_mask:0xf
	v_cndmask_b32_e64 v144, v144, 0, s[18:19]
	v_add_u32_e32 v143, v144, v143
	s_nop 1
	v_mov_b32_dpp v144, v143 row_shr:2 row_mask:0xf bank_mask:0xf
	v_cndmask_b32_e64 v144, 0, v144, s[20:21]
	v_add_u32_e32 v143, v143, v144
	ds_write_b32 v76, v143 offset:8192
.LBB118_14:                             ;   in Loop: Header=BB118_4 Depth=2
	s_or_b64 exec, exec, s[26:27]
	v_mov_b32_e32 v143, 0
	s_waitcnt lgkmcnt(0)
	s_barrier
	s_and_saveexec_b64 s[26:27], s[0:1]
	s_cbranch_execz .LBB118_3
; %bb.15:                               ;   in Loop: Header=BB118_4 Depth=2
	ds_read_b32 v143, v77 offset:8188
	s_branch .LBB118_3
.LBB118_16:
	ds_read_u16 v31, v142
	ds_read_u16 v30, v141
	;; [unrolled: 1-line block ×32, first 2 shown]
	s_lshl_b64 s[0:1], s[24:25], 2
	s_add_u32 s0, s22, s0
	s_waitcnt lgkmcnt(8)
	v_add_u32_sdwa v0, v0, v79 dst_sel:DWORD dst_unused:UNUSED_PAD src0_sel:DWORD src1_sel:WORD_0
	v_add_u32_sdwa v1, v1, v81 dst_sel:DWORD dst_unused:UNUSED_PAD src0_sel:DWORD src1_sel:WORD_0
	;; [unrolled: 1-line block ×4, first 2 shown]
	s_addc_u32 s1, s23, s1
	v_lshlrev_b32_e32 v32, 2, v66
	v_add_u32_sdwa v4, v4, v86 dst_sel:DWORD dst_unused:UNUSED_PAD src0_sel:DWORD src1_sel:WORD_0
	v_add_u32_sdwa v5, v5, v88 dst_sel:DWORD dst_unused:UNUSED_PAD src0_sel:DWORD src1_sel:WORD_0
	;; [unrolled: 1-line block ×4, first 2 shown]
	s_waitcnt lgkmcnt(0)
	v_add_u32_sdwa v8, v8, v93 dst_sel:DWORD dst_unused:UNUSED_PAD src0_sel:DWORD src1_sel:WORD_0
	v_add_u32_sdwa v9, v9, v96 dst_sel:DWORD dst_unused:UNUSED_PAD src0_sel:DWORD src1_sel:WORD_0
	;; [unrolled: 1-line block ×24, first 2 shown]
	global_store_dwordx4 v32, v[0:3], s[0:1]
	global_store_dwordx4 v32, v[4:7], s[0:1] offset:16
	global_store_dwordx4 v32, v[8:11], s[0:1] offset:32
	;; [unrolled: 1-line block ×7, first 2 shown]
	s_endpgm
	.section	.rodata,"a",@progbits
	.p2align	6, 0x0
	.amdhsa_kernel _Z11rank_kernelIxLj4ELb0EL18RadixRankAlgorithm1ELj256ELj32ELj10EEvPKT_Pi
		.amdhsa_group_segment_fixed_size 8208
		.amdhsa_private_segment_fixed_size 0
		.amdhsa_kernarg_size 16
		.amdhsa_user_sgpr_count 6
		.amdhsa_user_sgpr_private_segment_buffer 1
		.amdhsa_user_sgpr_dispatch_ptr 0
		.amdhsa_user_sgpr_queue_ptr 0
		.amdhsa_user_sgpr_kernarg_segment_ptr 1
		.amdhsa_user_sgpr_dispatch_id 0
		.amdhsa_user_sgpr_flat_scratch_init 0
		.amdhsa_user_sgpr_kernarg_preload_length 0
		.amdhsa_user_sgpr_kernarg_preload_offset 0
		.amdhsa_user_sgpr_private_segment_size 0
		.amdhsa_uses_dynamic_stack 0
		.amdhsa_system_sgpr_private_segment_wavefront_offset 0
		.amdhsa_system_sgpr_workgroup_id_x 1
		.amdhsa_system_sgpr_workgroup_id_y 0
		.amdhsa_system_sgpr_workgroup_id_z 0
		.amdhsa_system_sgpr_workgroup_info 0
		.amdhsa_system_vgpr_workitem_id 0
		.amdhsa_next_free_vgpr 145
		.amdhsa_next_free_sgpr 40
		.amdhsa_accum_offset 148
		.amdhsa_reserve_vcc 1
		.amdhsa_reserve_flat_scratch 0
		.amdhsa_float_round_mode_32 0
		.amdhsa_float_round_mode_16_64 0
		.amdhsa_float_denorm_mode_32 3
		.amdhsa_float_denorm_mode_16_64 3
		.amdhsa_dx10_clamp 1
		.amdhsa_ieee_mode 1
		.amdhsa_fp16_overflow 0
		.amdhsa_tg_split 0
		.amdhsa_exception_fp_ieee_invalid_op 0
		.amdhsa_exception_fp_denorm_src 0
		.amdhsa_exception_fp_ieee_div_zero 0
		.amdhsa_exception_fp_ieee_overflow 0
		.amdhsa_exception_fp_ieee_underflow 0
		.amdhsa_exception_fp_ieee_inexact 0
		.amdhsa_exception_int_div_zero 0
	.end_amdhsa_kernel
	.section	.text._Z11rank_kernelIxLj4ELb0EL18RadixRankAlgorithm1ELj256ELj32ELj10EEvPKT_Pi,"axG",@progbits,_Z11rank_kernelIxLj4ELb0EL18RadixRankAlgorithm1ELj256ELj32ELj10EEvPKT_Pi,comdat
.Lfunc_end118:
	.size	_Z11rank_kernelIxLj4ELb0EL18RadixRankAlgorithm1ELj256ELj32ELj10EEvPKT_Pi, .Lfunc_end118-_Z11rank_kernelIxLj4ELb0EL18RadixRankAlgorithm1ELj256ELj32ELj10EEvPKT_Pi
                                        ; -- End function
	.section	.AMDGPU.csdata,"",@progbits
; Kernel info:
; codeLenInByte = 3864
; NumSgprs: 44
; NumVgprs: 145
; NumAgprs: 0
; TotalNumVgprs: 145
; ScratchSize: 0
; MemoryBound: 1
; FloatMode: 240
; IeeeMode: 1
; LDSByteSize: 8208 bytes/workgroup (compile time only)
; SGPRBlocks: 5
; VGPRBlocks: 18
; NumSGPRsForWavesPerEU: 44
; NumVGPRsForWavesPerEU: 145
; AccumOffset: 148
; Occupancy: 3
; WaveLimiterHint : 0
; COMPUTE_PGM_RSRC2:SCRATCH_EN: 0
; COMPUTE_PGM_RSRC2:USER_SGPR: 6
; COMPUTE_PGM_RSRC2:TRAP_HANDLER: 0
; COMPUTE_PGM_RSRC2:TGID_X_EN: 1
; COMPUTE_PGM_RSRC2:TGID_Y_EN: 0
; COMPUTE_PGM_RSRC2:TGID_Z_EN: 0
; COMPUTE_PGM_RSRC2:TIDIG_COMP_CNT: 0
; COMPUTE_PGM_RSRC3_GFX90A:ACCUM_OFFSET: 36
; COMPUTE_PGM_RSRC3_GFX90A:TG_SPLIT: 0
	.section	.text._Z11rank_kernelIxLj4ELb0EL18RadixRankAlgorithm2ELj256ELj32ELj10EEvPKT_Pi,"axG",@progbits,_Z11rank_kernelIxLj4ELb0EL18RadixRankAlgorithm2ELj256ELj32ELj10EEvPKT_Pi,comdat
	.protected	_Z11rank_kernelIxLj4ELb0EL18RadixRankAlgorithm2ELj256ELj32ELj10EEvPKT_Pi ; -- Begin function _Z11rank_kernelIxLj4ELb0EL18RadixRankAlgorithm2ELj256ELj32ELj10EEvPKT_Pi
	.globl	_Z11rank_kernelIxLj4ELb0EL18RadixRankAlgorithm2ELj256ELj32ELj10EEvPKT_Pi
	.p2align	8
	.type	_Z11rank_kernelIxLj4ELb0EL18RadixRankAlgorithm2ELj256ELj32ELj10EEvPKT_Pi,@function
_Z11rank_kernelIxLj4ELb0EL18RadixRankAlgorithm2ELj256ELj32ELj10EEvPKT_Pi: ; @_Z11rank_kernelIxLj4ELb0EL18RadixRankAlgorithm2ELj256ELj32ELj10EEvPKT_Pi
; %bb.0:
	s_load_dwordx4 s[24:27], s[4:5], 0x0
	s_load_dword s22, s[4:5], 0x1c
	s_lshl_b32 s28, s6, 13
	s_mov_b32 s29, 0
	s_lshl_b64 s[0:1], s[28:29], 3
	s_waitcnt lgkmcnt(0)
	s_add_u32 s0, s24, s0
	v_and_b32_e32 v66, 0x3ff, v0
	s_addc_u32 s1, s25, s1
	v_lshlrev_b32_e32 v1, 8, v66
	global_load_dwordx4 v[2:5], v1, s[0:1]
	global_load_dwordx4 v[6:9], v1, s[0:1] offset:16
	global_load_dwordx4 v[10:13], v1, s[0:1] offset:32
	;; [unrolled: 1-line block ×15, first 2 shown]
	v_mbcnt_lo_u32_b32 v1, -1, 0
	v_mbcnt_hi_u32_b32 v69, -1, v1
	v_bfe_u32 v67, v0, 10, 10
	v_bfe_u32 v68, v0, 20, 10
	v_add_u32_e32 v73, -1, v69
	v_and_b32_e32 v74, 64, v69
	s_lshr_b32 s23, s22, 16
	v_or_b32_e32 v72, 63, v66
	v_lshrrev_b32_e32 v76, 4, v66
	v_cmp_lt_i32_e64 s[18:19], v73, v74
	s_and_b32 s22, s22, 0xffff
	v_mad_u32_u24 v67, v68, s23, v67
	v_and_b32_e32 v70, 15, v69
	v_and_b32_e32 v71, 16, v69
	v_lshlrev_b32_e32 v1, 2, v66
	v_cmp_lt_u32_e32 vcc, 31, v69
	v_cmp_gt_u32_e64 s[0:1], 4, v66
	v_cmp_lt_u32_e64 s[2:3], 63, v66
	v_cmp_eq_u32_e64 s[4:5], 0, v69
	v_and_b32_e32 v75, 3, v69
	v_lshlrev_b32_e32 v0, 5, v66
	v_cmp_eq_u32_e64 s[16:17], v72, v66
	v_cndmask_b32_e64 v69, v73, v69, s[18:19]
	v_mad_u64_u32 v[66:67], s[22:23], v67, s22, v[66:67]
	v_and_b32_e32 v74, 12, v76
	v_cmp_eq_u32_e64 s[6:7], 0, v70
	v_cmp_lt_u32_e64 s[8:9], 1, v70
	v_cmp_lt_u32_e64 s[10:11], 3, v70
	;; [unrolled: 1-line block ×3, first 2 shown]
	v_cmp_eq_u32_e64 s[14:15], 0, v71
	v_cmp_eq_u32_e64 s[18:19], 0, v75
	v_cmp_lt_u32_e64 s[20:21], 1, v75
	v_lshrrev_b32_e32 v71, 6, v66
	v_lshlrev_b32_e32 v73, 2, v69
	s_mov_b32 s33, s29
	v_add_u32_e32 v75, -4, v74
	v_mov_b32_e32 v66, 0
	s_waitcnt vmcnt(15)
	v_xor_b32_e32 v3, 0x80000000, v3
	v_xor_b32_e32 v5, 0x80000000, v5
	s_waitcnt vmcnt(14)
	v_xor_b32_e32 v7, 0x80000000, v7
	v_xor_b32_e32 v9, 0x80000000, v9
	;; [unrolled: 3-line block ×16, first 2 shown]
	s_branch .LBB119_2
.LBB119_1:                              ;   in Loop: Header=BB119_2 Depth=1
	s_add_i32 s33, s33, 1
	s_cmp_eq_u32 s33, 10
	s_cbranch_scc1 .LBB119_74
.LBB119_2:                              ; =>This Loop Header: Depth=1
                                        ;     Child Loop BB119_4 Depth 2
	s_mov_b64 s[30:31], 60
	s_mov_b32 s34, -4
	s_branch .LBB119_4
.LBB119_3:                              ;   in Loop: Header=BB119_4 Depth=2
	s_or_b64 exec, exec, s[22:23]
	s_waitcnt lgkmcnt(0)
	v_add_u32_e32 v68, v69, v68
	ds_bpermute_b32 v68, v73, v68
	s_add_i32 s34, s34, 4
	s_add_u32 s30, s30, -4
	s_addc_u32 s31, s31, -1
	s_cmp_lt_u32 s34, 60
	s_waitcnt lgkmcnt(0)
	v_cndmask_b32_e64 v68, v68, v69, s[4:5]
	ds_write_b32 v1, v68 offset:16
	s_waitcnt lgkmcnt(0)
	s_barrier
	s_cbranch_scc0 .LBB119_1
.LBB119_4:                              ;   Parent Loop BB119_2 Depth=1
                                        ; =>  This Inner Loop Header: Depth=2
	v_lshlrev_b64 v[68:69], s30, v[2:3]
	v_lshrrev_b32_e32 v72, 28, v69
	v_mad_u32_u24 v67, v72, 5, v71
	v_lshl_add_u32 v70, v67, 2, 16
	v_bfe_u32 v67, v69, 28, 1
	v_add_co_u32_e64 v76, s[22:23], -1, v67
	v_addc_co_u32_e64 v77, s[22:23], 0, -1, s[22:23]
	v_cmp_ne_u32_e64 s[22:23], 0, v67
	v_xor_b32_e32 v67, s23, v77
	v_and_b32_e32 v77, exec_hi, v67
	v_lshlrev_b32_e32 v67, 30, v72
	v_xor_b32_e32 v76, s22, v76
	v_cmp_gt_i64_e64 s[22:23], 0, v[66:67]
	v_not_b32_e32 v67, v67
	v_ashrrev_i32_e32 v67, 31, v67
	v_and_b32_e32 v76, exec_lo, v76
	v_xor_b32_e32 v78, s23, v67
	v_xor_b32_e32 v67, s22, v67
	v_and_b32_e32 v76, v76, v67
	v_lshlrev_b32_e32 v67, 29, v72
	v_cmp_gt_i64_e64 s[22:23], 0, v[66:67]
	v_not_b32_e32 v67, v67
	v_ashrrev_i32_e32 v67, 31, v67
	v_xor_b32_e32 v72, s23, v67
	v_xor_b32_e32 v67, s22, v67
	v_cmp_gt_i64_e64 s[22:23], 0, v[68:69]
	v_not_b32_e32 v68, v69
	v_ashrrev_i32_e32 v68, 31, v68
	v_and_b32_e32 v77, v77, v78
	v_and_b32_e32 v67, v76, v67
	v_xor_b32_e32 v69, s23, v68
	v_xor_b32_e32 v68, s22, v68
	v_and_b32_e32 v72, v77, v72
	v_and_b32_e32 v68, v67, v68
	;; [unrolled: 1-line block ×3, first 2 shown]
	v_mbcnt_lo_u32_b32 v67, v68, 0
	v_mbcnt_hi_u32_b32 v72, v69, v67
	v_cmp_eq_u32_e64 s[22:23], 0, v72
	v_cmp_ne_u64_e64 s[24:25], 0, v[68:69]
	s_and_b64 s[24:25], s[24:25], s[22:23]
	ds_write_b32 v1, v66 offset:16
	s_waitcnt lgkmcnt(0)
	s_barrier
	s_waitcnt lgkmcnt(0)
	; wave barrier
	s_and_saveexec_b64 s[22:23], s[24:25]
	s_cbranch_execz .LBB119_6
; %bb.5:                                ;   in Loop: Header=BB119_4 Depth=2
	v_bcnt_u32_b32 v67, v68, 0
	v_bcnt_u32_b32 v67, v69, v67
	ds_write_b32 v70, v67
.LBB119_6:                              ;   in Loop: Header=BB119_4 Depth=2
	s_or_b64 exec, exec, s[22:23]
	v_lshlrev_b64 v[68:69], s30, v[4:5]
	v_lshrrev_b32_e32 v78, 28, v69
	v_mul_u32_u24_e32 v67, 5, v78
	v_add_lshl_u32 v67, v67, v71, 2
	; wave barrier
	v_add_u32_e32 v77, 16, v67
	ds_read_b32 v76, v67 offset:16
	v_bfe_u32 v67, v69, 28, 1
	v_add_co_u32_e64 v79, s[22:23], -1, v67
	v_addc_co_u32_e64 v80, s[22:23], 0, -1, s[22:23]
	v_cmp_ne_u32_e64 s[22:23], 0, v67
	v_xor_b32_e32 v67, s23, v80
	v_and_b32_e32 v80, exec_hi, v67
	v_lshlrev_b32_e32 v67, 30, v78
	v_xor_b32_e32 v79, s22, v79
	v_cmp_gt_i64_e64 s[22:23], 0, v[66:67]
	v_not_b32_e32 v67, v67
	v_ashrrev_i32_e32 v67, 31, v67
	v_and_b32_e32 v79, exec_lo, v79
	v_xor_b32_e32 v81, s23, v67
	v_xor_b32_e32 v67, s22, v67
	v_and_b32_e32 v79, v79, v67
	v_lshlrev_b32_e32 v67, 29, v78
	v_cmp_gt_i64_e64 s[22:23], 0, v[66:67]
	v_not_b32_e32 v67, v67
	v_ashrrev_i32_e32 v67, 31, v67
	v_xor_b32_e32 v78, s23, v67
	v_xor_b32_e32 v67, s22, v67
	v_cmp_gt_i64_e64 s[22:23], 0, v[68:69]
	v_not_b32_e32 v68, v69
	v_ashrrev_i32_e32 v68, 31, v68
	v_and_b32_e32 v80, v80, v81
	v_and_b32_e32 v67, v79, v67
	v_xor_b32_e32 v69, s23, v68
	v_xor_b32_e32 v68, s22, v68
	v_and_b32_e32 v78, v80, v78
	v_and_b32_e32 v68, v67, v68
	;; [unrolled: 1-line block ×3, first 2 shown]
	v_mbcnt_lo_u32_b32 v67, v68, 0
	v_mbcnt_hi_u32_b32 v78, v69, v67
	v_cmp_eq_u32_e64 s[22:23], 0, v78
	v_cmp_ne_u64_e64 s[24:25], 0, v[68:69]
	s_and_b64 s[24:25], s[24:25], s[22:23]
	; wave barrier
	s_and_saveexec_b64 s[22:23], s[24:25]
	s_cbranch_execz .LBB119_8
; %bb.7:                                ;   in Loop: Header=BB119_4 Depth=2
	v_bcnt_u32_b32 v67, v68, 0
	v_bcnt_u32_b32 v67, v69, v67
	s_waitcnt lgkmcnt(0)
	v_add_u32_e32 v67, v76, v67
	ds_write_b32 v77, v67
.LBB119_8:                              ;   in Loop: Header=BB119_4 Depth=2
	s_or_b64 exec, exec, s[22:23]
	v_lshlrev_b64 v[68:69], s30, v[6:7]
	v_lshrrev_b32_e32 v81, 28, v69
	v_mul_u32_u24_e32 v67, 5, v81
	v_add_lshl_u32 v67, v67, v71, 2
	; wave barrier
	v_add_u32_e32 v80, 16, v67
	ds_read_b32 v79, v67 offset:16
	v_bfe_u32 v67, v69, 28, 1
	v_add_co_u32_e64 v82, s[22:23], -1, v67
	v_addc_co_u32_e64 v83, s[22:23], 0, -1, s[22:23]
	v_cmp_ne_u32_e64 s[22:23], 0, v67
	v_xor_b32_e32 v67, s23, v83
	v_and_b32_e32 v83, exec_hi, v67
	v_lshlrev_b32_e32 v67, 30, v81
	v_xor_b32_e32 v82, s22, v82
	v_cmp_gt_i64_e64 s[22:23], 0, v[66:67]
	v_not_b32_e32 v67, v67
	v_ashrrev_i32_e32 v67, 31, v67
	v_and_b32_e32 v82, exec_lo, v82
	v_xor_b32_e32 v84, s23, v67
	v_xor_b32_e32 v67, s22, v67
	v_and_b32_e32 v82, v82, v67
	v_lshlrev_b32_e32 v67, 29, v81
	v_cmp_gt_i64_e64 s[22:23], 0, v[66:67]
	v_not_b32_e32 v67, v67
	v_ashrrev_i32_e32 v67, 31, v67
	v_xor_b32_e32 v81, s23, v67
	v_xor_b32_e32 v67, s22, v67
	v_cmp_gt_i64_e64 s[22:23], 0, v[68:69]
	v_not_b32_e32 v68, v69
	v_ashrrev_i32_e32 v68, 31, v68
	v_and_b32_e32 v83, v83, v84
	v_and_b32_e32 v67, v82, v67
	v_xor_b32_e32 v69, s23, v68
	v_xor_b32_e32 v68, s22, v68
	v_and_b32_e32 v81, v83, v81
	v_and_b32_e32 v68, v67, v68
	;; [unrolled: 1-line block ×3, first 2 shown]
	v_mbcnt_lo_u32_b32 v67, v68, 0
	v_mbcnt_hi_u32_b32 v81, v69, v67
	v_cmp_eq_u32_e64 s[22:23], 0, v81
	v_cmp_ne_u64_e64 s[24:25], 0, v[68:69]
	s_and_b64 s[24:25], s[24:25], s[22:23]
	; wave barrier
	s_and_saveexec_b64 s[22:23], s[24:25]
	s_cbranch_execz .LBB119_10
; %bb.9:                                ;   in Loop: Header=BB119_4 Depth=2
	v_bcnt_u32_b32 v67, v68, 0
	v_bcnt_u32_b32 v67, v69, v67
	s_waitcnt lgkmcnt(0)
	v_add_u32_e32 v67, v79, v67
	ds_write_b32 v80, v67
.LBB119_10:                             ;   in Loop: Header=BB119_4 Depth=2
	s_or_b64 exec, exec, s[22:23]
	v_lshlrev_b64 v[68:69], s30, v[8:9]
	v_lshrrev_b32_e32 v84, 28, v69
	v_mul_u32_u24_e32 v67, 5, v84
	v_add_lshl_u32 v67, v67, v71, 2
	; wave barrier
	v_add_u32_e32 v83, 16, v67
	ds_read_b32 v82, v67 offset:16
	v_bfe_u32 v67, v69, 28, 1
	v_add_co_u32_e64 v85, s[22:23], -1, v67
	v_addc_co_u32_e64 v86, s[22:23], 0, -1, s[22:23]
	v_cmp_ne_u32_e64 s[22:23], 0, v67
	v_xor_b32_e32 v67, s23, v86
	v_and_b32_e32 v86, exec_hi, v67
	v_lshlrev_b32_e32 v67, 30, v84
	v_xor_b32_e32 v85, s22, v85
	v_cmp_gt_i64_e64 s[22:23], 0, v[66:67]
	v_not_b32_e32 v67, v67
	v_ashrrev_i32_e32 v67, 31, v67
	v_and_b32_e32 v85, exec_lo, v85
	v_xor_b32_e32 v87, s23, v67
	v_xor_b32_e32 v67, s22, v67
	v_and_b32_e32 v85, v85, v67
	v_lshlrev_b32_e32 v67, 29, v84
	v_cmp_gt_i64_e64 s[22:23], 0, v[66:67]
	v_not_b32_e32 v67, v67
	v_ashrrev_i32_e32 v67, 31, v67
	v_xor_b32_e32 v84, s23, v67
	v_xor_b32_e32 v67, s22, v67
	v_cmp_gt_i64_e64 s[22:23], 0, v[68:69]
	v_not_b32_e32 v68, v69
	v_ashrrev_i32_e32 v68, 31, v68
	v_and_b32_e32 v86, v86, v87
	v_and_b32_e32 v67, v85, v67
	v_xor_b32_e32 v69, s23, v68
	v_xor_b32_e32 v68, s22, v68
	v_and_b32_e32 v84, v86, v84
	v_and_b32_e32 v68, v67, v68
	v_and_b32_e32 v69, v84, v69
	v_mbcnt_lo_u32_b32 v67, v68, 0
	v_mbcnt_hi_u32_b32 v84, v69, v67
	v_cmp_eq_u32_e64 s[22:23], 0, v84
	v_cmp_ne_u64_e64 s[24:25], 0, v[68:69]
	s_and_b64 s[24:25], s[24:25], s[22:23]
	; wave barrier
	s_and_saveexec_b64 s[22:23], s[24:25]
	s_cbranch_execz .LBB119_12
; %bb.11:                               ;   in Loop: Header=BB119_4 Depth=2
	v_bcnt_u32_b32 v67, v68, 0
	v_bcnt_u32_b32 v67, v69, v67
	s_waitcnt lgkmcnt(0)
	v_add_u32_e32 v67, v82, v67
	ds_write_b32 v83, v67
.LBB119_12:                             ;   in Loop: Header=BB119_4 Depth=2
	s_or_b64 exec, exec, s[22:23]
	v_lshlrev_b64 v[68:69], s30, v[10:11]
	v_lshrrev_b32_e32 v87, 28, v69
	v_mul_u32_u24_e32 v67, 5, v87
	v_add_lshl_u32 v67, v67, v71, 2
	; wave barrier
	v_add_u32_e32 v86, 16, v67
	ds_read_b32 v85, v67 offset:16
	v_bfe_u32 v67, v69, 28, 1
	v_add_co_u32_e64 v88, s[22:23], -1, v67
	v_addc_co_u32_e64 v89, s[22:23], 0, -1, s[22:23]
	v_cmp_ne_u32_e64 s[22:23], 0, v67
	v_xor_b32_e32 v67, s23, v89
	v_and_b32_e32 v89, exec_hi, v67
	v_lshlrev_b32_e32 v67, 30, v87
	v_xor_b32_e32 v88, s22, v88
	v_cmp_gt_i64_e64 s[22:23], 0, v[66:67]
	v_not_b32_e32 v67, v67
	v_ashrrev_i32_e32 v67, 31, v67
	v_and_b32_e32 v88, exec_lo, v88
	v_xor_b32_e32 v90, s23, v67
	v_xor_b32_e32 v67, s22, v67
	v_and_b32_e32 v88, v88, v67
	v_lshlrev_b32_e32 v67, 29, v87
	v_cmp_gt_i64_e64 s[22:23], 0, v[66:67]
	v_not_b32_e32 v67, v67
	v_ashrrev_i32_e32 v67, 31, v67
	v_xor_b32_e32 v87, s23, v67
	v_xor_b32_e32 v67, s22, v67
	v_cmp_gt_i64_e64 s[22:23], 0, v[68:69]
	v_not_b32_e32 v68, v69
	v_ashrrev_i32_e32 v68, 31, v68
	v_and_b32_e32 v89, v89, v90
	v_and_b32_e32 v67, v88, v67
	v_xor_b32_e32 v69, s23, v68
	v_xor_b32_e32 v68, s22, v68
	v_and_b32_e32 v87, v89, v87
	v_and_b32_e32 v68, v67, v68
	v_and_b32_e32 v69, v87, v69
	v_mbcnt_lo_u32_b32 v67, v68, 0
	v_mbcnt_hi_u32_b32 v87, v69, v67
	v_cmp_eq_u32_e64 s[22:23], 0, v87
	v_cmp_ne_u64_e64 s[24:25], 0, v[68:69]
	s_and_b64 s[24:25], s[24:25], s[22:23]
	; wave barrier
	s_and_saveexec_b64 s[22:23], s[24:25]
	s_cbranch_execz .LBB119_14
; %bb.13:                               ;   in Loop: Header=BB119_4 Depth=2
	v_bcnt_u32_b32 v67, v68, 0
	v_bcnt_u32_b32 v67, v69, v67
	s_waitcnt lgkmcnt(0)
	v_add_u32_e32 v67, v85, v67
	ds_write_b32 v86, v67
.LBB119_14:                             ;   in Loop: Header=BB119_4 Depth=2
	;; [unrolled: 54-line block ×29, first 2 shown]
	s_or_b64 exec, exec, s[22:23]
	; wave barrier
	s_waitcnt lgkmcnt(0)
	s_barrier
	ds_read_b32 v68, v1 offset:16
	s_waitcnt lgkmcnt(0)
	s_nop 0
	v_mov_b32_dpp v69, v68 row_shr:1 row_mask:0xf bank_mask:0xf
	v_cndmask_b32_e64 v69, v69, 0, s[6:7]
	v_add_u32_e32 v68, v69, v68
	s_nop 1
	v_mov_b32_dpp v69, v68 row_shr:2 row_mask:0xf bank_mask:0xf
	v_cndmask_b32_e64 v69, 0, v69, s[8:9]
	v_add_u32_e32 v68, v68, v69
	;; [unrolled: 4-line block ×4, first 2 shown]
	s_nop 1
	v_mov_b32_dpp v69, v68 row_bcast:15 row_mask:0xf bank_mask:0xf
	v_cndmask_b32_e64 v69, v69, 0, s[14:15]
	v_add_u32_e32 v68, v68, v69
	s_nop 1
	v_mov_b32_dpp v69, v68 row_bcast:31 row_mask:0xf bank_mask:0xf
	v_cndmask_b32_e32 v69, 0, v69, vcc
	v_add_u32_e32 v68, v68, v69
	s_and_saveexec_b64 s[22:23], s[16:17]
	s_xor_b64 s[22:23], exec, s[22:23]
	s_cbranch_execz .LBB119_70
; %bb.69:                               ;   in Loop: Header=BB119_4 Depth=2
	ds_write_b32 v74, v68
.LBB119_70:                             ;   in Loop: Header=BB119_4 Depth=2
	s_or_b64 exec, exec, s[22:23]
	s_waitcnt lgkmcnt(0)
	s_barrier
	s_and_saveexec_b64 s[22:23], s[0:1]
	s_cbranch_execz .LBB119_72
; %bb.71:                               ;   in Loop: Header=BB119_4 Depth=2
	ds_read_b32 v69, v1
	s_waitcnt lgkmcnt(0)
	s_nop 0
	v_mov_b32_dpp v168, v69 row_shr:1 row_mask:0xf bank_mask:0xf
	v_cndmask_b32_e64 v168, v168, 0, s[18:19]
	v_add_u32_e32 v69, v168, v69
	s_nop 1
	v_mov_b32_dpp v168, v69 row_shr:2 row_mask:0xf bank_mask:0xf
	v_cndmask_b32_e64 v168, 0, v168, s[20:21]
	v_add_u32_e32 v69, v69, v168
	ds_write_b32 v1, v69
.LBB119_72:                             ;   in Loop: Header=BB119_4 Depth=2
	s_or_b64 exec, exec, s[22:23]
	v_mov_b32_e32 v69, 0
	s_waitcnt lgkmcnt(0)
	s_barrier
	s_and_saveexec_b64 s[22:23], s[2:3]
	s_cbranch_execz .LBB119_3
; %bb.73:                               ;   in Loop: Header=BB119_4 Depth=2
	ds_read_b32 v69, v75
	s_branch .LBB119_3
.LBB119_74:
	ds_read_b32 v1, v77
	ds_read_b32 v6, v92
	;; [unrolled: 1-line block ×8, first 2 shown]
	s_lshl_b64 s[0:1], s[28:29], 2
	s_add_u32 s0, s26, s0
	s_waitcnt lgkmcnt(7)
	v_add3_u32 v3, v78, v76, v1
	s_waitcnt lgkmcnt(3)
	v_add3_u32 v5, v84, v82, v2
	;; [unrolled: 2-line block ×3, first 2 shown]
	s_waitcnt lgkmcnt(1)
	v_add_u32_e32 v2, v9, v72
	v_lshlrev_b32_e32 v9, 2, v0
	s_addc_u32 s1, s27, s1
	global_store_dwordx4 v9, v[2:5], s[0:1]
	v_add3_u32 v1, v91, v88, v7
	v_add3_u32 v0, v87, v85, v8
	ds_read_b32 v4, v119
	ds_read_b32 v5, v116
	;; [unrolled: 1-line block ×8, first 2 shown]
	s_waitcnt lgkmcnt(8)
	v_add3_u32 v3, v96, v94, v10
	v_add3_u32 v2, v93, v90, v6
	global_store_dwordx4 v9, v[0:3], s[0:1] offset:16
	s_waitcnt lgkmcnt(1)
	v_add3_u32 v1, v102, v100, v13
	s_waitcnt lgkmcnt(0)
	v_add3_u32 v0, v99, v97, v14
	v_add3_u32 v3, v108, v106, v11
	ds_read_b32 v6, v167
	ds_read_b32 v10, v165
	;; [unrolled: 1-line block ×16, first 2 shown]
	v_add3_u32 v2, v105, v103, v12
	global_store_dwordx4 v9, v[0:3], s[0:1] offset:32
	s_nop 0
	v_add3_u32 v1, v114, v112, v7
	v_add3_u32 v0, v111, v109, v8
	;; [unrolled: 1-line block ×4, first 2 shown]
	global_store_dwordx4 v9, v[0:3], s[0:1] offset:48
	s_waitcnt lgkmcnt(1)
	v_add3_u32 v1, v126, v124, v24
	s_waitcnt lgkmcnt(0)
	v_add3_u32 v0, v123, v121, v25
	v_add3_u32 v3, v132, v130, v22
	v_add3_u32 v2, v129, v127, v23
	global_store_dwordx4 v9, v[0:3], s[0:1] offset:64
	s_nop 0
	v_add3_u32 v1, v138, v136, v20
	v_add3_u32 v0, v135, v133, v21
	v_add3_u32 v3, v144, v142, v18
	v_add3_u32 v2, v141, v139, v19
	global_store_dwordx4 v9, v[0:3], s[0:1] offset:80
	s_nop 0
	v_add3_u32 v1, v150, v148, v16
	;; [unrolled: 6-line block ×3, first 2 shown]
	v_add3_u32 v0, v158, v157, v13
	v_add3_u32 v3, v67, v166, v6
	;; [unrolled: 1-line block ×3, first 2 shown]
	global_store_dwordx4 v9, v[0:3], s[0:1] offset:112
	s_endpgm
	.section	.rodata,"a",@progbits
	.p2align	6, 0x0
	.amdhsa_kernel _Z11rank_kernelIxLj4ELb0EL18RadixRankAlgorithm2ELj256ELj32ELj10EEvPKT_Pi
		.amdhsa_group_segment_fixed_size 1040
		.amdhsa_private_segment_fixed_size 0
		.amdhsa_kernarg_size 272
		.amdhsa_user_sgpr_count 6
		.amdhsa_user_sgpr_private_segment_buffer 1
		.amdhsa_user_sgpr_dispatch_ptr 0
		.amdhsa_user_sgpr_queue_ptr 0
		.amdhsa_user_sgpr_kernarg_segment_ptr 1
		.amdhsa_user_sgpr_dispatch_id 0
		.amdhsa_user_sgpr_flat_scratch_init 0
		.amdhsa_user_sgpr_kernarg_preload_length 0
		.amdhsa_user_sgpr_kernarg_preload_offset 0
		.amdhsa_user_sgpr_private_segment_size 0
		.amdhsa_uses_dynamic_stack 0
		.amdhsa_system_sgpr_private_segment_wavefront_offset 0
		.amdhsa_system_sgpr_workgroup_id_x 1
		.amdhsa_system_sgpr_workgroup_id_y 0
		.amdhsa_system_sgpr_workgroup_id_z 0
		.amdhsa_system_sgpr_workgroup_info 0
		.amdhsa_system_vgpr_workitem_id 2
		.amdhsa_next_free_vgpr 172
		.amdhsa_next_free_sgpr 35
		.amdhsa_accum_offset 172
		.amdhsa_reserve_vcc 1
		.amdhsa_reserve_flat_scratch 0
		.amdhsa_float_round_mode_32 0
		.amdhsa_float_round_mode_16_64 0
		.amdhsa_float_denorm_mode_32 3
		.amdhsa_float_denorm_mode_16_64 3
		.amdhsa_dx10_clamp 1
		.amdhsa_ieee_mode 1
		.amdhsa_fp16_overflow 0
		.amdhsa_tg_split 0
		.amdhsa_exception_fp_ieee_invalid_op 0
		.amdhsa_exception_fp_denorm_src 0
		.amdhsa_exception_fp_ieee_div_zero 0
		.amdhsa_exception_fp_ieee_overflow 0
		.amdhsa_exception_fp_ieee_underflow 0
		.amdhsa_exception_fp_ieee_inexact 0
		.amdhsa_exception_int_div_zero 0
	.end_amdhsa_kernel
	.section	.text._Z11rank_kernelIxLj4ELb0EL18RadixRankAlgorithm2ELj256ELj32ELj10EEvPKT_Pi,"axG",@progbits,_Z11rank_kernelIxLj4ELb0EL18RadixRankAlgorithm2ELj256ELj32ELj10EEvPKT_Pi,comdat
.Lfunc_end119:
	.size	_Z11rank_kernelIxLj4ELb0EL18RadixRankAlgorithm2ELj256ELj32ELj10EEvPKT_Pi, .Lfunc_end119-_Z11rank_kernelIxLj4ELb0EL18RadixRankAlgorithm2ELj256ELj32ELj10EEvPKT_Pi
                                        ; -- End function
	.section	.AMDGPU.csdata,"",@progbits
; Kernel info:
; codeLenInByte = 10352
; NumSgprs: 39
; NumVgprs: 172
; NumAgprs: 0
; TotalNumVgprs: 172
; ScratchSize: 0
; MemoryBound: 0
; FloatMode: 240
; IeeeMode: 1
; LDSByteSize: 1040 bytes/workgroup (compile time only)
; SGPRBlocks: 4
; VGPRBlocks: 21
; NumSGPRsForWavesPerEU: 39
; NumVGPRsForWavesPerEU: 172
; AccumOffset: 172
; Occupancy: 2
; WaveLimiterHint : 0
; COMPUTE_PGM_RSRC2:SCRATCH_EN: 0
; COMPUTE_PGM_RSRC2:USER_SGPR: 6
; COMPUTE_PGM_RSRC2:TRAP_HANDLER: 0
; COMPUTE_PGM_RSRC2:TGID_X_EN: 1
; COMPUTE_PGM_RSRC2:TGID_Y_EN: 0
; COMPUTE_PGM_RSRC2:TGID_Z_EN: 0
; COMPUTE_PGM_RSRC2:TIDIG_COMP_CNT: 2
; COMPUTE_PGM_RSRC3_GFX90A:ACCUM_OFFSET: 42
; COMPUTE_PGM_RSRC3_GFX90A:TG_SPLIT: 0
	.section	.text._Z11rank_kernelIxLj4ELb0EL18RadixRankAlgorithm0ELj512ELj1ELj10EEvPKT_Pi,"axG",@progbits,_Z11rank_kernelIxLj4ELb0EL18RadixRankAlgorithm0ELj512ELj1ELj10EEvPKT_Pi,comdat
	.protected	_Z11rank_kernelIxLj4ELb0EL18RadixRankAlgorithm0ELj512ELj1ELj10EEvPKT_Pi ; -- Begin function _Z11rank_kernelIxLj4ELb0EL18RadixRankAlgorithm0ELj512ELj1ELj10EEvPKT_Pi
	.globl	_Z11rank_kernelIxLj4ELb0EL18RadixRankAlgorithm0ELj512ELj1ELj10EEvPKT_Pi
	.p2align	8
	.type	_Z11rank_kernelIxLj4ELb0EL18RadixRankAlgorithm0ELj512ELj1ELj10EEvPKT_Pi,@function
_Z11rank_kernelIxLj4ELb0EL18RadixRankAlgorithm0ELj512ELj1ELj10EEvPKT_Pi: ; @_Z11rank_kernelIxLj4ELb0EL18RadixRankAlgorithm0ELj512ELj1ELj10EEvPKT_Pi
; %bb.0:
	s_load_dwordx4 s[24:27], s[4:5], 0x0
	s_lshl_b32 s28, s6, 9
	s_mov_b32 s29, 0
	s_lshl_b64 s[0:1], s[28:29], 3
	v_lshlrev_b32_e32 v1, 3, v0
	s_waitcnt lgkmcnt(0)
	s_add_u32 s0, s24, s0
	s_addc_u32 s1, s25, s1
	global_load_dwordx2 v[2:3], v1, s[0:1]
	v_mbcnt_lo_u32_b32 v5, -1, 0
	v_mbcnt_hi_u32_b32 v14, -1, v5
	v_add_u32_e32 v17, -1, v14
	v_and_b32_e32 v18, 64, v14
	v_cmp_lt_i32_e64 s[18:19], v17, v18
	v_or_b32_e32 v6, 63, v0
	v_lshrrev_b32_e32 v7, 4, v0
	v_lshlrev_b32_e32 v5, 2, v0
	v_and_b32_e32 v15, 15, v14
	v_and_b32_e32 v16, 16, v14
	v_cmp_lt_u32_e64 s[2:3], 31, v14
	v_cmp_eq_u32_e64 s[6:7], 0, v14
	v_and_b32_e32 v19, 7, v14
	v_cndmask_b32_e64 v14, v17, v14, s[18:19]
	v_mov_b32_e32 v1, 0
	s_mov_b64 s[24:25], -1
	s_movk_i32 s33, 0xe00
	v_lshlrev_b32_e32 v4, 5, v0
	v_cmp_gt_u32_e32 vcc, 8, v0
	v_cmp_lt_u32_e64 s[0:1], 63, v0
	v_cmp_eq_u32_e64 s[4:5], v6, v0
	v_and_b32_e32 v6, 28, v7
	v_or_b32_e32 v7, 0x800, v5
	v_or_b32_e32 v8, 0x1000, v5
	;; [unrolled: 1-line block ×7, first 2 shown]
	v_cmp_eq_u32_e64 s[8:9], 0, v15
	v_cmp_lt_u32_e64 s[10:11], 1, v15
	v_cmp_lt_u32_e64 s[12:13], 3, v15
	;; [unrolled: 1-line block ×3, first 2 shown]
	v_cmp_eq_u32_e64 s[16:17], 0, v16
	v_cmp_eq_u32_e64 s[18:19], 0, v19
	v_cmp_lt_u32_e64 s[20:21], 1, v19
	v_cmp_lt_u32_e64 s[22:23], 3, v19
	v_lshlrev_b32_e32 v14, 2, v14
	s_mov_b32 s36, s29
	s_waitcnt vmcnt(0)
	v_xor_b32_e32 v3, 0x80000000, v3
	s_branch .LBB120_2
.LBB120_1:                              ;   in Loop: Header=BB120_2 Depth=1
	s_add_i32 s36, s36, 1
	s_cmp_eq_u32 s36, 10
	s_cbranch_scc1 .LBB120_18
.LBB120_2:                              ; =>This Loop Header: Depth=1
                                        ;     Child Loop BB120_4 Depth 2
	s_mov_b32 s37, -4
	s_mov_b64 s[30:31], 60
	s_branch .LBB120_4
.LBB120_3:                              ;   in Loop: Header=BB120_4 Depth=2
	s_or_b64 exec, exec, s[34:35]
	s_waitcnt lgkmcnt(0)
	v_add_u32_e32 v17, v18, v17
	ds_bpermute_b32 v17, v14, v17
	ds_read_b32 v20, v1 offset:16412
	s_add_i32 s37, s37, 4
	s_add_u32 s30, s30, -4
	s_addc_u32 s31, s31, -1
	s_waitcnt lgkmcnt(1)
	v_cndmask_b32_e64 v17, v17, v18, s[6:7]
	ds_read2_b32 v[18:19], v4 offset1:1
	s_waitcnt lgkmcnt(1)
	v_lshl_add_u32 v17, v20, 16, v17
	ds_read2_b32 v[20:21], v4 offset0:2 offset1:3
	ds_read2_b32 v[22:23], v4 offset0:4 offset1:5
	ds_read_b32 v24, v4 offset:24
	s_cmp_lt_u32 s37, 60
	s_waitcnt lgkmcnt(3)
	v_add_u32_e32 v18, v17, v18
	ds_write2_b32 v4, v17, v18 offset1:1
	v_add_u32_e32 v17, v19, v18
	s_waitcnt lgkmcnt(3)
	v_add_u32_e32 v18, v20, v17
	ds_write2_b32 v4, v17, v18 offset0:2 offset1:3
	v_add_u32_e32 v17, v21, v18
	s_waitcnt lgkmcnt(3)
	v_add_u32_e32 v18, v22, v17
	ds_write2_b32 v4, v17, v18 offset0:4 offset1:5
	;; [unrolled: 4-line block ×3, first 2 shown]
	s_waitcnt lgkmcnt(0)
	s_barrier
	s_cbranch_scc0 .LBB120_1
.LBB120_4:                              ;   Parent Loop BB120_2 Depth=1
                                        ; =>  This Inner Loop Header: Depth=2
	ds_write_b32 v5, v1
	ds_write_b32 v7, v1
	;; [unrolled: 1-line block ×4, first 2 shown]
	s_and_saveexec_b64 s[34:35], s[24:25]
	s_cbranch_execnz .LBB120_15
; %bb.5:                                ;   in Loop: Header=BB120_4 Depth=2
	s_or_b64 exec, exec, s[34:35]
	s_and_saveexec_b64 s[34:35], s[24:25]
	s_cbranch_execnz .LBB120_16
.LBB120_6:                              ;   in Loop: Header=BB120_4 Depth=2
	s_or_b64 exec, exec, s[34:35]
	s_and_saveexec_b64 s[34:35], s[24:25]
	s_cbranch_execnz .LBB120_17
.LBB120_7:                              ;   in Loop: Header=BB120_4 Depth=2
	s_or_b64 exec, exec, s[34:35]
	s_and_saveexec_b64 s[34:35], s[24:25]
	s_cbranch_execz .LBB120_9
.LBB120_8:                              ;   in Loop: Header=BB120_4 Depth=2
	ds_write_b32 v13, v1
.LBB120_9:                              ;   in Loop: Header=BB120_4 Depth=2
	s_or_b64 exec, exec, s[34:35]
	v_lshlrev_b64 v[16:17], s30, v[2:3]
	v_lshrrev_b32_e32 v15, 19, v17
	v_lshrrev_b32_e32 v16, 30, v17
	v_and_or_b32 v15, v15, s33, v0
	v_and_b32_e32 v16, 2, v16
	v_lshl_or_b32 v16, v15, 2, v16
	ds_read_u16 v15, v16
	s_waitcnt lgkmcnt(0)
	v_add_u16_e32 v17, 1, v15
	ds_write_b16 v16, v17
	s_waitcnt lgkmcnt(0)
	s_barrier
	ds_read2_b32 v[18:19], v4 offset1:1
	ds_read2_b32 v[20:21], v4 offset0:2 offset1:3
	ds_read2_b32 v[22:23], v4 offset0:4 offset1:5
	;; [unrolled: 1-line block ×3, first 2 shown]
	s_waitcnt lgkmcnt(3)
	v_add_u32_e32 v17, v19, v18
	s_waitcnt lgkmcnt(2)
	v_add3_u32 v17, v17, v20, v21
	s_waitcnt lgkmcnt(1)
	v_add3_u32 v17, v17, v22, v23
	;; [unrolled: 2-line block ×3, first 2 shown]
	s_nop 1
	v_mov_b32_dpp v18, v17 row_shr:1 row_mask:0xf bank_mask:0xf
	v_cndmask_b32_e64 v18, v18, 0, s[8:9]
	v_add_u32_e32 v17, v18, v17
	s_nop 1
	v_mov_b32_dpp v18, v17 row_shr:2 row_mask:0xf bank_mask:0xf
	v_cndmask_b32_e64 v18, 0, v18, s[10:11]
	v_add_u32_e32 v17, v17, v18
	;; [unrolled: 4-line block ×4, first 2 shown]
	s_nop 1
	v_mov_b32_dpp v18, v17 row_bcast:15 row_mask:0xf bank_mask:0xf
	v_cndmask_b32_e64 v18, v18, 0, s[16:17]
	v_add_u32_e32 v17, v17, v18
	s_nop 1
	v_mov_b32_dpp v18, v17 row_bcast:31 row_mask:0xf bank_mask:0xf
	v_cndmask_b32_e64 v18, 0, v18, s[2:3]
	v_add_u32_e32 v17, v17, v18
	s_and_saveexec_b64 s[34:35], s[4:5]
	s_cbranch_execz .LBB120_11
; %bb.10:                               ;   in Loop: Header=BB120_4 Depth=2
	ds_write_b32 v6, v17 offset:16384
.LBB120_11:                             ;   in Loop: Header=BB120_4 Depth=2
	s_or_b64 exec, exec, s[34:35]
	s_waitcnt lgkmcnt(0)
	s_barrier
	s_and_saveexec_b64 s[34:35], vcc
	s_cbranch_execz .LBB120_13
; %bb.12:                               ;   in Loop: Header=BB120_4 Depth=2
	ds_read_b32 v18, v5 offset:16384
	s_waitcnt lgkmcnt(0)
	s_nop 0
	v_mov_b32_dpp v19, v18 row_shr:1 row_mask:0xf bank_mask:0xf
	v_cndmask_b32_e64 v19, v19, 0, s[18:19]
	v_add_u32_e32 v18, v19, v18
	s_nop 1
	v_mov_b32_dpp v19, v18 row_shr:2 row_mask:0xf bank_mask:0xf
	v_cndmask_b32_e64 v19, 0, v19, s[20:21]
	v_add_u32_e32 v18, v18, v19
	;; [unrolled: 4-line block ×3, first 2 shown]
	ds_write_b32 v5, v18 offset:16384
.LBB120_13:                             ;   in Loop: Header=BB120_4 Depth=2
	s_or_b64 exec, exec, s[34:35]
	v_mov_b32_e32 v18, 0
	s_waitcnt lgkmcnt(0)
	s_barrier
	s_and_saveexec_b64 s[34:35], s[0:1]
	s_cbranch_execz .LBB120_3
; %bb.14:                               ;   in Loop: Header=BB120_4 Depth=2
	ds_read_b32 v18, v6 offset:16380
	s_branch .LBB120_3
.LBB120_15:                             ;   in Loop: Header=BB120_4 Depth=2
	ds_write_b32 v10, v1
	s_or_b64 exec, exec, s[34:35]
	s_and_saveexec_b64 s[34:35], s[24:25]
	s_cbranch_execz .LBB120_6
.LBB120_16:                             ;   in Loop: Header=BB120_4 Depth=2
	ds_write_b32 v11, v1
	s_or_b64 exec, exec, s[34:35]
	s_and_saveexec_b64 s[34:35], s[24:25]
	s_cbranch_execz .LBB120_7
.LBB120_17:                             ;   in Loop: Header=BB120_4 Depth=2
	ds_write_b32 v12, v1
	s_or_b64 exec, exec, s[34:35]
	s_and_saveexec_b64 s[34:35], s[24:25]
	s_cbranch_execnz .LBB120_8
	s_branch .LBB120_9
.LBB120_18:
	ds_read_u16 v1, v16
	s_lshl_b64 s[0:1], s[28:29], 2
	s_add_u32 s0, s26, s0
	s_addc_u32 s1, s27, s1
	v_lshlrev_b32_e32 v0, 2, v0
	s_waitcnt lgkmcnt(0)
	v_add_u32_sdwa v1, v1, v15 dst_sel:DWORD dst_unused:UNUSED_PAD src0_sel:DWORD src1_sel:WORD_0
	global_store_dword v0, v1, s[0:1]
	s_endpgm
	.section	.rodata,"a",@progbits
	.p2align	6, 0x0
	.amdhsa_kernel _Z11rank_kernelIxLj4ELb0EL18RadixRankAlgorithm0ELj512ELj1ELj10EEvPKT_Pi
		.amdhsa_group_segment_fixed_size 16416
		.amdhsa_private_segment_fixed_size 0
		.amdhsa_kernarg_size 16
		.amdhsa_user_sgpr_count 6
		.amdhsa_user_sgpr_private_segment_buffer 1
		.amdhsa_user_sgpr_dispatch_ptr 0
		.amdhsa_user_sgpr_queue_ptr 0
		.amdhsa_user_sgpr_kernarg_segment_ptr 1
		.amdhsa_user_sgpr_dispatch_id 0
		.amdhsa_user_sgpr_flat_scratch_init 0
		.amdhsa_user_sgpr_kernarg_preload_length 0
		.amdhsa_user_sgpr_kernarg_preload_offset 0
		.amdhsa_user_sgpr_private_segment_size 0
		.amdhsa_uses_dynamic_stack 0
		.amdhsa_system_sgpr_private_segment_wavefront_offset 0
		.amdhsa_system_sgpr_workgroup_id_x 1
		.amdhsa_system_sgpr_workgroup_id_y 0
		.amdhsa_system_sgpr_workgroup_id_z 0
		.amdhsa_system_sgpr_workgroup_info 0
		.amdhsa_system_vgpr_workitem_id 0
		.amdhsa_next_free_vgpr 26
		.amdhsa_next_free_sgpr 38
		.amdhsa_accum_offset 28
		.amdhsa_reserve_vcc 1
		.amdhsa_reserve_flat_scratch 0
		.amdhsa_float_round_mode_32 0
		.amdhsa_float_round_mode_16_64 0
		.amdhsa_float_denorm_mode_32 3
		.amdhsa_float_denorm_mode_16_64 3
		.amdhsa_dx10_clamp 1
		.amdhsa_ieee_mode 1
		.amdhsa_fp16_overflow 0
		.amdhsa_tg_split 0
		.amdhsa_exception_fp_ieee_invalid_op 0
		.amdhsa_exception_fp_denorm_src 0
		.amdhsa_exception_fp_ieee_div_zero 0
		.amdhsa_exception_fp_ieee_overflow 0
		.amdhsa_exception_fp_ieee_underflow 0
		.amdhsa_exception_fp_ieee_inexact 0
		.amdhsa_exception_int_div_zero 0
	.end_amdhsa_kernel
	.section	.text._Z11rank_kernelIxLj4ELb0EL18RadixRankAlgorithm0ELj512ELj1ELj10EEvPKT_Pi,"axG",@progbits,_Z11rank_kernelIxLj4ELb0EL18RadixRankAlgorithm0ELj512ELj1ELj10EEvPKT_Pi,comdat
.Lfunc_end120:
	.size	_Z11rank_kernelIxLj4ELb0EL18RadixRankAlgorithm0ELj512ELj1ELj10EEvPKT_Pi, .Lfunc_end120-_Z11rank_kernelIxLj4ELb0EL18RadixRankAlgorithm0ELj512ELj1ELj10EEvPKT_Pi
                                        ; -- End function
	.section	.AMDGPU.csdata,"",@progbits
; Kernel info:
; codeLenInByte = 1172
; NumSgprs: 42
; NumVgprs: 26
; NumAgprs: 0
; TotalNumVgprs: 26
; ScratchSize: 0
; MemoryBound: 0
; FloatMode: 240
; IeeeMode: 1
; LDSByteSize: 16416 bytes/workgroup (compile time only)
; SGPRBlocks: 5
; VGPRBlocks: 3
; NumSGPRsForWavesPerEU: 42
; NumVGPRsForWavesPerEU: 26
; AccumOffset: 28
; Occupancy: 6
; WaveLimiterHint : 0
; COMPUTE_PGM_RSRC2:SCRATCH_EN: 0
; COMPUTE_PGM_RSRC2:USER_SGPR: 6
; COMPUTE_PGM_RSRC2:TRAP_HANDLER: 0
; COMPUTE_PGM_RSRC2:TGID_X_EN: 1
; COMPUTE_PGM_RSRC2:TGID_Y_EN: 0
; COMPUTE_PGM_RSRC2:TGID_Z_EN: 0
; COMPUTE_PGM_RSRC2:TIDIG_COMP_CNT: 0
; COMPUTE_PGM_RSRC3_GFX90A:ACCUM_OFFSET: 6
; COMPUTE_PGM_RSRC3_GFX90A:TG_SPLIT: 0
	.section	.text._Z11rank_kernelIxLj4ELb0EL18RadixRankAlgorithm1ELj512ELj1ELj10EEvPKT_Pi,"axG",@progbits,_Z11rank_kernelIxLj4ELb0EL18RadixRankAlgorithm1ELj512ELj1ELj10EEvPKT_Pi,comdat
	.protected	_Z11rank_kernelIxLj4ELb0EL18RadixRankAlgorithm1ELj512ELj1ELj10EEvPKT_Pi ; -- Begin function _Z11rank_kernelIxLj4ELb0EL18RadixRankAlgorithm1ELj512ELj1ELj10EEvPKT_Pi
	.globl	_Z11rank_kernelIxLj4ELb0EL18RadixRankAlgorithm1ELj512ELj1ELj10EEvPKT_Pi
	.p2align	8
	.type	_Z11rank_kernelIxLj4ELb0EL18RadixRankAlgorithm1ELj512ELj1ELj10EEvPKT_Pi,@function
_Z11rank_kernelIxLj4ELb0EL18RadixRankAlgorithm1ELj512ELj1ELj10EEvPKT_Pi: ; @_Z11rank_kernelIxLj4ELb0EL18RadixRankAlgorithm1ELj512ELj1ELj10EEvPKT_Pi
; %bb.0:
	s_load_dwordx4 s[24:27], s[4:5], 0x0
	s_lshl_b32 s28, s6, 9
	s_mov_b32 s29, 0
	s_lshl_b64 s[0:1], s[28:29], 3
	v_lshlrev_b32_e32 v1, 3, v0
	s_waitcnt lgkmcnt(0)
	s_add_u32 s0, s24, s0
	s_addc_u32 s1, s25, s1
	global_load_dwordx2 v[2:3], v1, s[0:1]
	v_mbcnt_lo_u32_b32 v4, -1, 0
	v_mbcnt_hi_u32_b32 v4, -1, v4
	v_or_b32_e32 v5, 63, v0
	v_cmp_eq_u32_e64 s[4:5], v5, v0
	v_add_u32_e32 v5, -1, v4
	v_and_b32_e32 v9, 64, v4
	v_lshrrev_b32_e32 v6, 4, v0
	v_cmp_lt_i32_e64 s[18:19], v5, v9
	v_lshlrev_b32_e32 v13, 2, v0
	v_and_b32_e32 v7, 15, v4
	v_and_b32_e32 v8, 16, v4
	v_cmp_lt_u32_e64 s[2:3], 31, v4
	v_cmp_eq_u32_e64 s[6:7], 0, v4
	v_and_b32_e32 v14, 28, v6
	v_and_b32_e32 v6, 7, v4
	v_cndmask_b32_e64 v4, v5, v4, s[18:19]
	v_mov_b32_e32 v1, 0
	s_mov_b64 s[24:25], -1
	s_movk_i32 s33, 0xe00
	v_lshlrev_b32_e32 v12, 5, v0
	v_cmp_gt_u32_e32 vcc, 8, v0
	v_cmp_lt_u32_e64 s[0:1], 63, v0
	v_or_b32_e32 v15, 0x800, v13
	v_or_b32_e32 v16, 0x1000, v13
	;; [unrolled: 1-line block ×7, first 2 shown]
	v_cmp_eq_u32_e64 s[8:9], 0, v7
	v_cmp_lt_u32_e64 s[10:11], 1, v7
	v_cmp_lt_u32_e64 s[12:13], 3, v7
	;; [unrolled: 1-line block ×3, first 2 shown]
	v_cmp_eq_u32_e64 s[16:17], 0, v8
	v_cmp_eq_u32_e64 s[18:19], 0, v6
	v_cmp_lt_u32_e64 s[20:21], 1, v6
	v_cmp_lt_u32_e64 s[22:23], 3, v6
	v_lshlrev_b32_e32 v22, 2, v4
	s_mov_b32 s36, s29
	s_waitcnt vmcnt(0)
	v_xor_b32_e32 v3, 0x80000000, v3
	s_branch .LBB121_2
.LBB121_1:                              ;   in Loop: Header=BB121_2 Depth=1
	s_add_i32 s36, s36, 1
	s_cmp_eq_u32 s36, 10
	s_cbranch_scc1 .LBB121_18
.LBB121_2:                              ; =>This Loop Header: Depth=1
                                        ;     Child Loop BB121_4 Depth 2
	s_mov_b32 s37, -4
	s_mov_b64 s[30:31], 60
	s_branch .LBB121_4
.LBB121_3:                              ;   in Loop: Header=BB121_4 Depth=2
	s_or_b64 exec, exec, s[34:35]
	s_waitcnt lgkmcnt(0)
	v_add_u32_e32 v5, v25, v5
	ds_bpermute_b32 v5, v22, v5
	ds_read_b32 v26, v1 offset:16412
	s_add_i32 s37, s37, 4
	s_add_u32 s30, s30, -4
	s_addc_u32 s31, s31, -1
	s_waitcnt lgkmcnt(1)
	v_cndmask_b32_e64 v5, v5, v25, s[6:7]
	s_waitcnt lgkmcnt(0)
	v_lshl_add_u32 v5, v26, 16, v5
	v_add_u32_e32 v10, v5, v10
	v_add_u32_e32 v11, v10, v11
	ds_write2_b32 v12, v5, v10 offset1:1
	v_add_u32_e32 v5, v11, v8
	v_add_u32_e32 v8, v5, v9
	ds_write2_b32 v12, v11, v5 offset0:2 offset1:3
	v_add_u32_e32 v5, v8, v6
	v_add_u32_e32 v6, v5, v7
	;; [unrolled: 1-line block ×3, first 2 shown]
	s_cmp_lt_u32 s37, 60
	ds_write2_b32 v12, v8, v5 offset0:4 offset1:5
	ds_write2_b32 v12, v6, v4 offset0:6 offset1:7
	s_waitcnt lgkmcnt(0)
	s_barrier
	s_cbranch_scc0 .LBB121_1
.LBB121_4:                              ;   Parent Loop BB121_2 Depth=1
                                        ; =>  This Inner Loop Header: Depth=2
	ds_write_b32 v13, v1
	ds_write_b32 v15, v1
	;; [unrolled: 1-line block ×4, first 2 shown]
	s_and_saveexec_b64 s[34:35], s[24:25]
	s_cbranch_execnz .LBB121_15
; %bb.5:                                ;   in Loop: Header=BB121_4 Depth=2
	s_or_b64 exec, exec, s[34:35]
	s_and_saveexec_b64 s[34:35], s[24:25]
	s_cbranch_execnz .LBB121_16
.LBB121_6:                              ;   in Loop: Header=BB121_4 Depth=2
	s_or_b64 exec, exec, s[34:35]
	s_and_saveexec_b64 s[34:35], s[24:25]
	s_cbranch_execnz .LBB121_17
.LBB121_7:                              ;   in Loop: Header=BB121_4 Depth=2
	s_or_b64 exec, exec, s[34:35]
	s_and_saveexec_b64 s[34:35], s[24:25]
	s_cbranch_execz .LBB121_9
.LBB121_8:                              ;   in Loop: Header=BB121_4 Depth=2
	ds_write_b32 v21, v1
.LBB121_9:                              ;   in Loop: Header=BB121_4 Depth=2
	s_or_b64 exec, exec, s[34:35]
	v_lshlrev_b64 v[4:5], s30, v[2:3]
	v_lshrrev_b32_e32 v4, 19, v5
	v_lshrrev_b32_e32 v5, 30, v5
	v_and_or_b32 v4, v4, s33, v0
	v_and_b32_e32 v5, 2, v5
	v_lshl_or_b32 v24, v4, 2, v5
	ds_read_u16 v23, v24
	s_waitcnt lgkmcnt(0)
	v_add_u16_e32 v4, 1, v23
	ds_write_b16 v24, v4
	s_waitcnt lgkmcnt(0)
	s_barrier
	ds_read2_b32 v[10:11], v12 offset1:1
	ds_read2_b32 v[8:9], v12 offset0:2 offset1:3
	ds_read2_b32 v[6:7], v12 offset0:4 offset1:5
	;; [unrolled: 1-line block ×3, first 2 shown]
	s_waitcnt lgkmcnt(3)
	v_add_u32_e32 v25, v11, v10
	s_waitcnt lgkmcnt(2)
	v_add3_u32 v25, v25, v8, v9
	s_waitcnt lgkmcnt(1)
	v_add3_u32 v25, v25, v6, v7
	s_waitcnt lgkmcnt(0)
	v_add3_u32 v5, v25, v4, v5
	s_nop 1
	v_mov_b32_dpp v25, v5 row_shr:1 row_mask:0xf bank_mask:0xf
	v_cndmask_b32_e64 v25, v25, 0, s[8:9]
	v_add_u32_e32 v5, v25, v5
	s_nop 1
	v_mov_b32_dpp v25, v5 row_shr:2 row_mask:0xf bank_mask:0xf
	v_cndmask_b32_e64 v25, 0, v25, s[10:11]
	v_add_u32_e32 v5, v5, v25
	;; [unrolled: 4-line block ×4, first 2 shown]
	s_nop 1
	v_mov_b32_dpp v25, v5 row_bcast:15 row_mask:0xf bank_mask:0xf
	v_cndmask_b32_e64 v25, v25, 0, s[16:17]
	v_add_u32_e32 v5, v5, v25
	s_nop 1
	v_mov_b32_dpp v25, v5 row_bcast:31 row_mask:0xf bank_mask:0xf
	v_cndmask_b32_e64 v25, 0, v25, s[2:3]
	v_add_u32_e32 v5, v5, v25
	s_and_saveexec_b64 s[34:35], s[4:5]
	s_cbranch_execz .LBB121_11
; %bb.10:                               ;   in Loop: Header=BB121_4 Depth=2
	ds_write_b32 v14, v5 offset:16384
.LBB121_11:                             ;   in Loop: Header=BB121_4 Depth=2
	s_or_b64 exec, exec, s[34:35]
	s_waitcnt lgkmcnt(0)
	s_barrier
	s_and_saveexec_b64 s[34:35], vcc
	s_cbranch_execz .LBB121_13
; %bb.12:                               ;   in Loop: Header=BB121_4 Depth=2
	ds_read_b32 v25, v13 offset:16384
	s_waitcnt lgkmcnt(0)
	s_nop 0
	v_mov_b32_dpp v26, v25 row_shr:1 row_mask:0xf bank_mask:0xf
	v_cndmask_b32_e64 v26, v26, 0, s[18:19]
	v_add_u32_e32 v25, v26, v25
	s_nop 1
	v_mov_b32_dpp v26, v25 row_shr:2 row_mask:0xf bank_mask:0xf
	v_cndmask_b32_e64 v26, 0, v26, s[20:21]
	v_add_u32_e32 v25, v25, v26
	;; [unrolled: 4-line block ×3, first 2 shown]
	ds_write_b32 v13, v25 offset:16384
.LBB121_13:                             ;   in Loop: Header=BB121_4 Depth=2
	s_or_b64 exec, exec, s[34:35]
	v_mov_b32_e32 v25, 0
	s_waitcnt lgkmcnt(0)
	s_barrier
	s_and_saveexec_b64 s[34:35], s[0:1]
	s_cbranch_execz .LBB121_3
; %bb.14:                               ;   in Loop: Header=BB121_4 Depth=2
	ds_read_b32 v25, v14 offset:16380
	s_branch .LBB121_3
.LBB121_15:                             ;   in Loop: Header=BB121_4 Depth=2
	ds_write_b32 v18, v1
	s_or_b64 exec, exec, s[34:35]
	s_and_saveexec_b64 s[34:35], s[24:25]
	s_cbranch_execz .LBB121_6
.LBB121_16:                             ;   in Loop: Header=BB121_4 Depth=2
	ds_write_b32 v19, v1
	s_or_b64 exec, exec, s[34:35]
	s_and_saveexec_b64 s[34:35], s[24:25]
	s_cbranch_execz .LBB121_7
.LBB121_17:                             ;   in Loop: Header=BB121_4 Depth=2
	ds_write_b32 v20, v1
	s_or_b64 exec, exec, s[34:35]
	s_and_saveexec_b64 s[34:35], s[24:25]
	s_cbranch_execnz .LBB121_8
	s_branch .LBB121_9
.LBB121_18:
	ds_read_u16 v1, v24
	s_lshl_b64 s[0:1], s[28:29], 2
	s_add_u32 s0, s26, s0
	s_addc_u32 s1, s27, s1
	v_lshlrev_b32_e32 v0, 2, v0
	s_waitcnt lgkmcnt(0)
	v_add_u32_sdwa v1, v1, v23 dst_sel:DWORD dst_unused:UNUSED_PAD src0_sel:DWORD src1_sel:WORD_0
	global_store_dword v0, v1, s[0:1]
	s_endpgm
	.section	.rodata,"a",@progbits
	.p2align	6, 0x0
	.amdhsa_kernel _Z11rank_kernelIxLj4ELb0EL18RadixRankAlgorithm1ELj512ELj1ELj10EEvPKT_Pi
		.amdhsa_group_segment_fixed_size 16416
		.amdhsa_private_segment_fixed_size 0
		.amdhsa_kernarg_size 16
		.amdhsa_user_sgpr_count 6
		.amdhsa_user_sgpr_private_segment_buffer 1
		.amdhsa_user_sgpr_dispatch_ptr 0
		.amdhsa_user_sgpr_queue_ptr 0
		.amdhsa_user_sgpr_kernarg_segment_ptr 1
		.amdhsa_user_sgpr_dispatch_id 0
		.amdhsa_user_sgpr_flat_scratch_init 0
		.amdhsa_user_sgpr_kernarg_preload_length 0
		.amdhsa_user_sgpr_kernarg_preload_offset 0
		.amdhsa_user_sgpr_private_segment_size 0
		.amdhsa_uses_dynamic_stack 0
		.amdhsa_system_sgpr_private_segment_wavefront_offset 0
		.amdhsa_system_sgpr_workgroup_id_x 1
		.amdhsa_system_sgpr_workgroup_id_y 0
		.amdhsa_system_sgpr_workgroup_id_z 0
		.amdhsa_system_sgpr_workgroup_info 0
		.amdhsa_system_vgpr_workitem_id 0
		.amdhsa_next_free_vgpr 27
		.amdhsa_next_free_sgpr 38
		.amdhsa_accum_offset 28
		.amdhsa_reserve_vcc 1
		.amdhsa_reserve_flat_scratch 0
		.amdhsa_float_round_mode_32 0
		.amdhsa_float_round_mode_16_64 0
		.amdhsa_float_denorm_mode_32 3
		.amdhsa_float_denorm_mode_16_64 3
		.amdhsa_dx10_clamp 1
		.amdhsa_ieee_mode 1
		.amdhsa_fp16_overflow 0
		.amdhsa_tg_split 0
		.amdhsa_exception_fp_ieee_invalid_op 0
		.amdhsa_exception_fp_denorm_src 0
		.amdhsa_exception_fp_ieee_div_zero 0
		.amdhsa_exception_fp_ieee_overflow 0
		.amdhsa_exception_fp_ieee_underflow 0
		.amdhsa_exception_fp_ieee_inexact 0
		.amdhsa_exception_int_div_zero 0
	.end_amdhsa_kernel
	.section	.text._Z11rank_kernelIxLj4ELb0EL18RadixRankAlgorithm1ELj512ELj1ELj10EEvPKT_Pi,"axG",@progbits,_Z11rank_kernelIxLj4ELb0EL18RadixRankAlgorithm1ELj512ELj1ELj10EEvPKT_Pi,comdat
.Lfunc_end121:
	.size	_Z11rank_kernelIxLj4ELb0EL18RadixRankAlgorithm1ELj512ELj1ELj10EEvPKT_Pi, .Lfunc_end121-_Z11rank_kernelIxLj4ELb0EL18RadixRankAlgorithm1ELj512ELj1ELj10EEvPKT_Pi
                                        ; -- End function
	.section	.AMDGPU.csdata,"",@progbits
; Kernel info:
; codeLenInByte = 1124
; NumSgprs: 42
; NumVgprs: 27
; NumAgprs: 0
; TotalNumVgprs: 27
; ScratchSize: 0
; MemoryBound: 0
; FloatMode: 240
; IeeeMode: 1
; LDSByteSize: 16416 bytes/workgroup (compile time only)
; SGPRBlocks: 5
; VGPRBlocks: 3
; NumSGPRsForWavesPerEU: 42
; NumVGPRsForWavesPerEU: 27
; AccumOffset: 28
; Occupancy: 6
; WaveLimiterHint : 0
; COMPUTE_PGM_RSRC2:SCRATCH_EN: 0
; COMPUTE_PGM_RSRC2:USER_SGPR: 6
; COMPUTE_PGM_RSRC2:TRAP_HANDLER: 0
; COMPUTE_PGM_RSRC2:TGID_X_EN: 1
; COMPUTE_PGM_RSRC2:TGID_Y_EN: 0
; COMPUTE_PGM_RSRC2:TGID_Z_EN: 0
; COMPUTE_PGM_RSRC2:TIDIG_COMP_CNT: 0
; COMPUTE_PGM_RSRC3_GFX90A:ACCUM_OFFSET: 6
; COMPUTE_PGM_RSRC3_GFX90A:TG_SPLIT: 0
	.section	.text._Z11rank_kernelIxLj4ELb0EL18RadixRankAlgorithm2ELj512ELj1ELj10EEvPKT_Pi,"axG",@progbits,_Z11rank_kernelIxLj4ELb0EL18RadixRankAlgorithm2ELj512ELj1ELj10EEvPKT_Pi,comdat
	.protected	_Z11rank_kernelIxLj4ELb0EL18RadixRankAlgorithm2ELj512ELj1ELj10EEvPKT_Pi ; -- Begin function _Z11rank_kernelIxLj4ELb0EL18RadixRankAlgorithm2ELj512ELj1ELj10EEvPKT_Pi
	.globl	_Z11rank_kernelIxLj4ELb0EL18RadixRankAlgorithm2ELj512ELj1ELj10EEvPKT_Pi
	.p2align	8
	.type	_Z11rank_kernelIxLj4ELb0EL18RadixRankAlgorithm2ELj512ELj1ELj10EEvPKT_Pi,@function
_Z11rank_kernelIxLj4ELb0EL18RadixRankAlgorithm2ELj512ELj1ELj10EEvPKT_Pi: ; @_Z11rank_kernelIxLj4ELb0EL18RadixRankAlgorithm2ELj512ELj1ELj10EEvPKT_Pi
; %bb.0:
	s_load_dwordx4 s[28:31], s[4:5], 0x0
	s_load_dword s24, s[4:5], 0x1c
	s_lshl_b32 s34, s6, 9
	s_mov_b32 s35, 0
	s_lshl_b64 s[0:1], s[34:35], 3
	s_waitcnt lgkmcnt(0)
	s_add_u32 s0, s28, s0
	v_and_b32_e32 v2, 0x3ff, v0
	s_addc_u32 s1, s29, s1
	v_lshlrev_b32_e32 v1, 3, v2
	global_load_dwordx2 v[4:5], v1, s[0:1]
	v_mbcnt_lo_u32_b32 v1, -1, 0
	v_mbcnt_hi_u32_b32 v1, -1, v1
	v_add_u32_e32 v11, -1, v1
	v_and_b32_e32 v12, 64, v1
	v_bfe_u32 v7, v0, 10, 10
	v_bfe_u32 v0, v0, 20, 10
	v_cmp_lt_i32_e64 s[18:19], v11, v12
	s_lshr_b32 s25, s24, 16
	v_lshlrev_b32_e32 v3, 2, v2
	v_and_b32_e32 v8, 15, v1
	v_and_b32_e32 v9, 16, v1
	v_cmp_lt_u32_e32 vcc, 31, v1
	v_cmp_eq_u32_e64 s[4:5], 0, v1
	v_lshrrev_b32_e32 v13, 4, v2
	v_and_b32_e32 v14, 7, v1
	v_cndmask_b32_e64 v1, v11, v1, s[18:19]
	s_and_b32 s24, s24, 0xffff
	v_mad_u32_u24 v0, v0, s25, v7
	v_or_b32_e32 v10, 63, v2
	v_cmp_eq_u32_e64 s[6:7], 0, v8
	v_cmp_lt_u32_e64 s[8:9], 1, v8
	v_cmp_lt_u32_e64 s[10:11], 3, v8
	;; [unrolled: 1-line block ×3, first 2 shown]
	v_cmp_eq_u32_e64 s[14:15], 0, v9
	v_and_b32_e32 v8, 28, v13
	v_lshlrev_b32_e32 v9, 2, v1
	v_mad_u64_u32 v[0:1], s[24:25], v0, s24, v[2:3]
	v_mov_b32_e32 v6, 0
	v_cmp_gt_u32_e64 s[0:1], 8, v2
	v_cmp_lt_u32_e64 s[2:3], 63, v2
	v_cmp_eq_u32_e64 s[16:17], v10, v2
	v_cmp_eq_u32_e64 s[18:19], 0, v14
	v_cmp_lt_u32_e64 s[20:21], 1, v14
	v_cmp_lt_u32_e64 s[22:23], 3, v14
	v_add_u32_e32 v10, -4, v8
	v_lshrrev_b32_e32 v11, 6, v0
	s_mov_b32 s33, s35
	s_waitcnt vmcnt(0)
	v_xor_b32_e32 v5, 0x80000000, v5
	s_branch .LBB122_2
.LBB122_1:                              ;   in Loop: Header=BB122_2 Depth=1
	s_add_i32 s33, s33, 1
	s_cmp_eq_u32 s33, 10
	s_cbranch_scc1 .LBB122_12
.LBB122_2:                              ; =>This Loop Header: Depth=1
                                        ;     Child Loop BB122_4 Depth 2
	s_mov_b64 s[28:29], 60
	s_mov_b32 s36, -4
	s_branch .LBB122_4
.LBB122_3:                              ;   in Loop: Header=BB122_4 Depth=2
	s_or_b64 exec, exec, s[24:25]
	s_waitcnt lgkmcnt(0)
	v_add_u32_e32 v0, v1, v0
	ds_bpermute_b32 v0, v9, v0
	s_add_i32 s36, s36, 4
	s_add_u32 s28, s28, -4
	s_addc_u32 s29, s29, -1
	s_cmp_lt_u32 s36, 60
	s_waitcnt lgkmcnt(0)
	v_cndmask_b32_e64 v0, v0, v1, s[4:5]
	ds_write_b32 v3, v0 offset:32
	s_waitcnt lgkmcnt(0)
	s_barrier
	s_cbranch_scc0 .LBB122_1
.LBB122_4:                              ;   Parent Loop BB122_2 Depth=1
                                        ; =>  This Inner Loop Header: Depth=2
	v_lshlrev_b64 v[0:1], s28, v[4:5]
	v_lshrrev_b32_e32 v13, 28, v1
	v_mad_u32_u24 v7, v13, 9, v11
	v_lshl_add_u32 v12, v7, 2, 32
	v_bfe_u32 v7, v1, 28, 1
	v_add_co_u32_e64 v14, s[24:25], -1, v7
	v_addc_co_u32_e64 v15, s[24:25], 0, -1, s[24:25]
	v_cmp_ne_u32_e64 s[24:25], 0, v7
	v_xor_b32_e32 v7, s25, v15
	v_and_b32_e32 v15, exec_hi, v7
	v_lshlrev_b32_e32 v7, 30, v13
	v_xor_b32_e32 v14, s24, v14
	v_cmp_gt_i64_e64 s[24:25], 0, v[6:7]
	v_not_b32_e32 v7, v7
	v_ashrrev_i32_e32 v7, 31, v7
	v_and_b32_e32 v14, exec_lo, v14
	v_xor_b32_e32 v16, s25, v7
	v_xor_b32_e32 v7, s24, v7
	v_and_b32_e32 v14, v14, v7
	v_lshlrev_b32_e32 v7, 29, v13
	v_cmp_gt_i64_e64 s[24:25], 0, v[6:7]
	v_not_b32_e32 v7, v7
	v_ashrrev_i32_e32 v7, 31, v7
	v_xor_b32_e32 v13, s25, v7
	v_xor_b32_e32 v7, s24, v7
	v_cmp_gt_i64_e64 s[24:25], 0, v[0:1]
	v_not_b32_e32 v0, v1
	v_ashrrev_i32_e32 v0, 31, v0
	v_and_b32_e32 v15, v15, v16
	v_and_b32_e32 v7, v14, v7
	v_xor_b32_e32 v1, s25, v0
	v_xor_b32_e32 v0, s24, v0
	v_and_b32_e32 v13, v15, v13
	v_and_b32_e32 v0, v7, v0
	;; [unrolled: 1-line block ×3, first 2 shown]
	v_mbcnt_lo_u32_b32 v7, v0, 0
	v_mbcnt_hi_u32_b32 v7, v1, v7
	v_cmp_eq_u32_e64 s[24:25], 0, v7
	v_cmp_ne_u64_e64 s[26:27], 0, v[0:1]
	s_and_b64 s[26:27], s[26:27], s[24:25]
	ds_write_b32 v3, v6 offset:32
	s_waitcnt lgkmcnt(0)
	s_barrier
	s_waitcnt lgkmcnt(0)
	; wave barrier
	s_and_saveexec_b64 s[24:25], s[26:27]
	s_cbranch_execz .LBB122_6
; %bb.5:                                ;   in Loop: Header=BB122_4 Depth=2
	v_bcnt_u32_b32 v0, v0, 0
	v_bcnt_u32_b32 v0, v1, v0
	ds_write_b32 v12, v0
.LBB122_6:                              ;   in Loop: Header=BB122_4 Depth=2
	s_or_b64 exec, exec, s[24:25]
	; wave barrier
	s_waitcnt lgkmcnt(0)
	s_barrier
	ds_read_b32 v0, v3 offset:32
	s_waitcnt lgkmcnt(0)
	s_nop 0
	v_mov_b32_dpp v1, v0 row_shr:1 row_mask:0xf bank_mask:0xf
	v_cndmask_b32_e64 v1, v1, 0, s[6:7]
	v_add_u32_e32 v0, v1, v0
	s_nop 1
	v_mov_b32_dpp v1, v0 row_shr:2 row_mask:0xf bank_mask:0xf
	v_cndmask_b32_e64 v1, 0, v1, s[8:9]
	v_add_u32_e32 v0, v0, v1
	;; [unrolled: 4-line block ×4, first 2 shown]
	s_nop 1
	v_mov_b32_dpp v1, v0 row_bcast:15 row_mask:0xf bank_mask:0xf
	v_cndmask_b32_e64 v1, v1, 0, s[14:15]
	v_add_u32_e32 v0, v0, v1
	s_nop 1
	v_mov_b32_dpp v1, v0 row_bcast:31 row_mask:0xf bank_mask:0xf
	v_cndmask_b32_e32 v1, 0, v1, vcc
	v_add_u32_e32 v0, v0, v1
	s_and_saveexec_b64 s[24:25], s[16:17]
	s_cbranch_execz .LBB122_8
; %bb.7:                                ;   in Loop: Header=BB122_4 Depth=2
	ds_write_b32 v8, v0
.LBB122_8:                              ;   in Loop: Header=BB122_4 Depth=2
	s_or_b64 exec, exec, s[24:25]
	s_waitcnt lgkmcnt(0)
	s_barrier
	s_and_saveexec_b64 s[24:25], s[0:1]
	s_cbranch_execz .LBB122_10
; %bb.9:                                ;   in Loop: Header=BB122_4 Depth=2
	ds_read_b32 v1, v3
	s_waitcnt lgkmcnt(0)
	s_nop 0
	v_mov_b32_dpp v13, v1 row_shr:1 row_mask:0xf bank_mask:0xf
	v_cndmask_b32_e64 v13, v13, 0, s[18:19]
	v_add_u32_e32 v1, v13, v1
	s_nop 1
	v_mov_b32_dpp v13, v1 row_shr:2 row_mask:0xf bank_mask:0xf
	v_cndmask_b32_e64 v13, 0, v13, s[20:21]
	v_add_u32_e32 v1, v1, v13
	;; [unrolled: 4-line block ×3, first 2 shown]
	ds_write_b32 v3, v1
.LBB122_10:                             ;   in Loop: Header=BB122_4 Depth=2
	s_or_b64 exec, exec, s[24:25]
	v_mov_b32_e32 v1, 0
	s_waitcnt lgkmcnt(0)
	s_barrier
	s_and_saveexec_b64 s[24:25], s[2:3]
	s_cbranch_execz .LBB122_3
; %bb.11:                               ;   in Loop: Header=BB122_4 Depth=2
	ds_read_b32 v1, v10
	s_branch .LBB122_3
.LBB122_12:
	ds_read_b32 v0, v12
	s_lshl_b64 s[0:1], s[34:35], 2
	s_add_u32 s0, s30, s0
	s_addc_u32 s1, s31, s1
	v_lshlrev_b32_e32 v1, 2, v2
	s_waitcnt lgkmcnt(0)
	v_add_u32_e32 v0, v0, v7
	global_store_dword v1, v0, s[0:1]
	s_endpgm
	.section	.rodata,"a",@progbits
	.p2align	6, 0x0
	.amdhsa_kernel _Z11rank_kernelIxLj4ELb0EL18RadixRankAlgorithm2ELj512ELj1ELj10EEvPKT_Pi
		.amdhsa_group_segment_fixed_size 2080
		.amdhsa_private_segment_fixed_size 0
		.amdhsa_kernarg_size 272
		.amdhsa_user_sgpr_count 6
		.amdhsa_user_sgpr_private_segment_buffer 1
		.amdhsa_user_sgpr_dispatch_ptr 0
		.amdhsa_user_sgpr_queue_ptr 0
		.amdhsa_user_sgpr_kernarg_segment_ptr 1
		.amdhsa_user_sgpr_dispatch_id 0
		.amdhsa_user_sgpr_flat_scratch_init 0
		.amdhsa_user_sgpr_kernarg_preload_length 0
		.amdhsa_user_sgpr_kernarg_preload_offset 0
		.amdhsa_user_sgpr_private_segment_size 0
		.amdhsa_uses_dynamic_stack 0
		.amdhsa_system_sgpr_private_segment_wavefront_offset 0
		.amdhsa_system_sgpr_workgroup_id_x 1
		.amdhsa_system_sgpr_workgroup_id_y 0
		.amdhsa_system_sgpr_workgroup_id_z 0
		.amdhsa_system_sgpr_workgroup_info 0
		.amdhsa_system_vgpr_workitem_id 2
		.amdhsa_next_free_vgpr 17
		.amdhsa_next_free_sgpr 37
		.amdhsa_accum_offset 20
		.amdhsa_reserve_vcc 1
		.amdhsa_reserve_flat_scratch 0
		.amdhsa_float_round_mode_32 0
		.amdhsa_float_round_mode_16_64 0
		.amdhsa_float_denorm_mode_32 3
		.amdhsa_float_denorm_mode_16_64 3
		.amdhsa_dx10_clamp 1
		.amdhsa_ieee_mode 1
		.amdhsa_fp16_overflow 0
		.amdhsa_tg_split 0
		.amdhsa_exception_fp_ieee_invalid_op 0
		.amdhsa_exception_fp_denorm_src 0
		.amdhsa_exception_fp_ieee_div_zero 0
		.amdhsa_exception_fp_ieee_overflow 0
		.amdhsa_exception_fp_ieee_underflow 0
		.amdhsa_exception_fp_ieee_inexact 0
		.amdhsa_exception_int_div_zero 0
	.end_amdhsa_kernel
	.section	.text._Z11rank_kernelIxLj4ELb0EL18RadixRankAlgorithm2ELj512ELj1ELj10EEvPKT_Pi,"axG",@progbits,_Z11rank_kernelIxLj4ELb0EL18RadixRankAlgorithm2ELj512ELj1ELj10EEvPKT_Pi,comdat
.Lfunc_end122:
	.size	_Z11rank_kernelIxLj4ELb0EL18RadixRankAlgorithm2ELj512ELj1ELj10EEvPKT_Pi, .Lfunc_end122-_Z11rank_kernelIxLj4ELb0EL18RadixRankAlgorithm2ELj512ELj1ELj10EEvPKT_Pi
                                        ; -- End function
	.section	.AMDGPU.csdata,"",@progbits
; Kernel info:
; codeLenInByte = 1040
; NumSgprs: 41
; NumVgprs: 17
; NumAgprs: 0
; TotalNumVgprs: 17
; ScratchSize: 0
; MemoryBound: 0
; FloatMode: 240
; IeeeMode: 1
; LDSByteSize: 2080 bytes/workgroup (compile time only)
; SGPRBlocks: 5
; VGPRBlocks: 2
; NumSGPRsForWavesPerEU: 41
; NumVGPRsForWavesPerEU: 17
; AccumOffset: 20
; Occupancy: 8
; WaveLimiterHint : 0
; COMPUTE_PGM_RSRC2:SCRATCH_EN: 0
; COMPUTE_PGM_RSRC2:USER_SGPR: 6
; COMPUTE_PGM_RSRC2:TRAP_HANDLER: 0
; COMPUTE_PGM_RSRC2:TGID_X_EN: 1
; COMPUTE_PGM_RSRC2:TGID_Y_EN: 0
; COMPUTE_PGM_RSRC2:TGID_Z_EN: 0
; COMPUTE_PGM_RSRC2:TIDIG_COMP_CNT: 2
; COMPUTE_PGM_RSRC3_GFX90A:ACCUM_OFFSET: 4
; COMPUTE_PGM_RSRC3_GFX90A:TG_SPLIT: 0
	.section	.text._Z11rank_kernelIxLj4ELb0EL18RadixRankAlgorithm0ELj512ELj4ELj10EEvPKT_Pi,"axG",@progbits,_Z11rank_kernelIxLj4ELb0EL18RadixRankAlgorithm0ELj512ELj4ELj10EEvPKT_Pi,comdat
	.protected	_Z11rank_kernelIxLj4ELb0EL18RadixRankAlgorithm0ELj512ELj4ELj10EEvPKT_Pi ; -- Begin function _Z11rank_kernelIxLj4ELb0EL18RadixRankAlgorithm0ELj512ELj4ELj10EEvPKT_Pi
	.globl	_Z11rank_kernelIxLj4ELb0EL18RadixRankAlgorithm0ELj512ELj4ELj10EEvPKT_Pi
	.p2align	8
	.type	_Z11rank_kernelIxLj4ELb0EL18RadixRankAlgorithm0ELj512ELj4ELj10EEvPKT_Pi,@function
_Z11rank_kernelIxLj4ELb0EL18RadixRankAlgorithm0ELj512ELj4ELj10EEvPKT_Pi: ; @_Z11rank_kernelIxLj4ELb0EL18RadixRankAlgorithm0ELj512ELj4ELj10EEvPKT_Pi
; %bb.0:
	s_load_dwordx4 s[24:27], s[4:5], 0x0
	s_lshl_b32 s28, s6, 11
	s_mov_b32 s29, 0
	s_lshl_b64 s[0:1], s[28:29], 3
	v_lshlrev_b32_e32 v1, 5, v0
	s_waitcnt lgkmcnt(0)
	s_add_u32 s0, s24, s0
	s_addc_u32 s1, s25, s1
	global_load_dwordx4 v[2:5], v1, s[0:1]
	global_load_dwordx4 v[6:9], v1, s[0:1] offset:16
	v_mbcnt_lo_u32_b32 v12, -1, 0
	v_mbcnt_hi_u32_b32 v20, -1, v12
	v_add_u32_e32 v23, -1, v20
	v_and_b32_e32 v24, 64, v20
	v_cmp_lt_i32_e64 s[18:19], v23, v24
	v_lshlrev_b32_e32 v10, 2, v0
	v_or_b32_e32 v12, 63, v0
	v_lshrrev_b32_e32 v13, 4, v0
	v_and_b32_e32 v21, 15, v20
	v_and_b32_e32 v22, 16, v20
	v_cmp_lt_u32_e64 s[2:3], 31, v20
	v_cmp_eq_u32_e64 s[6:7], 0, v20
	v_and_b32_e32 v25, 7, v20
	v_cndmask_b32_e64 v20, v23, v20, s[18:19]
	v_mov_b32_e32 v11, 0
	s_mov_b64 s[24:25], -1
	s_movk_i32 s33, 0xe00
	v_cmp_gt_u32_e32 vcc, 8, v0
	v_cmp_lt_u32_e64 s[0:1], 63, v0
	v_cmp_eq_u32_e64 s[4:5], v12, v0
	v_and_b32_e32 v12, 28, v13
	v_or_b32_e32 v13, 0x800, v10
	v_or_b32_e32 v14, 0x1000, v10
	v_or_b32_e32 v15, 0x1800, v10
	v_or_b32_e32 v16, 0x2000, v10
	v_or_b32_e32 v17, 0x2800, v10
	v_or_b32_e32 v18, 0x3000, v10
	v_or_b32_e32 v19, 0x3800, v10
	v_cmp_eq_u32_e64 s[8:9], 0, v21
	v_cmp_lt_u32_e64 s[10:11], 1, v21
	v_cmp_lt_u32_e64 s[12:13], 3, v21
	;; [unrolled: 1-line block ×3, first 2 shown]
	v_cmp_eq_u32_e64 s[16:17], 0, v22
	v_cmp_eq_u32_e64 s[18:19], 0, v25
	v_cmp_lt_u32_e64 s[20:21], 1, v25
	v_cmp_lt_u32_e64 s[22:23], 3, v25
	v_lshlrev_b32_e32 v20, 2, v20
	s_mov_b32 s36, s29
	s_waitcnt vmcnt(1)
	v_xor_b32_e32 v3, 0x80000000, v3
	v_xor_b32_e32 v5, 0x80000000, v5
	s_waitcnt vmcnt(0)
	v_xor_b32_e32 v7, 0x80000000, v7
	v_xor_b32_e32 v9, 0x80000000, v9
	s_branch .LBB123_2
.LBB123_1:                              ;   in Loop: Header=BB123_2 Depth=1
	s_add_i32 s36, s36, 1
	s_cmp_eq_u32 s36, 10
	s_cbranch_scc1 .LBB123_18
.LBB123_2:                              ; =>This Loop Header: Depth=1
                                        ;     Child Loop BB123_4 Depth 2
	s_mov_b32 s37, -4
	s_mov_b64 s[30:31], 60
	s_branch .LBB123_4
.LBB123_3:                              ;   in Loop: Header=BB123_4 Depth=2
	s_or_b64 exec, exec, s[34:35]
	s_waitcnt lgkmcnt(0)
	v_add_u32_e32 v29, v30, v29
	ds_bpermute_b32 v29, v20, v29
	ds_read_b32 v32, v11 offset:16412
	s_add_i32 s37, s37, 4
	s_add_u32 s30, s30, -4
	s_addc_u32 s31, s31, -1
	s_waitcnt lgkmcnt(1)
	v_cndmask_b32_e64 v29, v29, v30, s[6:7]
	ds_read2_b32 v[30:31], v1 offset1:1
	s_waitcnt lgkmcnt(1)
	v_lshl_add_u32 v29, v32, 16, v29
	ds_read2_b32 v[32:33], v1 offset0:2 offset1:3
	ds_read2_b32 v[34:35], v1 offset0:4 offset1:5
	ds_read_b32 v36, v1 offset:24
	s_cmp_lt_u32 s37, 60
	s_waitcnt lgkmcnt(3)
	v_add_u32_e32 v30, v29, v30
	ds_write2_b32 v1, v29, v30 offset1:1
	v_add_u32_e32 v29, v31, v30
	s_waitcnt lgkmcnt(3)
	v_add_u32_e32 v30, v32, v29
	ds_write2_b32 v1, v29, v30 offset0:2 offset1:3
	v_add_u32_e32 v29, v33, v30
	s_waitcnt lgkmcnt(3)
	v_add_u32_e32 v30, v34, v29
	ds_write2_b32 v1, v29, v30 offset0:4 offset1:5
	;; [unrolled: 4-line block ×3, first 2 shown]
	s_waitcnt lgkmcnt(0)
	s_barrier
	s_cbranch_scc0 .LBB123_1
.LBB123_4:                              ;   Parent Loop BB123_2 Depth=1
                                        ; =>  This Inner Loop Header: Depth=2
	ds_write_b32 v10, v11
	ds_write_b32 v13, v11
	ds_write_b32 v14, v11
	ds_write_b32 v15, v11
	s_and_saveexec_b64 s[34:35], s[24:25]
	s_cbranch_execnz .LBB123_15
; %bb.5:                                ;   in Loop: Header=BB123_4 Depth=2
	s_or_b64 exec, exec, s[34:35]
	s_and_saveexec_b64 s[34:35], s[24:25]
	s_cbranch_execnz .LBB123_16
.LBB123_6:                              ;   in Loop: Header=BB123_4 Depth=2
	s_or_b64 exec, exec, s[34:35]
	s_and_saveexec_b64 s[34:35], s[24:25]
	s_cbranch_execnz .LBB123_17
.LBB123_7:                              ;   in Loop: Header=BB123_4 Depth=2
	s_or_b64 exec, exec, s[34:35]
	s_and_saveexec_b64 s[34:35], s[24:25]
	s_cbranch_execz .LBB123_9
.LBB123_8:                              ;   in Loop: Header=BB123_4 Depth=2
	ds_write_b32 v19, v11
.LBB123_9:                              ;   in Loop: Header=BB123_4 Depth=2
	s_or_b64 exec, exec, s[34:35]
	v_lshlrev_b64 v[22:23], s30, v[2:3]
	v_lshrrev_b32_e32 v21, 19, v23
	v_lshrrev_b32_e32 v22, 30, v23
	v_and_or_b32 v21, v21, s33, v0
	v_and_b32_e32 v22, 2, v22
	v_lshl_or_b32 v22, v21, 2, v22
	ds_read_u16 v21, v22
	v_lshlrev_b64 v[24:25], s30, v[4:5]
	v_lshrrev_b32_e32 v23, 19, v25
	v_and_or_b32 v23, v23, s33, v0
	v_lshlrev_b64 v[26:27], s30, v[6:7]
	s_waitcnt lgkmcnt(0)
	v_add_u16_e32 v24, 1, v21
	ds_write_b16 v22, v24
	v_lshrrev_b32_e32 v24, 30, v25
	v_and_b32_e32 v24, 2, v24
	v_lshl_or_b32 v24, v23, 2, v24
	ds_read_u16 v23, v24
	v_lshrrev_b32_e32 v26, 30, v27
	v_and_b32_e32 v26, 2, v26
	v_lshlrev_b64 v[28:29], s30, v[8:9]
	v_lshrrev_b32_e32 v28, 30, v29
	s_waitcnt lgkmcnt(0)
	v_add_u16_e32 v25, 1, v23
	ds_write_b16 v24, v25
	v_lshrrev_b32_e32 v25, 19, v27
	v_and_or_b32 v25, v25, s33, v0
	v_lshl_or_b32 v26, v25, 2, v26
	ds_read_u16 v25, v26
	v_and_b32_e32 v28, 2, v28
	s_waitcnt lgkmcnt(0)
	v_add_u16_e32 v27, 1, v25
	ds_write_b16 v26, v27
	v_lshrrev_b32_e32 v27, 19, v29
	v_and_or_b32 v27, v27, s33, v0
	v_lshl_or_b32 v28, v27, 2, v28
	ds_read_u16 v27, v28
	s_waitcnt lgkmcnt(0)
	v_add_u16_e32 v29, 1, v27
	ds_write_b16 v28, v29
	s_waitcnt lgkmcnt(0)
	s_barrier
	ds_read2_b32 v[30:31], v1 offset1:1
	ds_read2_b32 v[32:33], v1 offset0:2 offset1:3
	ds_read2_b32 v[34:35], v1 offset0:4 offset1:5
	;; [unrolled: 1-line block ×3, first 2 shown]
	s_waitcnt lgkmcnt(3)
	v_add_u32_e32 v29, v31, v30
	s_waitcnt lgkmcnt(2)
	v_add3_u32 v29, v29, v32, v33
	s_waitcnt lgkmcnt(1)
	v_add3_u32 v29, v29, v34, v35
	;; [unrolled: 2-line block ×3, first 2 shown]
	s_nop 1
	v_mov_b32_dpp v30, v29 row_shr:1 row_mask:0xf bank_mask:0xf
	v_cndmask_b32_e64 v30, v30, 0, s[8:9]
	v_add_u32_e32 v29, v30, v29
	s_nop 1
	v_mov_b32_dpp v30, v29 row_shr:2 row_mask:0xf bank_mask:0xf
	v_cndmask_b32_e64 v30, 0, v30, s[10:11]
	v_add_u32_e32 v29, v29, v30
	;; [unrolled: 4-line block ×4, first 2 shown]
	s_nop 1
	v_mov_b32_dpp v30, v29 row_bcast:15 row_mask:0xf bank_mask:0xf
	v_cndmask_b32_e64 v30, v30, 0, s[16:17]
	v_add_u32_e32 v29, v29, v30
	s_nop 1
	v_mov_b32_dpp v30, v29 row_bcast:31 row_mask:0xf bank_mask:0xf
	v_cndmask_b32_e64 v30, 0, v30, s[2:3]
	v_add_u32_e32 v29, v29, v30
	s_and_saveexec_b64 s[34:35], s[4:5]
	s_cbranch_execz .LBB123_11
; %bb.10:                               ;   in Loop: Header=BB123_4 Depth=2
	ds_write_b32 v12, v29 offset:16384
.LBB123_11:                             ;   in Loop: Header=BB123_4 Depth=2
	s_or_b64 exec, exec, s[34:35]
	s_waitcnt lgkmcnt(0)
	s_barrier
	s_and_saveexec_b64 s[34:35], vcc
	s_cbranch_execz .LBB123_13
; %bb.12:                               ;   in Loop: Header=BB123_4 Depth=2
	ds_read_b32 v30, v10 offset:16384
	s_waitcnt lgkmcnt(0)
	s_nop 0
	v_mov_b32_dpp v31, v30 row_shr:1 row_mask:0xf bank_mask:0xf
	v_cndmask_b32_e64 v31, v31, 0, s[18:19]
	v_add_u32_e32 v30, v31, v30
	s_nop 1
	v_mov_b32_dpp v31, v30 row_shr:2 row_mask:0xf bank_mask:0xf
	v_cndmask_b32_e64 v31, 0, v31, s[20:21]
	v_add_u32_e32 v30, v30, v31
	;; [unrolled: 4-line block ×3, first 2 shown]
	ds_write_b32 v10, v30 offset:16384
.LBB123_13:                             ;   in Loop: Header=BB123_4 Depth=2
	s_or_b64 exec, exec, s[34:35]
	v_mov_b32_e32 v30, 0
	s_waitcnt lgkmcnt(0)
	s_barrier
	s_and_saveexec_b64 s[34:35], s[0:1]
	s_cbranch_execz .LBB123_3
; %bb.14:                               ;   in Loop: Header=BB123_4 Depth=2
	ds_read_b32 v30, v12 offset:16380
	s_branch .LBB123_3
.LBB123_15:                             ;   in Loop: Header=BB123_4 Depth=2
	ds_write_b32 v16, v11
	s_or_b64 exec, exec, s[34:35]
	s_and_saveexec_b64 s[34:35], s[24:25]
	s_cbranch_execz .LBB123_6
.LBB123_16:                             ;   in Loop: Header=BB123_4 Depth=2
	ds_write_b32 v17, v11
	s_or_b64 exec, exec, s[34:35]
	s_and_saveexec_b64 s[34:35], s[24:25]
	s_cbranch_execz .LBB123_7
.LBB123_17:                             ;   in Loop: Header=BB123_4 Depth=2
	ds_write_b32 v18, v11
	s_or_b64 exec, exec, s[34:35]
	s_and_saveexec_b64 s[34:35], s[24:25]
	s_cbranch_execnz .LBB123_8
	s_branch .LBB123_9
.LBB123_18:
	ds_read_u16 v0, v22
	ds_read_u16 v1, v24
	;; [unrolled: 1-line block ×4, first 2 shown]
	s_lshl_b64 s[0:1], s[28:29], 2
	s_add_u32 s0, s26, s0
	s_waitcnt lgkmcnt(3)
	v_add_u32_sdwa v0, v0, v21 dst_sel:DWORD dst_unused:UNUSED_PAD src0_sel:DWORD src1_sel:WORD_0
	s_waitcnt lgkmcnt(2)
	v_add_u32_sdwa v1, v1, v23 dst_sel:DWORD dst_unused:UNUSED_PAD src0_sel:DWORD src1_sel:WORD_0
	s_waitcnt lgkmcnt(1)
	v_add_u32_sdwa v2, v2, v25 dst_sel:DWORD dst_unused:UNUSED_PAD src0_sel:DWORD src1_sel:WORD_0
	s_waitcnt lgkmcnt(0)
	v_add_u32_sdwa v3, v3, v27 dst_sel:DWORD dst_unused:UNUSED_PAD src0_sel:DWORD src1_sel:WORD_0
	s_addc_u32 s1, s27, s1
	v_lshlrev_b32_e32 v4, 2, v10
	global_store_dwordx4 v4, v[0:3], s[0:1]
	s_endpgm
	.section	.rodata,"a",@progbits
	.p2align	6, 0x0
	.amdhsa_kernel _Z11rank_kernelIxLj4ELb0EL18RadixRankAlgorithm0ELj512ELj4ELj10EEvPKT_Pi
		.amdhsa_group_segment_fixed_size 16416
		.amdhsa_private_segment_fixed_size 0
		.amdhsa_kernarg_size 16
		.amdhsa_user_sgpr_count 6
		.amdhsa_user_sgpr_private_segment_buffer 1
		.amdhsa_user_sgpr_dispatch_ptr 0
		.amdhsa_user_sgpr_queue_ptr 0
		.amdhsa_user_sgpr_kernarg_segment_ptr 1
		.amdhsa_user_sgpr_dispatch_id 0
		.amdhsa_user_sgpr_flat_scratch_init 0
		.amdhsa_user_sgpr_kernarg_preload_length 0
		.amdhsa_user_sgpr_kernarg_preload_offset 0
		.amdhsa_user_sgpr_private_segment_size 0
		.amdhsa_uses_dynamic_stack 0
		.amdhsa_system_sgpr_private_segment_wavefront_offset 0
		.amdhsa_system_sgpr_workgroup_id_x 1
		.amdhsa_system_sgpr_workgroup_id_y 0
		.amdhsa_system_sgpr_workgroup_id_z 0
		.amdhsa_system_sgpr_workgroup_info 0
		.amdhsa_system_vgpr_workitem_id 0
		.amdhsa_next_free_vgpr 38
		.amdhsa_next_free_sgpr 38
		.amdhsa_accum_offset 40
		.amdhsa_reserve_vcc 1
		.amdhsa_reserve_flat_scratch 0
		.amdhsa_float_round_mode_32 0
		.amdhsa_float_round_mode_16_64 0
		.amdhsa_float_denorm_mode_32 3
		.amdhsa_float_denorm_mode_16_64 3
		.amdhsa_dx10_clamp 1
		.amdhsa_ieee_mode 1
		.amdhsa_fp16_overflow 0
		.amdhsa_tg_split 0
		.amdhsa_exception_fp_ieee_invalid_op 0
		.amdhsa_exception_fp_denorm_src 0
		.amdhsa_exception_fp_ieee_div_zero 0
		.amdhsa_exception_fp_ieee_overflow 0
		.amdhsa_exception_fp_ieee_underflow 0
		.amdhsa_exception_fp_ieee_inexact 0
		.amdhsa_exception_int_div_zero 0
	.end_amdhsa_kernel
	.section	.text._Z11rank_kernelIxLj4ELb0EL18RadixRankAlgorithm0ELj512ELj4ELj10EEvPKT_Pi,"axG",@progbits,_Z11rank_kernelIxLj4ELb0EL18RadixRankAlgorithm0ELj512ELj4ELj10EEvPKT_Pi,comdat
.Lfunc_end123:
	.size	_Z11rank_kernelIxLj4ELb0EL18RadixRankAlgorithm0ELj512ELj4ELj10EEvPKT_Pi, .Lfunc_end123-_Z11rank_kernelIxLj4ELb0EL18RadixRankAlgorithm0ELj512ELj4ELj10EEvPKT_Pi
                                        ; -- End function
	.section	.AMDGPU.csdata,"",@progbits
; Kernel info:
; codeLenInByte = 1444
; NumSgprs: 42
; NumVgprs: 38
; NumAgprs: 0
; TotalNumVgprs: 38
; ScratchSize: 0
; MemoryBound: 0
; FloatMode: 240
; IeeeMode: 1
; LDSByteSize: 16416 bytes/workgroup (compile time only)
; SGPRBlocks: 5
; VGPRBlocks: 4
; NumSGPRsForWavesPerEU: 42
; NumVGPRsForWavesPerEU: 38
; AccumOffset: 40
; Occupancy: 6
; WaveLimiterHint : 0
; COMPUTE_PGM_RSRC2:SCRATCH_EN: 0
; COMPUTE_PGM_RSRC2:USER_SGPR: 6
; COMPUTE_PGM_RSRC2:TRAP_HANDLER: 0
; COMPUTE_PGM_RSRC2:TGID_X_EN: 1
; COMPUTE_PGM_RSRC2:TGID_Y_EN: 0
; COMPUTE_PGM_RSRC2:TGID_Z_EN: 0
; COMPUTE_PGM_RSRC2:TIDIG_COMP_CNT: 0
; COMPUTE_PGM_RSRC3_GFX90A:ACCUM_OFFSET: 9
; COMPUTE_PGM_RSRC3_GFX90A:TG_SPLIT: 0
	.section	.text._Z11rank_kernelIxLj4ELb0EL18RadixRankAlgorithm1ELj512ELj4ELj10EEvPKT_Pi,"axG",@progbits,_Z11rank_kernelIxLj4ELb0EL18RadixRankAlgorithm1ELj512ELj4ELj10EEvPKT_Pi,comdat
	.protected	_Z11rank_kernelIxLj4ELb0EL18RadixRankAlgorithm1ELj512ELj4ELj10EEvPKT_Pi ; -- Begin function _Z11rank_kernelIxLj4ELb0EL18RadixRankAlgorithm1ELj512ELj4ELj10EEvPKT_Pi
	.globl	_Z11rank_kernelIxLj4ELb0EL18RadixRankAlgorithm1ELj512ELj4ELj10EEvPKT_Pi
	.p2align	8
	.type	_Z11rank_kernelIxLj4ELb0EL18RadixRankAlgorithm1ELj512ELj4ELj10EEvPKT_Pi,@function
_Z11rank_kernelIxLj4ELb0EL18RadixRankAlgorithm1ELj512ELj4ELj10EEvPKT_Pi: ; @_Z11rank_kernelIxLj4ELb0EL18RadixRankAlgorithm1ELj512ELj4ELj10EEvPKT_Pi
; %bb.0:
	s_load_dwordx4 s[24:27], s[4:5], 0x0
	s_lshl_b32 s28, s6, 11
	s_mov_b32 s29, 0
	s_lshl_b64 s[0:1], s[28:29], 3
	v_lshlrev_b32_e32 v1, 5, v0
	s_waitcnt lgkmcnt(0)
	s_add_u32 s0, s24, s0
	s_addc_u32 s1, s25, s1
	global_load_dwordx4 v[2:5], v1, s[0:1]
	global_load_dwordx4 v[6:9], v1, s[0:1] offset:16
	v_mbcnt_lo_u32_b32 v12, -1, 0
	v_mbcnt_hi_u32_b32 v12, -1, v12
	v_or_b32_e32 v13, 63, v0
	v_cmp_eq_u32_e64 s[4:5], v13, v0
	v_add_u32_e32 v13, -1, v12
	v_and_b32_e32 v17, 64, v12
	v_lshrrev_b32_e32 v14, 4, v0
	v_cmp_lt_i32_e64 s[18:19], v13, v17
	v_lshlrev_b32_e32 v10, 2, v0
	v_and_b32_e32 v15, 15, v12
	v_and_b32_e32 v16, 16, v12
	v_cmp_lt_u32_e64 s[2:3], 31, v12
	v_cmp_eq_u32_e64 s[6:7], 0, v12
	v_and_b32_e32 v20, 28, v14
	v_and_b32_e32 v14, 7, v12
	v_cndmask_b32_e64 v12, v13, v12, s[18:19]
	v_mov_b32_e32 v11, 0
	s_mov_b64 s[24:25], -1
	s_movk_i32 s33, 0xe00
	v_cmp_gt_u32_e32 vcc, 8, v0
	v_cmp_lt_u32_e64 s[0:1], 63, v0
	v_or_b32_e32 v21, 0x800, v10
	v_or_b32_e32 v22, 0x1000, v10
	;; [unrolled: 1-line block ×7, first 2 shown]
	v_cmp_eq_u32_e64 s[8:9], 0, v15
	v_cmp_lt_u32_e64 s[10:11], 1, v15
	v_cmp_lt_u32_e64 s[12:13], 3, v15
	;; [unrolled: 1-line block ×3, first 2 shown]
	v_cmp_eq_u32_e64 s[16:17], 0, v16
	v_cmp_eq_u32_e64 s[18:19], 0, v14
	v_cmp_lt_u32_e64 s[20:21], 1, v14
	v_cmp_lt_u32_e64 s[22:23], 3, v14
	v_lshlrev_b32_e32 v28, 2, v12
	s_mov_b32 s36, s29
	s_waitcnt vmcnt(1)
	v_xor_b32_e32 v3, 0x80000000, v3
	v_xor_b32_e32 v5, 0x80000000, v5
	s_waitcnt vmcnt(0)
	v_xor_b32_e32 v7, 0x80000000, v7
	v_xor_b32_e32 v9, 0x80000000, v9
	s_branch .LBB124_2
.LBB124_1:                              ;   in Loop: Header=BB124_2 Depth=1
	s_add_i32 s36, s36, 1
	s_cmp_eq_u32 s36, 10
	s_cbranch_scc1 .LBB124_18
.LBB124_2:                              ; =>This Loop Header: Depth=1
                                        ;     Child Loop BB124_4 Depth 2
	s_mov_b32 s37, -4
	s_mov_b64 s[30:31], 60
	s_branch .LBB124_4
.LBB124_3:                              ;   in Loop: Header=BB124_4 Depth=2
	s_or_b64 exec, exec, s[34:35]
	s_waitcnt lgkmcnt(0)
	v_add_u32_e32 v13, v37, v13
	ds_bpermute_b32 v13, v28, v13
	ds_read_b32 v38, v11 offset:16412
	s_add_i32 s37, s37, 4
	s_add_u32 s30, s30, -4
	s_addc_u32 s31, s31, -1
	s_waitcnt lgkmcnt(1)
	v_cndmask_b32_e64 v13, v13, v37, s[6:7]
	s_waitcnt lgkmcnt(0)
	v_lshl_add_u32 v13, v38, 16, v13
	v_add_u32_e32 v18, v13, v18
	v_add_u32_e32 v19, v18, v19
	ds_write2_b32 v1, v13, v18 offset1:1
	v_add_u32_e32 v13, v19, v16
	v_add_u32_e32 v16, v13, v17
	ds_write2_b32 v1, v19, v13 offset0:2 offset1:3
	v_add_u32_e32 v13, v16, v14
	v_add_u32_e32 v14, v13, v15
	;; [unrolled: 1-line block ×3, first 2 shown]
	s_cmp_lt_u32 s37, 60
	ds_write2_b32 v1, v16, v13 offset0:4 offset1:5
	ds_write2_b32 v1, v14, v12 offset0:6 offset1:7
	s_waitcnt lgkmcnt(0)
	s_barrier
	s_cbranch_scc0 .LBB124_1
.LBB124_4:                              ;   Parent Loop BB124_2 Depth=1
                                        ; =>  This Inner Loop Header: Depth=2
	ds_write_b32 v10, v11
	ds_write_b32 v21, v11
	;; [unrolled: 1-line block ×4, first 2 shown]
	s_and_saveexec_b64 s[34:35], s[24:25]
	s_cbranch_execnz .LBB124_15
; %bb.5:                                ;   in Loop: Header=BB124_4 Depth=2
	s_or_b64 exec, exec, s[34:35]
	s_and_saveexec_b64 s[34:35], s[24:25]
	s_cbranch_execnz .LBB124_16
.LBB124_6:                              ;   in Loop: Header=BB124_4 Depth=2
	s_or_b64 exec, exec, s[34:35]
	s_and_saveexec_b64 s[34:35], s[24:25]
	s_cbranch_execnz .LBB124_17
.LBB124_7:                              ;   in Loop: Header=BB124_4 Depth=2
	s_or_b64 exec, exec, s[34:35]
	s_and_saveexec_b64 s[34:35], s[24:25]
	s_cbranch_execz .LBB124_9
.LBB124_8:                              ;   in Loop: Header=BB124_4 Depth=2
	ds_write_b32 v27, v11
.LBB124_9:                              ;   in Loop: Header=BB124_4 Depth=2
	s_or_b64 exec, exec, s[34:35]
	v_lshlrev_b64 v[12:13], s30, v[2:3]
	v_lshrrev_b32_e32 v12, 19, v13
	v_lshrrev_b32_e32 v13, 30, v13
	v_and_or_b32 v12, v12, s33, v0
	v_and_b32_e32 v13, 2, v13
	v_lshl_or_b32 v30, v12, 2, v13
	ds_read_u16 v29, v30
	v_lshlrev_b64 v[12:13], s30, v[4:5]
	v_lshrrev_b32_e32 v12, 19, v13
	v_lshrrev_b32_e32 v13, 30, v13
	v_and_or_b32 v12, v12, s33, v0
	s_waitcnt lgkmcnt(0)
	v_add_u16_e32 v14, 1, v29
	v_and_b32_e32 v13, 2, v13
	ds_write_b16 v30, v14
	v_lshl_or_b32 v32, v12, 2, v13
	ds_read_u16 v31, v32
	s_waitcnt lgkmcnt(0)
	v_add_u16_e32 v12, 1, v31
	ds_write_b16 v32, v12
	v_lshlrev_b64 v[12:13], s30, v[6:7]
	v_lshrrev_b32_e32 v12, 19, v13
	v_lshrrev_b32_e32 v13, 30, v13
	v_and_or_b32 v12, v12, s33, v0
	v_and_b32_e32 v13, 2, v13
	v_lshl_or_b32 v34, v12, 2, v13
	ds_read_u16 v33, v34
	s_waitcnt lgkmcnt(0)
	v_add_u16_e32 v12, 1, v33
	ds_write_b16 v34, v12
	v_lshlrev_b64 v[12:13], s30, v[8:9]
	v_lshrrev_b32_e32 v12, 19, v13
	v_lshrrev_b32_e32 v13, 30, v13
	v_and_or_b32 v12, v12, s33, v0
	v_and_b32_e32 v13, 2, v13
	v_lshl_or_b32 v36, v12, 2, v13
	ds_read_u16 v35, v36
	s_waitcnt lgkmcnt(0)
	v_add_u16_e32 v12, 1, v35
	ds_write_b16 v36, v12
	s_waitcnt lgkmcnt(0)
	s_barrier
	ds_read2_b32 v[18:19], v1 offset1:1
	ds_read2_b32 v[16:17], v1 offset0:2 offset1:3
	ds_read2_b32 v[14:15], v1 offset0:4 offset1:5
	;; [unrolled: 1-line block ×3, first 2 shown]
	s_waitcnt lgkmcnt(3)
	v_add_u32_e32 v37, v19, v18
	s_waitcnt lgkmcnt(2)
	v_add3_u32 v37, v37, v16, v17
	s_waitcnt lgkmcnt(1)
	v_add3_u32 v37, v37, v14, v15
	;; [unrolled: 2-line block ×3, first 2 shown]
	s_nop 1
	v_mov_b32_dpp v37, v13 row_shr:1 row_mask:0xf bank_mask:0xf
	v_cndmask_b32_e64 v37, v37, 0, s[8:9]
	v_add_u32_e32 v13, v37, v13
	s_nop 1
	v_mov_b32_dpp v37, v13 row_shr:2 row_mask:0xf bank_mask:0xf
	v_cndmask_b32_e64 v37, 0, v37, s[10:11]
	v_add_u32_e32 v13, v13, v37
	;; [unrolled: 4-line block ×4, first 2 shown]
	s_nop 1
	v_mov_b32_dpp v37, v13 row_bcast:15 row_mask:0xf bank_mask:0xf
	v_cndmask_b32_e64 v37, v37, 0, s[16:17]
	v_add_u32_e32 v13, v13, v37
	s_nop 1
	v_mov_b32_dpp v37, v13 row_bcast:31 row_mask:0xf bank_mask:0xf
	v_cndmask_b32_e64 v37, 0, v37, s[2:3]
	v_add_u32_e32 v13, v13, v37
	s_and_saveexec_b64 s[34:35], s[4:5]
	s_cbranch_execz .LBB124_11
; %bb.10:                               ;   in Loop: Header=BB124_4 Depth=2
	ds_write_b32 v20, v13 offset:16384
.LBB124_11:                             ;   in Loop: Header=BB124_4 Depth=2
	s_or_b64 exec, exec, s[34:35]
	s_waitcnt lgkmcnt(0)
	s_barrier
	s_and_saveexec_b64 s[34:35], vcc
	s_cbranch_execz .LBB124_13
; %bb.12:                               ;   in Loop: Header=BB124_4 Depth=2
	ds_read_b32 v37, v10 offset:16384
	s_waitcnt lgkmcnt(0)
	s_nop 0
	v_mov_b32_dpp v38, v37 row_shr:1 row_mask:0xf bank_mask:0xf
	v_cndmask_b32_e64 v38, v38, 0, s[18:19]
	v_add_u32_e32 v37, v38, v37
	s_nop 1
	v_mov_b32_dpp v38, v37 row_shr:2 row_mask:0xf bank_mask:0xf
	v_cndmask_b32_e64 v38, 0, v38, s[20:21]
	v_add_u32_e32 v37, v37, v38
	;; [unrolled: 4-line block ×3, first 2 shown]
	ds_write_b32 v10, v37 offset:16384
.LBB124_13:                             ;   in Loop: Header=BB124_4 Depth=2
	s_or_b64 exec, exec, s[34:35]
	v_mov_b32_e32 v37, 0
	s_waitcnt lgkmcnt(0)
	s_barrier
	s_and_saveexec_b64 s[34:35], s[0:1]
	s_cbranch_execz .LBB124_3
; %bb.14:                               ;   in Loop: Header=BB124_4 Depth=2
	ds_read_b32 v37, v20 offset:16380
	s_branch .LBB124_3
.LBB124_15:                             ;   in Loop: Header=BB124_4 Depth=2
	ds_write_b32 v24, v11
	s_or_b64 exec, exec, s[34:35]
	s_and_saveexec_b64 s[34:35], s[24:25]
	s_cbranch_execz .LBB124_6
.LBB124_16:                             ;   in Loop: Header=BB124_4 Depth=2
	ds_write_b32 v25, v11
	s_or_b64 exec, exec, s[34:35]
	s_and_saveexec_b64 s[34:35], s[24:25]
	s_cbranch_execz .LBB124_7
.LBB124_17:                             ;   in Loop: Header=BB124_4 Depth=2
	ds_write_b32 v26, v11
	s_or_b64 exec, exec, s[34:35]
	s_and_saveexec_b64 s[34:35], s[24:25]
	s_cbranch_execnz .LBB124_8
	s_branch .LBB124_9
.LBB124_18:
	ds_read_u16 v0, v30
	ds_read_u16 v1, v32
	;; [unrolled: 1-line block ×4, first 2 shown]
	s_lshl_b64 s[0:1], s[28:29], 2
	s_add_u32 s0, s26, s0
	s_waitcnt lgkmcnt(3)
	v_add_u32_sdwa v0, v0, v29 dst_sel:DWORD dst_unused:UNUSED_PAD src0_sel:DWORD src1_sel:WORD_0
	s_waitcnt lgkmcnt(2)
	v_add_u32_sdwa v1, v1, v31 dst_sel:DWORD dst_unused:UNUSED_PAD src0_sel:DWORD src1_sel:WORD_0
	;; [unrolled: 2-line block ×4, first 2 shown]
	s_addc_u32 s1, s27, s1
	v_lshlrev_b32_e32 v4, 2, v10
	global_store_dwordx4 v4, v[0:3], s[0:1]
	s_endpgm
	.section	.rodata,"a",@progbits
	.p2align	6, 0x0
	.amdhsa_kernel _Z11rank_kernelIxLj4ELb0EL18RadixRankAlgorithm1ELj512ELj4ELj10EEvPKT_Pi
		.amdhsa_group_segment_fixed_size 16416
		.amdhsa_private_segment_fixed_size 0
		.amdhsa_kernarg_size 16
		.amdhsa_user_sgpr_count 6
		.amdhsa_user_sgpr_private_segment_buffer 1
		.amdhsa_user_sgpr_dispatch_ptr 0
		.amdhsa_user_sgpr_queue_ptr 0
		.amdhsa_user_sgpr_kernarg_segment_ptr 1
		.amdhsa_user_sgpr_dispatch_id 0
		.amdhsa_user_sgpr_flat_scratch_init 0
		.amdhsa_user_sgpr_kernarg_preload_length 0
		.amdhsa_user_sgpr_kernarg_preload_offset 0
		.amdhsa_user_sgpr_private_segment_size 0
		.amdhsa_uses_dynamic_stack 0
		.amdhsa_system_sgpr_private_segment_wavefront_offset 0
		.amdhsa_system_sgpr_workgroup_id_x 1
		.amdhsa_system_sgpr_workgroup_id_y 0
		.amdhsa_system_sgpr_workgroup_id_z 0
		.amdhsa_system_sgpr_workgroup_info 0
		.amdhsa_system_vgpr_workitem_id 0
		.amdhsa_next_free_vgpr 39
		.amdhsa_next_free_sgpr 38
		.amdhsa_accum_offset 40
		.amdhsa_reserve_vcc 1
		.amdhsa_reserve_flat_scratch 0
		.amdhsa_float_round_mode_32 0
		.amdhsa_float_round_mode_16_64 0
		.amdhsa_float_denorm_mode_32 3
		.amdhsa_float_denorm_mode_16_64 3
		.amdhsa_dx10_clamp 1
		.amdhsa_ieee_mode 1
		.amdhsa_fp16_overflow 0
		.amdhsa_tg_split 0
		.amdhsa_exception_fp_ieee_invalid_op 0
		.amdhsa_exception_fp_denorm_src 0
		.amdhsa_exception_fp_ieee_div_zero 0
		.amdhsa_exception_fp_ieee_overflow 0
		.amdhsa_exception_fp_ieee_underflow 0
		.amdhsa_exception_fp_ieee_inexact 0
		.amdhsa_exception_int_div_zero 0
	.end_amdhsa_kernel
	.section	.text._Z11rank_kernelIxLj4ELb0EL18RadixRankAlgorithm1ELj512ELj4ELj10EEvPKT_Pi,"axG",@progbits,_Z11rank_kernelIxLj4ELb0EL18RadixRankAlgorithm1ELj512ELj4ELj10EEvPKT_Pi,comdat
.Lfunc_end124:
	.size	_Z11rank_kernelIxLj4ELb0EL18RadixRankAlgorithm1ELj512ELj4ELj10EEvPKT_Pi, .Lfunc_end124-_Z11rank_kernelIxLj4ELb0EL18RadixRankAlgorithm1ELj512ELj4ELj10EEvPKT_Pi
                                        ; -- End function
	.section	.AMDGPU.csdata,"",@progbits
; Kernel info:
; codeLenInByte = 1396
; NumSgprs: 42
; NumVgprs: 39
; NumAgprs: 0
; TotalNumVgprs: 39
; ScratchSize: 0
; MemoryBound: 0
; FloatMode: 240
; IeeeMode: 1
; LDSByteSize: 16416 bytes/workgroup (compile time only)
; SGPRBlocks: 5
; VGPRBlocks: 4
; NumSGPRsForWavesPerEU: 42
; NumVGPRsForWavesPerEU: 39
; AccumOffset: 40
; Occupancy: 6
; WaveLimiterHint : 0
; COMPUTE_PGM_RSRC2:SCRATCH_EN: 0
; COMPUTE_PGM_RSRC2:USER_SGPR: 6
; COMPUTE_PGM_RSRC2:TRAP_HANDLER: 0
; COMPUTE_PGM_RSRC2:TGID_X_EN: 1
; COMPUTE_PGM_RSRC2:TGID_Y_EN: 0
; COMPUTE_PGM_RSRC2:TGID_Z_EN: 0
; COMPUTE_PGM_RSRC2:TIDIG_COMP_CNT: 0
; COMPUTE_PGM_RSRC3_GFX90A:ACCUM_OFFSET: 9
; COMPUTE_PGM_RSRC3_GFX90A:TG_SPLIT: 0
	.section	.text._Z11rank_kernelIxLj4ELb0EL18RadixRankAlgorithm2ELj512ELj4ELj10EEvPKT_Pi,"axG",@progbits,_Z11rank_kernelIxLj4ELb0EL18RadixRankAlgorithm2ELj512ELj4ELj10EEvPKT_Pi,comdat
	.protected	_Z11rank_kernelIxLj4ELb0EL18RadixRankAlgorithm2ELj512ELj4ELj10EEvPKT_Pi ; -- Begin function _Z11rank_kernelIxLj4ELb0EL18RadixRankAlgorithm2ELj512ELj4ELj10EEvPKT_Pi
	.globl	_Z11rank_kernelIxLj4ELb0EL18RadixRankAlgorithm2ELj512ELj4ELj10EEvPKT_Pi
	.p2align	8
	.type	_Z11rank_kernelIxLj4ELb0EL18RadixRankAlgorithm2ELj512ELj4ELj10EEvPKT_Pi,@function
_Z11rank_kernelIxLj4ELb0EL18RadixRankAlgorithm2ELj512ELj4ELj10EEvPKT_Pi: ; @_Z11rank_kernelIxLj4ELb0EL18RadixRankAlgorithm2ELj512ELj4ELj10EEvPKT_Pi
; %bb.0:
	s_load_dwordx4 s[28:31], s[4:5], 0x0
	s_load_dword s24, s[4:5], 0x1c
	s_lshl_b32 s34, s6, 11
	s_mov_b32 s35, 0
	s_lshl_b64 s[0:1], s[34:35], 3
	s_waitcnt lgkmcnt(0)
	s_add_u32 s0, s28, s0
	v_and_b32_e32 v12, 0x3ff, v0
	s_addc_u32 s1, s29, s1
	v_lshlrev_b32_e32 v1, 5, v12
	global_load_dwordx4 v[2:5], v1, s[0:1]
	global_load_dwordx4 v[6:9], v1, s[0:1] offset:16
	v_mbcnt_lo_u32_b32 v1, -1, 0
	v_mbcnt_hi_u32_b32 v1, -1, v1
	v_bfe_u32 v11, v0, 10, 10
	v_bfe_u32 v13, v0, 20, 10
	v_add_u32_e32 v17, -1, v1
	v_and_b32_e32 v18, 64, v1
	s_lshr_b32 s25, s24, 16
	v_and_b32_e32 v14, 15, v1
	v_or_b32_e32 v16, 63, v12
	v_lshrrev_b32_e32 v19, 4, v12
	v_cmp_lt_i32_e64 s[18:19], v17, v18
	s_and_b32 s24, s24, 0xffff
	v_mad_u32_u24 v11, v13, s25, v11
	v_lshlrev_b32_e32 v0, 2, v12
	v_and_b32_e32 v15, 16, v1
	v_cmp_lt_u32_e32 vcc, 31, v1
	v_cmp_gt_u32_e64 s[0:1], 8, v12
	v_cmp_lt_u32_e64 s[2:3], 63, v12
	v_cmp_eq_u32_e64 s[4:5], 0, v1
	v_and_b32_e32 v20, 7, v1
	v_cmp_eq_u32_e64 s[6:7], 0, v14
	v_cmp_lt_u32_e64 s[8:9], 1, v14
	v_cmp_lt_u32_e64 s[10:11], 3, v14
	;; [unrolled: 1-line block ×3, first 2 shown]
	v_cmp_eq_u32_e64 s[16:17], v16, v12
	v_cndmask_b32_e64 v14, v17, v1, s[18:19]
	v_and_b32_e32 v1, 28, v19
	v_mad_u64_u32 v[12:13], s[24:25], v11, s24, v[12:13]
	v_mov_b32_e32 v10, 0
	v_cmp_eq_u32_e64 s[14:15], 0, v15
	v_cmp_eq_u32_e64 s[18:19], 0, v20
	v_cmp_lt_u32_e64 s[20:21], 1, v20
	v_cmp_lt_u32_e64 s[22:23], 3, v20
	v_lshlrev_b32_e32 v14, 2, v14
	v_add_u32_e32 v15, -4, v1
	v_lshrrev_b32_e32 v16, 6, v12
	s_mov_b32 s33, s35
	s_waitcnt vmcnt(1)
	v_xor_b32_e32 v3, 0x80000000, v3
	v_xor_b32_e32 v5, 0x80000000, v5
	s_waitcnt vmcnt(0)
	v_xor_b32_e32 v7, 0x80000000, v7
	v_xor_b32_e32 v9, 0x80000000, v9
	s_branch .LBB125_2
.LBB125_1:                              ;   in Loop: Header=BB125_2 Depth=1
	s_add_i32 s33, s33, 1
	s_cmp_eq_u32 s33, 10
	s_cbranch_scc1 .LBB125_18
.LBB125_2:                              ; =>This Loop Header: Depth=1
                                        ;     Child Loop BB125_4 Depth 2
	s_mov_b64 s[28:29], 60
	s_mov_b32 s36, -4
	s_branch .LBB125_4
.LBB125_3:                              ;   in Loop: Header=BB125_4 Depth=2
	s_or_b64 exec, exec, s[24:25]
	s_waitcnt lgkmcnt(0)
	v_add_u32_e32 v12, v13, v12
	ds_bpermute_b32 v12, v14, v12
	s_add_i32 s36, s36, 4
	s_add_u32 s28, s28, -4
	s_addc_u32 s29, s29, -1
	s_cmp_lt_u32 s36, 60
	s_waitcnt lgkmcnt(0)
	v_cndmask_b32_e64 v12, v12, v13, s[4:5]
	ds_write_b32 v0, v12 offset:32
	s_waitcnt lgkmcnt(0)
	s_barrier
	s_cbranch_scc0 .LBB125_1
.LBB125_4:                              ;   Parent Loop BB125_2 Depth=1
                                        ; =>  This Inner Loop Header: Depth=2
	v_lshlrev_b64 v[12:13], s28, v[2:3]
	v_lshrrev_b32_e32 v18, 28, v13
	v_mad_u32_u24 v11, v18, 9, v16
	v_lshl_add_u32 v17, v11, 2, 32
	v_bfe_u32 v11, v13, 28, 1
	v_add_co_u32_e64 v19, s[24:25], -1, v11
	v_addc_co_u32_e64 v20, s[24:25], 0, -1, s[24:25]
	v_cmp_ne_u32_e64 s[24:25], 0, v11
	v_xor_b32_e32 v11, s25, v20
	v_and_b32_e32 v20, exec_hi, v11
	v_lshlrev_b32_e32 v11, 30, v18
	v_xor_b32_e32 v19, s24, v19
	v_cmp_gt_i64_e64 s[24:25], 0, v[10:11]
	v_not_b32_e32 v11, v11
	v_ashrrev_i32_e32 v11, 31, v11
	v_and_b32_e32 v19, exec_lo, v19
	v_xor_b32_e32 v21, s25, v11
	v_xor_b32_e32 v11, s24, v11
	v_and_b32_e32 v19, v19, v11
	v_lshlrev_b32_e32 v11, 29, v18
	v_cmp_gt_i64_e64 s[24:25], 0, v[10:11]
	v_not_b32_e32 v11, v11
	v_ashrrev_i32_e32 v11, 31, v11
	v_xor_b32_e32 v18, s25, v11
	v_xor_b32_e32 v11, s24, v11
	v_cmp_gt_i64_e64 s[24:25], 0, v[12:13]
	v_not_b32_e32 v12, v13
	v_ashrrev_i32_e32 v12, 31, v12
	v_and_b32_e32 v20, v20, v21
	v_and_b32_e32 v11, v19, v11
	v_xor_b32_e32 v13, s25, v12
	v_xor_b32_e32 v12, s24, v12
	v_and_b32_e32 v18, v20, v18
	v_and_b32_e32 v12, v11, v12
	v_and_b32_e32 v13, v18, v13
	v_mbcnt_lo_u32_b32 v11, v12, 0
	v_mbcnt_hi_u32_b32 v18, v13, v11
	v_cmp_eq_u32_e64 s[24:25], 0, v18
	v_cmp_ne_u64_e64 s[26:27], 0, v[12:13]
	s_and_b64 s[26:27], s[26:27], s[24:25]
	ds_write_b32 v0, v10 offset:32
	s_waitcnt lgkmcnt(0)
	s_barrier
	s_waitcnt lgkmcnt(0)
	; wave barrier
	s_and_saveexec_b64 s[24:25], s[26:27]
	s_cbranch_execz .LBB125_6
; %bb.5:                                ;   in Loop: Header=BB125_4 Depth=2
	v_bcnt_u32_b32 v11, v12, 0
	v_bcnt_u32_b32 v11, v13, v11
	ds_write_b32 v17, v11
.LBB125_6:                              ;   in Loop: Header=BB125_4 Depth=2
	s_or_b64 exec, exec, s[24:25]
	v_lshlrev_b64 v[12:13], s28, v[4:5]
	v_lshrrev_b32_e32 v21, 28, v13
	v_mul_u32_u24_e32 v11, 9, v21
	v_add_lshl_u32 v11, v16, v11, 2
	; wave barrier
	v_add_u32_e32 v20, 32, v11
	ds_read_b32 v19, v11 offset:32
	v_bfe_u32 v11, v13, 28, 1
	v_add_co_u32_e64 v22, s[24:25], -1, v11
	v_addc_co_u32_e64 v23, s[24:25], 0, -1, s[24:25]
	v_cmp_ne_u32_e64 s[24:25], 0, v11
	v_xor_b32_e32 v11, s25, v23
	v_and_b32_e32 v23, exec_hi, v11
	v_lshlrev_b32_e32 v11, 30, v21
	v_xor_b32_e32 v22, s24, v22
	v_cmp_gt_i64_e64 s[24:25], 0, v[10:11]
	v_not_b32_e32 v11, v11
	v_ashrrev_i32_e32 v11, 31, v11
	v_and_b32_e32 v22, exec_lo, v22
	v_xor_b32_e32 v24, s25, v11
	v_xor_b32_e32 v11, s24, v11
	v_and_b32_e32 v22, v22, v11
	v_lshlrev_b32_e32 v11, 29, v21
	v_cmp_gt_i64_e64 s[24:25], 0, v[10:11]
	v_not_b32_e32 v11, v11
	v_ashrrev_i32_e32 v11, 31, v11
	v_xor_b32_e32 v21, s25, v11
	v_xor_b32_e32 v11, s24, v11
	v_cmp_gt_i64_e64 s[24:25], 0, v[12:13]
	v_not_b32_e32 v12, v13
	v_ashrrev_i32_e32 v12, 31, v12
	v_and_b32_e32 v23, v23, v24
	v_and_b32_e32 v11, v22, v11
	v_xor_b32_e32 v13, s25, v12
	v_xor_b32_e32 v12, s24, v12
	v_and_b32_e32 v21, v23, v21
	v_and_b32_e32 v12, v11, v12
	v_and_b32_e32 v13, v21, v13
	v_mbcnt_lo_u32_b32 v11, v12, 0
	v_mbcnt_hi_u32_b32 v21, v13, v11
	v_cmp_eq_u32_e64 s[24:25], 0, v21
	v_cmp_ne_u64_e64 s[26:27], 0, v[12:13]
	s_and_b64 s[26:27], s[26:27], s[24:25]
	; wave barrier
	s_and_saveexec_b64 s[24:25], s[26:27]
	s_cbranch_execz .LBB125_8
; %bb.7:                                ;   in Loop: Header=BB125_4 Depth=2
	v_bcnt_u32_b32 v11, v12, 0
	v_bcnt_u32_b32 v11, v13, v11
	s_waitcnt lgkmcnt(0)
	v_add_u32_e32 v11, v19, v11
	ds_write_b32 v20, v11
.LBB125_8:                              ;   in Loop: Header=BB125_4 Depth=2
	s_or_b64 exec, exec, s[24:25]
	v_lshlrev_b64 v[12:13], s28, v[6:7]
	v_lshrrev_b32_e32 v24, 28, v13
	v_mul_u32_u24_e32 v11, 9, v24
	v_add_lshl_u32 v11, v16, v11, 2
	; wave barrier
	v_add_u32_e32 v23, 32, v11
	ds_read_b32 v22, v11 offset:32
	v_bfe_u32 v11, v13, 28, 1
	v_add_co_u32_e64 v25, s[24:25], -1, v11
	v_addc_co_u32_e64 v26, s[24:25], 0, -1, s[24:25]
	v_cmp_ne_u32_e64 s[24:25], 0, v11
	v_xor_b32_e32 v11, s25, v26
	v_and_b32_e32 v26, exec_hi, v11
	v_lshlrev_b32_e32 v11, 30, v24
	v_xor_b32_e32 v25, s24, v25
	v_cmp_gt_i64_e64 s[24:25], 0, v[10:11]
	v_not_b32_e32 v11, v11
	v_ashrrev_i32_e32 v11, 31, v11
	v_and_b32_e32 v25, exec_lo, v25
	v_xor_b32_e32 v27, s25, v11
	v_xor_b32_e32 v11, s24, v11
	v_and_b32_e32 v25, v25, v11
	v_lshlrev_b32_e32 v11, 29, v24
	v_cmp_gt_i64_e64 s[24:25], 0, v[10:11]
	v_not_b32_e32 v11, v11
	v_ashrrev_i32_e32 v11, 31, v11
	v_xor_b32_e32 v24, s25, v11
	v_xor_b32_e32 v11, s24, v11
	v_cmp_gt_i64_e64 s[24:25], 0, v[12:13]
	v_not_b32_e32 v12, v13
	v_ashrrev_i32_e32 v12, 31, v12
	v_and_b32_e32 v26, v26, v27
	v_and_b32_e32 v11, v25, v11
	v_xor_b32_e32 v13, s25, v12
	v_xor_b32_e32 v12, s24, v12
	v_and_b32_e32 v24, v26, v24
	v_and_b32_e32 v12, v11, v12
	;; [unrolled: 1-line block ×3, first 2 shown]
	v_mbcnt_lo_u32_b32 v11, v12, 0
	v_mbcnt_hi_u32_b32 v24, v13, v11
	v_cmp_eq_u32_e64 s[24:25], 0, v24
	v_cmp_ne_u64_e64 s[26:27], 0, v[12:13]
	s_and_b64 s[26:27], s[26:27], s[24:25]
	; wave barrier
	s_and_saveexec_b64 s[24:25], s[26:27]
	s_cbranch_execz .LBB125_10
; %bb.9:                                ;   in Loop: Header=BB125_4 Depth=2
	v_bcnt_u32_b32 v11, v12, 0
	v_bcnt_u32_b32 v11, v13, v11
	s_waitcnt lgkmcnt(0)
	v_add_u32_e32 v11, v22, v11
	ds_write_b32 v23, v11
.LBB125_10:                             ;   in Loop: Header=BB125_4 Depth=2
	s_or_b64 exec, exec, s[24:25]
	v_lshlrev_b64 v[12:13], s28, v[8:9]
	v_lshrrev_b32_e32 v27, 28, v13
	v_mul_u32_u24_e32 v11, 9, v27
	v_add_lshl_u32 v11, v16, v11, 2
	; wave barrier
	v_add_u32_e32 v26, 32, v11
	ds_read_b32 v25, v11 offset:32
	v_bfe_u32 v11, v13, 28, 1
	v_add_co_u32_e64 v28, s[24:25], -1, v11
	v_addc_co_u32_e64 v29, s[24:25], 0, -1, s[24:25]
	v_cmp_ne_u32_e64 s[24:25], 0, v11
	v_xor_b32_e32 v11, s25, v29
	v_and_b32_e32 v29, exec_hi, v11
	v_lshlrev_b32_e32 v11, 30, v27
	v_xor_b32_e32 v28, s24, v28
	v_cmp_gt_i64_e64 s[24:25], 0, v[10:11]
	v_not_b32_e32 v11, v11
	v_ashrrev_i32_e32 v11, 31, v11
	v_and_b32_e32 v28, exec_lo, v28
	v_xor_b32_e32 v30, s25, v11
	v_xor_b32_e32 v11, s24, v11
	v_and_b32_e32 v28, v28, v11
	v_lshlrev_b32_e32 v11, 29, v27
	v_cmp_gt_i64_e64 s[24:25], 0, v[10:11]
	v_not_b32_e32 v11, v11
	v_ashrrev_i32_e32 v11, 31, v11
	v_xor_b32_e32 v27, s25, v11
	v_xor_b32_e32 v11, s24, v11
	v_cmp_gt_i64_e64 s[24:25], 0, v[12:13]
	v_not_b32_e32 v12, v13
	v_ashrrev_i32_e32 v12, 31, v12
	v_and_b32_e32 v29, v29, v30
	v_and_b32_e32 v11, v28, v11
	v_xor_b32_e32 v13, s25, v12
	v_xor_b32_e32 v12, s24, v12
	v_and_b32_e32 v27, v29, v27
	v_and_b32_e32 v12, v11, v12
	;; [unrolled: 1-line block ×3, first 2 shown]
	v_mbcnt_lo_u32_b32 v11, v12, 0
	v_mbcnt_hi_u32_b32 v11, v13, v11
	v_cmp_eq_u32_e64 s[24:25], 0, v11
	v_cmp_ne_u64_e64 s[26:27], 0, v[12:13]
	s_and_b64 s[26:27], s[26:27], s[24:25]
	; wave barrier
	s_and_saveexec_b64 s[24:25], s[26:27]
	s_cbranch_execz .LBB125_12
; %bb.11:                               ;   in Loop: Header=BB125_4 Depth=2
	v_bcnt_u32_b32 v12, v12, 0
	v_bcnt_u32_b32 v12, v13, v12
	s_waitcnt lgkmcnt(0)
	v_add_u32_e32 v12, v25, v12
	ds_write_b32 v26, v12
.LBB125_12:                             ;   in Loop: Header=BB125_4 Depth=2
	s_or_b64 exec, exec, s[24:25]
	; wave barrier
	s_waitcnt lgkmcnt(0)
	s_barrier
	ds_read_b32 v12, v0 offset:32
	s_waitcnt lgkmcnt(0)
	s_nop 0
	v_mov_b32_dpp v13, v12 row_shr:1 row_mask:0xf bank_mask:0xf
	v_cndmask_b32_e64 v13, v13, 0, s[6:7]
	v_add_u32_e32 v12, v13, v12
	s_nop 1
	v_mov_b32_dpp v13, v12 row_shr:2 row_mask:0xf bank_mask:0xf
	v_cndmask_b32_e64 v13, 0, v13, s[8:9]
	v_add_u32_e32 v12, v12, v13
	;; [unrolled: 4-line block ×4, first 2 shown]
	s_nop 1
	v_mov_b32_dpp v13, v12 row_bcast:15 row_mask:0xf bank_mask:0xf
	v_cndmask_b32_e64 v13, v13, 0, s[14:15]
	v_add_u32_e32 v12, v12, v13
	s_nop 1
	v_mov_b32_dpp v13, v12 row_bcast:31 row_mask:0xf bank_mask:0xf
	v_cndmask_b32_e32 v13, 0, v13, vcc
	v_add_u32_e32 v12, v12, v13
	s_and_saveexec_b64 s[24:25], s[16:17]
	s_xor_b64 s[24:25], exec, s[24:25]
	s_cbranch_execz .LBB125_14
; %bb.13:                               ;   in Loop: Header=BB125_4 Depth=2
	ds_write_b32 v1, v12
.LBB125_14:                             ;   in Loop: Header=BB125_4 Depth=2
	s_or_b64 exec, exec, s[24:25]
	s_waitcnt lgkmcnt(0)
	s_barrier
	s_and_saveexec_b64 s[24:25], s[0:1]
	s_cbranch_execz .LBB125_16
; %bb.15:                               ;   in Loop: Header=BB125_4 Depth=2
	ds_read_b32 v13, v0
	s_waitcnt lgkmcnt(0)
	s_nop 0
	v_mov_b32_dpp v27, v13 row_shr:1 row_mask:0xf bank_mask:0xf
	v_cndmask_b32_e64 v27, v27, 0, s[18:19]
	v_add_u32_e32 v13, v27, v13
	s_nop 1
	v_mov_b32_dpp v27, v13 row_shr:2 row_mask:0xf bank_mask:0xf
	v_cndmask_b32_e64 v27, 0, v27, s[20:21]
	v_add_u32_e32 v13, v13, v27
	;; [unrolled: 4-line block ×3, first 2 shown]
	ds_write_b32 v0, v13
.LBB125_16:                             ;   in Loop: Header=BB125_4 Depth=2
	s_or_b64 exec, exec, s[24:25]
	v_mov_b32_e32 v13, 0
	s_waitcnt lgkmcnt(0)
	s_barrier
	s_and_saveexec_b64 s[24:25], s[2:3]
	s_cbranch_execz .LBB125_3
; %bb.17:                               ;   in Loop: Header=BB125_4 Depth=2
	ds_read_b32 v13, v15
	s_branch .LBB125_3
.LBB125_18:
	ds_read_b32 v2, v26
	ds_read_b32 v4, v23
	;; [unrolled: 1-line block ×4, first 2 shown]
	s_lshl_b64 s[0:1], s[34:35], 2
	s_add_u32 s0, s30, s0
	s_addc_u32 s1, s31, s1
	v_lshlrev_b32_e32 v5, 2, v0
	s_waitcnt lgkmcnt(1)
	v_add3_u32 v1, v21, v19, v1
	s_waitcnt lgkmcnt(0)
	v_add_u32_e32 v0, v3, v18
	v_add3_u32 v3, v11, v25, v2
	v_add3_u32 v2, v24, v22, v4
	global_store_dwordx4 v5, v[0:3], s[0:1]
	s_endpgm
	.section	.rodata,"a",@progbits
	.p2align	6, 0x0
	.amdhsa_kernel _Z11rank_kernelIxLj4ELb0EL18RadixRankAlgorithm2ELj512ELj4ELj10EEvPKT_Pi
		.amdhsa_group_segment_fixed_size 2080
		.amdhsa_private_segment_fixed_size 0
		.amdhsa_kernarg_size 272
		.amdhsa_user_sgpr_count 6
		.amdhsa_user_sgpr_private_segment_buffer 1
		.amdhsa_user_sgpr_dispatch_ptr 0
		.amdhsa_user_sgpr_queue_ptr 0
		.amdhsa_user_sgpr_kernarg_segment_ptr 1
		.amdhsa_user_sgpr_dispatch_id 0
		.amdhsa_user_sgpr_flat_scratch_init 0
		.amdhsa_user_sgpr_kernarg_preload_length 0
		.amdhsa_user_sgpr_kernarg_preload_offset 0
		.amdhsa_user_sgpr_private_segment_size 0
		.amdhsa_uses_dynamic_stack 0
		.amdhsa_system_sgpr_private_segment_wavefront_offset 0
		.amdhsa_system_sgpr_workgroup_id_x 1
		.amdhsa_system_sgpr_workgroup_id_y 0
		.amdhsa_system_sgpr_workgroup_id_z 0
		.amdhsa_system_sgpr_workgroup_info 0
		.amdhsa_system_vgpr_workitem_id 2
		.amdhsa_next_free_vgpr 31
		.amdhsa_next_free_sgpr 37
		.amdhsa_accum_offset 32
		.amdhsa_reserve_vcc 1
		.amdhsa_reserve_flat_scratch 0
		.amdhsa_float_round_mode_32 0
		.amdhsa_float_round_mode_16_64 0
		.amdhsa_float_denorm_mode_32 3
		.amdhsa_float_denorm_mode_16_64 3
		.amdhsa_dx10_clamp 1
		.amdhsa_ieee_mode 1
		.amdhsa_fp16_overflow 0
		.amdhsa_tg_split 0
		.amdhsa_exception_fp_ieee_invalid_op 0
		.amdhsa_exception_fp_denorm_src 0
		.amdhsa_exception_fp_ieee_div_zero 0
		.amdhsa_exception_fp_ieee_overflow 0
		.amdhsa_exception_fp_ieee_underflow 0
		.amdhsa_exception_fp_ieee_inexact 0
		.amdhsa_exception_int_div_zero 0
	.end_amdhsa_kernel
	.section	.text._Z11rank_kernelIxLj4ELb0EL18RadixRankAlgorithm2ELj512ELj4ELj10EEvPKT_Pi,"axG",@progbits,_Z11rank_kernelIxLj4ELb0EL18RadixRankAlgorithm2ELj512ELj4ELj10EEvPKT_Pi,comdat
.Lfunc_end125:
	.size	_Z11rank_kernelIxLj4ELb0EL18RadixRankAlgorithm2ELj512ELj4ELj10EEvPKT_Pi, .Lfunc_end125-_Z11rank_kernelIxLj4ELb0EL18RadixRankAlgorithm2ELj512ELj4ELj10EEvPKT_Pi
                                        ; -- End function
	.section	.AMDGPU.csdata,"",@progbits
; Kernel info:
; codeLenInByte = 1936
; NumSgprs: 41
; NumVgprs: 31
; NumAgprs: 0
; TotalNumVgprs: 31
; ScratchSize: 0
; MemoryBound: 0
; FloatMode: 240
; IeeeMode: 1
; LDSByteSize: 2080 bytes/workgroup (compile time only)
; SGPRBlocks: 5
; VGPRBlocks: 3
; NumSGPRsForWavesPerEU: 41
; NumVGPRsForWavesPerEU: 31
; AccumOffset: 32
; Occupancy: 8
; WaveLimiterHint : 0
; COMPUTE_PGM_RSRC2:SCRATCH_EN: 0
; COMPUTE_PGM_RSRC2:USER_SGPR: 6
; COMPUTE_PGM_RSRC2:TRAP_HANDLER: 0
; COMPUTE_PGM_RSRC2:TGID_X_EN: 1
; COMPUTE_PGM_RSRC2:TGID_Y_EN: 0
; COMPUTE_PGM_RSRC2:TGID_Z_EN: 0
; COMPUTE_PGM_RSRC2:TIDIG_COMP_CNT: 2
; COMPUTE_PGM_RSRC3_GFX90A:ACCUM_OFFSET: 7
; COMPUTE_PGM_RSRC3_GFX90A:TG_SPLIT: 0
	.section	.text._Z11rank_kernelIxLj4ELb0EL18RadixRankAlgorithm0ELj512ELj8ELj10EEvPKT_Pi,"axG",@progbits,_Z11rank_kernelIxLj4ELb0EL18RadixRankAlgorithm0ELj512ELj8ELj10EEvPKT_Pi,comdat
	.protected	_Z11rank_kernelIxLj4ELb0EL18RadixRankAlgorithm0ELj512ELj8ELj10EEvPKT_Pi ; -- Begin function _Z11rank_kernelIxLj4ELb0EL18RadixRankAlgorithm0ELj512ELj8ELj10EEvPKT_Pi
	.globl	_Z11rank_kernelIxLj4ELb0EL18RadixRankAlgorithm0ELj512ELj8ELj10EEvPKT_Pi
	.p2align	8
	.type	_Z11rank_kernelIxLj4ELb0EL18RadixRankAlgorithm0ELj512ELj8ELj10EEvPKT_Pi,@function
_Z11rank_kernelIxLj4ELb0EL18RadixRankAlgorithm0ELj512ELj8ELj10EEvPKT_Pi: ; @_Z11rank_kernelIxLj4ELb0EL18RadixRankAlgorithm0ELj512ELj8ELj10EEvPKT_Pi
; %bb.0:
	s_load_dwordx4 s[24:27], s[4:5], 0x0
	s_lshl_b32 s28, s6, 12
	s_mov_b32 s29, 0
	s_lshl_b64 s[0:1], s[28:29], 3
	v_lshlrev_b32_e32 v1, 6, v0
	s_waitcnt lgkmcnt(0)
	s_add_u32 s0, s24, s0
	s_addc_u32 s1, s25, s1
	global_load_dwordx4 v[2:5], v1, s[0:1]
	global_load_dwordx4 v[6:9], v1, s[0:1] offset:16
	global_load_dwordx4 v[10:13], v1, s[0:1] offset:32
	;; [unrolled: 1-line block ×3, first 2 shown]
	v_mbcnt_lo_u32_b32 v20, -1, 0
	v_mbcnt_hi_u32_b32 v29, -1, v20
	v_add_u32_e32 v32, -1, v29
	v_and_b32_e32 v33, 64, v29
	v_cmp_lt_i32_e64 s[18:19], v32, v33
	v_or_b32_e32 v21, 63, v0
	v_lshrrev_b32_e32 v22, 4, v0
	v_lshlrev_b32_e32 v20, 2, v0
	v_and_b32_e32 v30, 15, v29
	v_and_b32_e32 v31, 16, v29
	v_cmp_lt_u32_e64 s[2:3], 31, v29
	v_cmp_eq_u32_e64 s[6:7], 0, v29
	v_and_b32_e32 v34, 7, v29
	v_cndmask_b32_e64 v29, v32, v29, s[18:19]
	v_mov_b32_e32 v1, 0
	s_mov_b64 s[24:25], -1
	s_movk_i32 s33, 0xe00
	v_lshlrev_b32_e32 v18, 3, v0
	v_lshlrev_b32_e32 v19, 5, v0
	v_cmp_gt_u32_e32 vcc, 8, v0
	v_cmp_lt_u32_e64 s[0:1], 63, v0
	v_cmp_eq_u32_e64 s[4:5], v21, v0
	v_and_b32_e32 v21, 28, v22
	v_or_b32_e32 v22, 0x800, v20
	v_or_b32_e32 v23, 0x1000, v20
	;; [unrolled: 1-line block ×7, first 2 shown]
	v_cmp_eq_u32_e64 s[8:9], 0, v30
	v_cmp_lt_u32_e64 s[10:11], 1, v30
	v_cmp_lt_u32_e64 s[12:13], 3, v30
	v_cmp_lt_u32_e64 s[14:15], 7, v30
	v_cmp_eq_u32_e64 s[16:17], 0, v31
	v_cmp_eq_u32_e64 s[18:19], 0, v34
	v_cmp_lt_u32_e64 s[20:21], 1, v34
	v_cmp_lt_u32_e64 s[22:23], 3, v34
	v_lshlrev_b32_e32 v29, 2, v29
	s_mov_b32 s36, s29
	s_waitcnt vmcnt(3)
	v_xor_b32_e32 v3, 0x80000000, v3
	v_xor_b32_e32 v5, 0x80000000, v5
	s_waitcnt vmcnt(2)
	v_xor_b32_e32 v7, 0x80000000, v7
	v_xor_b32_e32 v9, 0x80000000, v9
	;; [unrolled: 3-line block ×4, first 2 shown]
	s_branch .LBB126_2
.LBB126_1:                              ;   in Loop: Header=BB126_2 Depth=1
	s_add_i32 s36, s36, 1
	s_cmp_eq_u32 s36, 10
	s_cbranch_scc1 .LBB126_18
.LBB126_2:                              ; =>This Loop Header: Depth=1
                                        ;     Child Loop BB126_4 Depth 2
	s_mov_b32 s37, -4
	s_mov_b64 s[30:31], 60
	s_branch .LBB126_4
.LBB126_3:                              ;   in Loop: Header=BB126_4 Depth=2
	s_or_b64 exec, exec, s[34:35]
	s_waitcnt lgkmcnt(0)
	v_add_u32_e32 v46, v47, v46
	ds_bpermute_b32 v46, v29, v46
	ds_read_b32 v48, v1 offset:16412
	s_add_i32 s37, s37, 4
	s_add_u32 s30, s30, -4
	s_addc_u32 s31, s31, -1
	s_waitcnt lgkmcnt(1)
	v_cndmask_b32_e64 v49, v46, v47, s[6:7]
	ds_read2_b32 v[46:47], v19 offset1:1
	s_waitcnt lgkmcnt(1)
	v_lshl_add_u32 v52, v48, 16, v49
	ds_read2_b32 v[48:49], v19 offset0:2 offset1:3
	ds_read2_b32 v[50:51], v19 offset0:4 offset1:5
	ds_read_b32 v53, v19 offset:24
	s_cmp_lt_u32 s37, 60
	s_waitcnt lgkmcnt(3)
	v_add_u32_e32 v46, v52, v46
	ds_write2_b32 v19, v52, v46 offset1:1
	v_add_u32_e32 v46, v47, v46
	s_waitcnt lgkmcnt(3)
	v_add_u32_e32 v47, v48, v46
	ds_write2_b32 v19, v46, v47 offset0:2 offset1:3
	v_add_u32_e32 v46, v49, v47
	s_waitcnt lgkmcnt(3)
	v_add_u32_e32 v47, v50, v46
	ds_write2_b32 v19, v46, v47 offset0:4 offset1:5
	;; [unrolled: 4-line block ×3, first 2 shown]
	s_waitcnt lgkmcnt(0)
	s_barrier
	s_cbranch_scc0 .LBB126_1
.LBB126_4:                              ;   Parent Loop BB126_2 Depth=1
                                        ; =>  This Inner Loop Header: Depth=2
	ds_write_b32 v20, v1
	ds_write_b32 v22, v1
	;; [unrolled: 1-line block ×4, first 2 shown]
	s_and_saveexec_b64 s[34:35], s[24:25]
	s_cbranch_execnz .LBB126_15
; %bb.5:                                ;   in Loop: Header=BB126_4 Depth=2
	s_or_b64 exec, exec, s[34:35]
	s_and_saveexec_b64 s[34:35], s[24:25]
	s_cbranch_execnz .LBB126_16
.LBB126_6:                              ;   in Loop: Header=BB126_4 Depth=2
	s_or_b64 exec, exec, s[34:35]
	s_and_saveexec_b64 s[34:35], s[24:25]
	s_cbranch_execnz .LBB126_17
.LBB126_7:                              ;   in Loop: Header=BB126_4 Depth=2
	s_or_b64 exec, exec, s[34:35]
	s_and_saveexec_b64 s[34:35], s[24:25]
	s_cbranch_execz .LBB126_9
.LBB126_8:                              ;   in Loop: Header=BB126_4 Depth=2
	ds_write_b32 v28, v1
.LBB126_9:                              ;   in Loop: Header=BB126_4 Depth=2
	s_or_b64 exec, exec, s[34:35]
	v_lshlrev_b64 v[30:31], s30, v[2:3]
	v_lshrrev_b32_e32 v30, 19, v31
	v_lshrrev_b32_e32 v31, 30, v31
	v_and_or_b32 v30, v30, s33, v0
	v_and_b32_e32 v31, 2, v31
	v_lshl_or_b32 v31, v30, 2, v31
	ds_read_u16 v30, v31
	v_lshlrev_b64 v[32:33], s30, v[4:5]
	v_lshrrev_b32_e32 v32, 19, v33
	v_lshrrev_b32_e32 v33, 30, v33
	v_and_or_b32 v32, v32, s33, v0
	s_waitcnt lgkmcnt(0)
	v_add_u16_e32 v34, 1, v30
	v_and_b32_e32 v33, 2, v33
	ds_write_b16 v31, v34
	v_lshl_or_b32 v33, v32, 2, v33
	ds_read_u16 v32, v33
	v_lshlrev_b64 v[40:41], s30, v[10:11]
	v_lshrrev_b32_e32 v39, 30, v41
	v_and_b32_e32 v39, 2, v39
	s_waitcnt lgkmcnt(0)
	v_add_u16_e32 v34, 1, v32
	ds_write_b16 v33, v34
	v_lshlrev_b64 v[34:35], s30, v[6:7]
	v_lshrrev_b32_e32 v34, 19, v35
	v_lshrrev_b32_e32 v35, 30, v35
	v_and_or_b32 v34, v34, s33, v0
	v_and_b32_e32 v35, 2, v35
	v_lshl_or_b32 v35, v34, 2, v35
	ds_read_u16 v34, v35
	s_waitcnt lgkmcnt(0)
	v_add_u16_e32 v36, 1, v34
	ds_write_b16 v35, v36
	v_lshlrev_b64 v[36:37], s30, v[8:9]
	v_lshrrev_b32_e32 v36, 19, v37
	v_lshrrev_b32_e32 v37, 30, v37
	v_and_or_b32 v36, v36, s33, v0
	v_and_b32_e32 v37, 2, v37
	v_lshl_or_b32 v38, v36, 2, v37
	ds_read_u16 v36, v38
	s_waitcnt lgkmcnt(0)
	v_add_u16_e32 v37, 1, v36
	ds_write_b16 v38, v37
	v_lshrrev_b32_e32 v37, 19, v41
	v_and_or_b32 v37, v37, s33, v0
	v_lshl_or_b32 v39, v37, 2, v39
	ds_read_u16 v37, v39
	s_waitcnt lgkmcnt(0)
	v_add_u16_e32 v40, 1, v37
	ds_write_b16 v39, v40
	v_lshlrev_b64 v[40:41], s30, v[12:13]
	v_lshrrev_b32_e32 v40, 19, v41
	v_lshrrev_b32_e32 v41, 30, v41
	v_and_or_b32 v40, v40, s33, v0
	v_and_b32_e32 v41, 2, v41
	v_lshl_or_b32 v41, v40, 2, v41
	ds_read_u16 v40, v41
	s_waitcnt lgkmcnt(0)
	v_add_u16_e32 v42, 1, v40
	ds_write_b16 v41, v42
	v_lshlrev_b64 v[42:43], s30, v[14:15]
	v_lshrrev_b32_e32 v42, 19, v43
	v_lshrrev_b32_e32 v43, 30, v43
	v_and_or_b32 v42, v42, s33, v0
	v_and_b32_e32 v43, 2, v43
	;; [unrolled: 10-line block ×3, first 2 shown]
	v_lshl_or_b32 v45, v44, 2, v45
	ds_read_u16 v44, v45
	s_waitcnt lgkmcnt(0)
	v_add_u16_e32 v46, 1, v44
	ds_write_b16 v45, v46
	s_waitcnt lgkmcnt(0)
	s_barrier
	ds_read2_b32 v[46:47], v19 offset1:1
	ds_read2_b32 v[48:49], v19 offset0:2 offset1:3
	ds_read2_b32 v[50:51], v19 offset0:4 offset1:5
	;; [unrolled: 1-line block ×3, first 2 shown]
	s_waitcnt lgkmcnt(3)
	v_add_u32_e32 v46, v47, v46
	s_waitcnt lgkmcnt(2)
	v_add3_u32 v46, v46, v48, v49
	s_waitcnt lgkmcnt(1)
	v_add3_u32 v46, v46, v50, v51
	;; [unrolled: 2-line block ×3, first 2 shown]
	s_nop 1
	v_mov_b32_dpp v47, v46 row_shr:1 row_mask:0xf bank_mask:0xf
	v_cndmask_b32_e64 v47, v47, 0, s[8:9]
	v_add_u32_e32 v46, v47, v46
	s_nop 1
	v_mov_b32_dpp v47, v46 row_shr:2 row_mask:0xf bank_mask:0xf
	v_cndmask_b32_e64 v47, 0, v47, s[10:11]
	v_add_u32_e32 v46, v46, v47
	;; [unrolled: 4-line block ×4, first 2 shown]
	s_nop 1
	v_mov_b32_dpp v47, v46 row_bcast:15 row_mask:0xf bank_mask:0xf
	v_cndmask_b32_e64 v47, v47, 0, s[16:17]
	v_add_u32_e32 v46, v46, v47
	s_nop 1
	v_mov_b32_dpp v47, v46 row_bcast:31 row_mask:0xf bank_mask:0xf
	v_cndmask_b32_e64 v47, 0, v47, s[2:3]
	v_add_u32_e32 v46, v46, v47
	s_and_saveexec_b64 s[34:35], s[4:5]
	s_cbranch_execz .LBB126_11
; %bb.10:                               ;   in Loop: Header=BB126_4 Depth=2
	ds_write_b32 v21, v46 offset:16384
.LBB126_11:                             ;   in Loop: Header=BB126_4 Depth=2
	s_or_b64 exec, exec, s[34:35]
	s_waitcnt lgkmcnt(0)
	s_barrier
	s_and_saveexec_b64 s[34:35], vcc
	s_cbranch_execz .LBB126_13
; %bb.12:                               ;   in Loop: Header=BB126_4 Depth=2
	ds_read_b32 v47, v20 offset:16384
	s_waitcnt lgkmcnt(0)
	s_nop 0
	v_mov_b32_dpp v48, v47 row_shr:1 row_mask:0xf bank_mask:0xf
	v_cndmask_b32_e64 v48, v48, 0, s[18:19]
	v_add_u32_e32 v47, v48, v47
	s_nop 1
	v_mov_b32_dpp v48, v47 row_shr:2 row_mask:0xf bank_mask:0xf
	v_cndmask_b32_e64 v48, 0, v48, s[20:21]
	v_add_u32_e32 v47, v47, v48
	;; [unrolled: 4-line block ×3, first 2 shown]
	ds_write_b32 v20, v47 offset:16384
.LBB126_13:                             ;   in Loop: Header=BB126_4 Depth=2
	s_or_b64 exec, exec, s[34:35]
	v_mov_b32_e32 v47, 0
	s_waitcnt lgkmcnt(0)
	s_barrier
	s_and_saveexec_b64 s[34:35], s[0:1]
	s_cbranch_execz .LBB126_3
; %bb.14:                               ;   in Loop: Header=BB126_4 Depth=2
	ds_read_b32 v47, v21 offset:16380
	s_branch .LBB126_3
.LBB126_15:                             ;   in Loop: Header=BB126_4 Depth=2
	ds_write_b32 v25, v1
	s_or_b64 exec, exec, s[34:35]
	s_and_saveexec_b64 s[34:35], s[24:25]
	s_cbranch_execz .LBB126_6
.LBB126_16:                             ;   in Loop: Header=BB126_4 Depth=2
	ds_write_b32 v26, v1
	s_or_b64 exec, exec, s[34:35]
	s_and_saveexec_b64 s[34:35], s[24:25]
	s_cbranch_execz .LBB126_7
.LBB126_17:                             ;   in Loop: Header=BB126_4 Depth=2
	ds_write_b32 v27, v1
	s_or_b64 exec, exec, s[34:35]
	s_and_saveexec_b64 s[34:35], s[24:25]
	s_cbranch_execnz .LBB126_8
	s_branch .LBB126_9
.LBB126_18:
	ds_read_u16 v3, v38
	ds_read_u16 v2, v35
	;; [unrolled: 1-line block ×8, first 2 shown]
	s_lshl_b64 s[0:1], s[28:29], 2
	s_add_u32 s0, s26, s0
	s_waitcnt lgkmcnt(4)
	v_add_u32_sdwa v0, v0, v30 dst_sel:DWORD dst_unused:UNUSED_PAD src0_sel:DWORD src1_sel:WORD_0
	v_add_u32_sdwa v1, v1, v32 dst_sel:DWORD dst_unused:UNUSED_PAD src0_sel:DWORD src1_sel:WORD_0
	;; [unrolled: 1-line block ×4, first 2 shown]
	s_addc_u32 s1, s27, s1
	v_lshlrev_b32_e32 v8, 2, v18
	s_waitcnt lgkmcnt(0)
	v_add_u32_sdwa v4, v4, v37 dst_sel:DWORD dst_unused:UNUSED_PAD src0_sel:DWORD src1_sel:WORD_0
	v_add_u32_sdwa v5, v5, v40 dst_sel:DWORD dst_unused:UNUSED_PAD src0_sel:DWORD src1_sel:WORD_0
	;; [unrolled: 1-line block ×4, first 2 shown]
	global_store_dwordx4 v8, v[0:3], s[0:1]
	global_store_dwordx4 v8, v[4:7], s[0:1] offset:16
	s_endpgm
	.section	.rodata,"a",@progbits
	.p2align	6, 0x0
	.amdhsa_kernel _Z11rank_kernelIxLj4ELb0EL18RadixRankAlgorithm0ELj512ELj8ELj10EEvPKT_Pi
		.amdhsa_group_segment_fixed_size 16416
		.amdhsa_private_segment_fixed_size 0
		.amdhsa_kernarg_size 16
		.amdhsa_user_sgpr_count 6
		.amdhsa_user_sgpr_private_segment_buffer 1
		.amdhsa_user_sgpr_dispatch_ptr 0
		.amdhsa_user_sgpr_queue_ptr 0
		.amdhsa_user_sgpr_kernarg_segment_ptr 1
		.amdhsa_user_sgpr_dispatch_id 0
		.amdhsa_user_sgpr_flat_scratch_init 0
		.amdhsa_user_sgpr_kernarg_preload_length 0
		.amdhsa_user_sgpr_kernarg_preload_offset 0
		.amdhsa_user_sgpr_private_segment_size 0
		.amdhsa_uses_dynamic_stack 0
		.amdhsa_system_sgpr_private_segment_wavefront_offset 0
		.amdhsa_system_sgpr_workgroup_id_x 1
		.amdhsa_system_sgpr_workgroup_id_y 0
		.amdhsa_system_sgpr_workgroup_id_z 0
		.amdhsa_system_sgpr_workgroup_info 0
		.amdhsa_system_vgpr_workitem_id 0
		.amdhsa_next_free_vgpr 54
		.amdhsa_next_free_sgpr 38
		.amdhsa_accum_offset 56
		.amdhsa_reserve_vcc 1
		.amdhsa_reserve_flat_scratch 0
		.amdhsa_float_round_mode_32 0
		.amdhsa_float_round_mode_16_64 0
		.amdhsa_float_denorm_mode_32 3
		.amdhsa_float_denorm_mode_16_64 3
		.amdhsa_dx10_clamp 1
		.amdhsa_ieee_mode 1
		.amdhsa_fp16_overflow 0
		.amdhsa_tg_split 0
		.amdhsa_exception_fp_ieee_invalid_op 0
		.amdhsa_exception_fp_denorm_src 0
		.amdhsa_exception_fp_ieee_div_zero 0
		.amdhsa_exception_fp_ieee_overflow 0
		.amdhsa_exception_fp_ieee_underflow 0
		.amdhsa_exception_fp_ieee_inexact 0
		.amdhsa_exception_int_div_zero 0
	.end_amdhsa_kernel
	.section	.text._Z11rank_kernelIxLj4ELb0EL18RadixRankAlgorithm0ELj512ELj8ELj10EEvPKT_Pi,"axG",@progbits,_Z11rank_kernelIxLj4ELb0EL18RadixRankAlgorithm0ELj512ELj8ELj10EEvPKT_Pi,comdat
.Lfunc_end126:
	.size	_Z11rank_kernelIxLj4ELb0EL18RadixRankAlgorithm0ELj512ELj8ELj10EEvPKT_Pi, .Lfunc_end126-_Z11rank_kernelIxLj4ELb0EL18RadixRankAlgorithm0ELj512ELj8ELj10EEvPKT_Pi
                                        ; -- End function
	.section	.AMDGPU.csdata,"",@progbits
; Kernel info:
; codeLenInByte = 1812
; NumSgprs: 42
; NumVgprs: 54
; NumAgprs: 0
; TotalNumVgprs: 54
; ScratchSize: 0
; MemoryBound: 0
; FloatMode: 240
; IeeeMode: 1
; LDSByteSize: 16416 bytes/workgroup (compile time only)
; SGPRBlocks: 5
; VGPRBlocks: 6
; NumSGPRsForWavesPerEU: 42
; NumVGPRsForWavesPerEU: 54
; AccumOffset: 56
; Occupancy: 6
; WaveLimiterHint : 0
; COMPUTE_PGM_RSRC2:SCRATCH_EN: 0
; COMPUTE_PGM_RSRC2:USER_SGPR: 6
; COMPUTE_PGM_RSRC2:TRAP_HANDLER: 0
; COMPUTE_PGM_RSRC2:TGID_X_EN: 1
; COMPUTE_PGM_RSRC2:TGID_Y_EN: 0
; COMPUTE_PGM_RSRC2:TGID_Z_EN: 0
; COMPUTE_PGM_RSRC2:TIDIG_COMP_CNT: 0
; COMPUTE_PGM_RSRC3_GFX90A:ACCUM_OFFSET: 13
; COMPUTE_PGM_RSRC3_GFX90A:TG_SPLIT: 0
	.section	.text._Z11rank_kernelIxLj4ELb0EL18RadixRankAlgorithm1ELj512ELj8ELj10EEvPKT_Pi,"axG",@progbits,_Z11rank_kernelIxLj4ELb0EL18RadixRankAlgorithm1ELj512ELj8ELj10EEvPKT_Pi,comdat
	.protected	_Z11rank_kernelIxLj4ELb0EL18RadixRankAlgorithm1ELj512ELj8ELj10EEvPKT_Pi ; -- Begin function _Z11rank_kernelIxLj4ELb0EL18RadixRankAlgorithm1ELj512ELj8ELj10EEvPKT_Pi
	.globl	_Z11rank_kernelIxLj4ELb0EL18RadixRankAlgorithm1ELj512ELj8ELj10EEvPKT_Pi
	.p2align	8
	.type	_Z11rank_kernelIxLj4ELb0EL18RadixRankAlgorithm1ELj512ELj8ELj10EEvPKT_Pi,@function
_Z11rank_kernelIxLj4ELb0EL18RadixRankAlgorithm1ELj512ELj8ELj10EEvPKT_Pi: ; @_Z11rank_kernelIxLj4ELb0EL18RadixRankAlgorithm1ELj512ELj8ELj10EEvPKT_Pi
; %bb.0:
	s_load_dwordx4 s[24:27], s[4:5], 0x0
	s_lshl_b32 s28, s6, 12
	s_mov_b32 s29, 0
	s_lshl_b64 s[0:1], s[28:29], 3
	v_lshlrev_b32_e32 v1, 6, v0
	s_waitcnt lgkmcnt(0)
	s_add_u32 s0, s24, s0
	s_addc_u32 s1, s25, s1
	global_load_dwordx4 v[2:5], v1, s[0:1]
	global_load_dwordx4 v[6:9], v1, s[0:1] offset:16
	global_load_dwordx4 v[10:13], v1, s[0:1] offset:32
	;; [unrolled: 1-line block ×3, first 2 shown]
	v_mbcnt_lo_u32_b32 v20, -1, 0
	v_mbcnt_hi_u32_b32 v20, -1, v20
	v_or_b32_e32 v21, 63, v0
	v_cmp_eq_u32_e64 s[4:5], v21, v0
	v_add_u32_e32 v21, -1, v20
	v_and_b32_e32 v25, 64, v20
	v_lshrrev_b32_e32 v22, 4, v0
	v_cmp_lt_i32_e64 s[18:19], v21, v25
	v_lshlrev_b32_e32 v28, 2, v0
	v_and_b32_e32 v23, 15, v20
	v_and_b32_e32 v24, 16, v20
	v_cmp_lt_u32_e64 s[2:3], 31, v20
	v_cmp_eq_u32_e64 s[6:7], 0, v20
	v_and_b32_e32 v29, 28, v22
	v_and_b32_e32 v22, 7, v20
	v_cndmask_b32_e64 v20, v21, v20, s[18:19]
	v_mov_b32_e32 v1, 0
	s_mov_b64 s[24:25], -1
	s_movk_i32 s33, 0xe00
	v_lshlrev_b32_e32 v18, 3, v0
	v_lshlrev_b32_e32 v19, 5, v0
	v_cmp_gt_u32_e32 vcc, 8, v0
	v_cmp_lt_u32_e64 s[0:1], 63, v0
	v_or_b32_e32 v30, 0x800, v28
	v_or_b32_e32 v31, 0x1000, v28
	;; [unrolled: 1-line block ×7, first 2 shown]
	v_cmp_eq_u32_e64 s[8:9], 0, v23
	v_cmp_lt_u32_e64 s[10:11], 1, v23
	v_cmp_lt_u32_e64 s[12:13], 3, v23
	;; [unrolled: 1-line block ×3, first 2 shown]
	v_cmp_eq_u32_e64 s[16:17], 0, v24
	v_cmp_eq_u32_e64 s[18:19], 0, v22
	v_cmp_lt_u32_e64 s[20:21], 1, v22
	v_cmp_lt_u32_e64 s[22:23], 3, v22
	v_lshlrev_b32_e32 v37, 2, v20
	s_mov_b32 s36, s29
	s_waitcnt vmcnt(3)
	v_xor_b32_e32 v3, 0x80000000, v3
	v_xor_b32_e32 v5, 0x80000000, v5
	s_waitcnt vmcnt(2)
	v_xor_b32_e32 v7, 0x80000000, v7
	v_xor_b32_e32 v9, 0x80000000, v9
	;; [unrolled: 3-line block ×4, first 2 shown]
	s_branch .LBB127_2
.LBB127_1:                              ;   in Loop: Header=BB127_2 Depth=1
	s_add_i32 s36, s36, 1
	s_cmp_eq_u32 s36, 10
	s_cbranch_scc1 .LBB127_18
.LBB127_2:                              ; =>This Loop Header: Depth=1
                                        ;     Child Loop BB127_4 Depth 2
	s_mov_b32 s37, -4
	s_mov_b64 s[30:31], 60
	s_branch .LBB127_4
.LBB127_3:                              ;   in Loop: Header=BB127_4 Depth=2
	s_or_b64 exec, exec, s[34:35]
	s_waitcnt lgkmcnt(0)
	v_add_u32_e32 v21, v54, v21
	ds_bpermute_b32 v21, v37, v21
	ds_read_b32 v55, v1 offset:16412
	s_add_i32 s37, s37, 4
	s_add_u32 s30, s30, -4
	s_addc_u32 s31, s31, -1
	s_waitcnt lgkmcnt(1)
	v_cndmask_b32_e64 v21, v21, v54, s[6:7]
	s_waitcnt lgkmcnt(0)
	v_lshl_add_u32 v21, v55, 16, v21
	v_add_u32_e32 v26, v21, v26
	v_add_u32_e32 v27, v26, v27
	ds_write2_b32 v19, v21, v26 offset1:1
	v_add_u32_e32 v21, v27, v24
	v_add_u32_e32 v24, v21, v25
	ds_write2_b32 v19, v27, v21 offset0:2 offset1:3
	v_add_u32_e32 v21, v24, v22
	v_add_u32_e32 v22, v21, v23
	;; [unrolled: 1-line block ×3, first 2 shown]
	s_cmp_lt_u32 s37, 60
	ds_write2_b32 v19, v24, v21 offset0:4 offset1:5
	ds_write2_b32 v19, v22, v20 offset0:6 offset1:7
	s_waitcnt lgkmcnt(0)
	s_barrier
	s_cbranch_scc0 .LBB127_1
.LBB127_4:                              ;   Parent Loop BB127_2 Depth=1
                                        ; =>  This Inner Loop Header: Depth=2
	ds_write_b32 v28, v1
	ds_write_b32 v30, v1
	;; [unrolled: 1-line block ×4, first 2 shown]
	s_and_saveexec_b64 s[34:35], s[24:25]
	s_cbranch_execnz .LBB127_15
; %bb.5:                                ;   in Loop: Header=BB127_4 Depth=2
	s_or_b64 exec, exec, s[34:35]
	s_and_saveexec_b64 s[34:35], s[24:25]
	s_cbranch_execnz .LBB127_16
.LBB127_6:                              ;   in Loop: Header=BB127_4 Depth=2
	s_or_b64 exec, exec, s[34:35]
	s_and_saveexec_b64 s[34:35], s[24:25]
	s_cbranch_execnz .LBB127_17
.LBB127_7:                              ;   in Loop: Header=BB127_4 Depth=2
	s_or_b64 exec, exec, s[34:35]
	s_and_saveexec_b64 s[34:35], s[24:25]
	s_cbranch_execz .LBB127_9
.LBB127_8:                              ;   in Loop: Header=BB127_4 Depth=2
	ds_write_b32 v36, v1
.LBB127_9:                              ;   in Loop: Header=BB127_4 Depth=2
	s_or_b64 exec, exec, s[34:35]
	v_lshlrev_b64 v[20:21], s30, v[2:3]
	v_lshrrev_b32_e32 v20, 19, v21
	v_lshrrev_b32_e32 v21, 30, v21
	v_and_or_b32 v20, v20, s33, v0
	v_and_b32_e32 v21, 2, v21
	v_lshl_or_b32 v39, v20, 2, v21
	ds_read_u16 v38, v39
	v_lshlrev_b64 v[20:21], s30, v[4:5]
	v_lshrrev_b32_e32 v20, 19, v21
	v_lshrrev_b32_e32 v21, 30, v21
	v_and_or_b32 v20, v20, s33, v0
	s_waitcnt lgkmcnt(0)
	v_add_u16_e32 v22, 1, v38
	v_and_b32_e32 v21, 2, v21
	ds_write_b16 v39, v22
	v_lshl_or_b32 v41, v20, 2, v21
	ds_read_u16 v40, v41
	s_waitcnt lgkmcnt(0)
	v_add_u16_e32 v20, 1, v40
	ds_write_b16 v41, v20
	v_lshlrev_b64 v[20:21], s30, v[6:7]
	v_lshrrev_b32_e32 v20, 19, v21
	v_lshrrev_b32_e32 v21, 30, v21
	v_and_or_b32 v20, v20, s33, v0
	v_and_b32_e32 v21, 2, v21
	v_lshl_or_b32 v43, v20, 2, v21
	ds_read_u16 v42, v43
	s_waitcnt lgkmcnt(0)
	v_add_u16_e32 v20, 1, v42
	ds_write_b16 v43, v20
	v_lshlrev_b64 v[20:21], s30, v[8:9]
	v_lshrrev_b32_e32 v20, 19, v21
	v_lshrrev_b32_e32 v21, 30, v21
	v_and_or_b32 v20, v20, s33, v0
	v_and_b32_e32 v21, 2, v21
	;; [unrolled: 10-line block ×6, first 2 shown]
	v_lshl_or_b32 v53, v20, 2, v21
	ds_read_u16 v52, v53
	s_waitcnt lgkmcnt(0)
	v_add_u16_e32 v20, 1, v52
	ds_write_b16 v53, v20
	s_waitcnt lgkmcnt(0)
	s_barrier
	ds_read2_b32 v[26:27], v19 offset1:1
	ds_read2_b32 v[24:25], v19 offset0:2 offset1:3
	ds_read2_b32 v[22:23], v19 offset0:4 offset1:5
	;; [unrolled: 1-line block ×3, first 2 shown]
	s_waitcnt lgkmcnt(3)
	v_add_u32_e32 v54, v27, v26
	s_waitcnt lgkmcnt(2)
	v_add3_u32 v54, v54, v24, v25
	s_waitcnt lgkmcnt(1)
	v_add3_u32 v54, v54, v22, v23
	;; [unrolled: 2-line block ×3, first 2 shown]
	s_nop 1
	v_mov_b32_dpp v54, v21 row_shr:1 row_mask:0xf bank_mask:0xf
	v_cndmask_b32_e64 v54, v54, 0, s[8:9]
	v_add_u32_e32 v21, v54, v21
	s_nop 1
	v_mov_b32_dpp v54, v21 row_shr:2 row_mask:0xf bank_mask:0xf
	v_cndmask_b32_e64 v54, 0, v54, s[10:11]
	v_add_u32_e32 v21, v21, v54
	;; [unrolled: 4-line block ×4, first 2 shown]
	s_nop 1
	v_mov_b32_dpp v54, v21 row_bcast:15 row_mask:0xf bank_mask:0xf
	v_cndmask_b32_e64 v54, v54, 0, s[16:17]
	v_add_u32_e32 v21, v21, v54
	s_nop 1
	v_mov_b32_dpp v54, v21 row_bcast:31 row_mask:0xf bank_mask:0xf
	v_cndmask_b32_e64 v54, 0, v54, s[2:3]
	v_add_u32_e32 v21, v21, v54
	s_and_saveexec_b64 s[34:35], s[4:5]
	s_cbranch_execz .LBB127_11
; %bb.10:                               ;   in Loop: Header=BB127_4 Depth=2
	ds_write_b32 v29, v21 offset:16384
.LBB127_11:                             ;   in Loop: Header=BB127_4 Depth=2
	s_or_b64 exec, exec, s[34:35]
	s_waitcnt lgkmcnt(0)
	s_barrier
	s_and_saveexec_b64 s[34:35], vcc
	s_cbranch_execz .LBB127_13
; %bb.12:                               ;   in Loop: Header=BB127_4 Depth=2
	ds_read_b32 v54, v28 offset:16384
	s_waitcnt lgkmcnt(0)
	s_nop 0
	v_mov_b32_dpp v55, v54 row_shr:1 row_mask:0xf bank_mask:0xf
	v_cndmask_b32_e64 v55, v55, 0, s[18:19]
	v_add_u32_e32 v54, v55, v54
	s_nop 1
	v_mov_b32_dpp v55, v54 row_shr:2 row_mask:0xf bank_mask:0xf
	v_cndmask_b32_e64 v55, 0, v55, s[20:21]
	v_add_u32_e32 v54, v54, v55
	;; [unrolled: 4-line block ×3, first 2 shown]
	ds_write_b32 v28, v54 offset:16384
.LBB127_13:                             ;   in Loop: Header=BB127_4 Depth=2
	s_or_b64 exec, exec, s[34:35]
	v_mov_b32_e32 v54, 0
	s_waitcnt lgkmcnt(0)
	s_barrier
	s_and_saveexec_b64 s[34:35], s[0:1]
	s_cbranch_execz .LBB127_3
; %bb.14:                               ;   in Loop: Header=BB127_4 Depth=2
	ds_read_b32 v54, v29 offset:16380
	s_branch .LBB127_3
.LBB127_15:                             ;   in Loop: Header=BB127_4 Depth=2
	ds_write_b32 v33, v1
	s_or_b64 exec, exec, s[34:35]
	s_and_saveexec_b64 s[34:35], s[24:25]
	s_cbranch_execz .LBB127_6
.LBB127_16:                             ;   in Loop: Header=BB127_4 Depth=2
	ds_write_b32 v34, v1
	s_or_b64 exec, exec, s[34:35]
	s_and_saveexec_b64 s[34:35], s[24:25]
	s_cbranch_execz .LBB127_7
.LBB127_17:                             ;   in Loop: Header=BB127_4 Depth=2
	ds_write_b32 v35, v1
	s_or_b64 exec, exec, s[34:35]
	s_and_saveexec_b64 s[34:35], s[24:25]
	s_cbranch_execnz .LBB127_8
	s_branch .LBB127_9
.LBB127_18:
	ds_read_u16 v3, v46
	ds_read_u16 v2, v43
	;; [unrolled: 1-line block ×8, first 2 shown]
	s_lshl_b64 s[0:1], s[28:29], 2
	s_add_u32 s0, s26, s0
	s_waitcnt lgkmcnt(4)
	v_add_u32_sdwa v0, v0, v38 dst_sel:DWORD dst_unused:UNUSED_PAD src0_sel:DWORD src1_sel:WORD_0
	v_add_u32_sdwa v1, v1, v40 dst_sel:DWORD dst_unused:UNUSED_PAD src0_sel:DWORD src1_sel:WORD_0
	;; [unrolled: 1-line block ×4, first 2 shown]
	s_addc_u32 s1, s27, s1
	v_lshlrev_b32_e32 v8, 2, v18
	s_waitcnt lgkmcnt(0)
	v_add_u32_sdwa v4, v4, v45 dst_sel:DWORD dst_unused:UNUSED_PAD src0_sel:DWORD src1_sel:WORD_0
	v_add_u32_sdwa v5, v5, v48 dst_sel:DWORD dst_unused:UNUSED_PAD src0_sel:DWORD src1_sel:WORD_0
	;; [unrolled: 1-line block ×4, first 2 shown]
	global_store_dwordx4 v8, v[0:3], s[0:1]
	global_store_dwordx4 v8, v[4:7], s[0:1] offset:16
	s_endpgm
	.section	.rodata,"a",@progbits
	.p2align	6, 0x0
	.amdhsa_kernel _Z11rank_kernelIxLj4ELb0EL18RadixRankAlgorithm1ELj512ELj8ELj10EEvPKT_Pi
		.amdhsa_group_segment_fixed_size 16416
		.amdhsa_private_segment_fixed_size 0
		.amdhsa_kernarg_size 16
		.amdhsa_user_sgpr_count 6
		.amdhsa_user_sgpr_private_segment_buffer 1
		.amdhsa_user_sgpr_dispatch_ptr 0
		.amdhsa_user_sgpr_queue_ptr 0
		.amdhsa_user_sgpr_kernarg_segment_ptr 1
		.amdhsa_user_sgpr_dispatch_id 0
		.amdhsa_user_sgpr_flat_scratch_init 0
		.amdhsa_user_sgpr_kernarg_preload_length 0
		.amdhsa_user_sgpr_kernarg_preload_offset 0
		.amdhsa_user_sgpr_private_segment_size 0
		.amdhsa_uses_dynamic_stack 0
		.amdhsa_system_sgpr_private_segment_wavefront_offset 0
		.amdhsa_system_sgpr_workgroup_id_x 1
		.amdhsa_system_sgpr_workgroup_id_y 0
		.amdhsa_system_sgpr_workgroup_id_z 0
		.amdhsa_system_sgpr_workgroup_info 0
		.amdhsa_system_vgpr_workitem_id 0
		.amdhsa_next_free_vgpr 56
		.amdhsa_next_free_sgpr 38
		.amdhsa_accum_offset 56
		.amdhsa_reserve_vcc 1
		.amdhsa_reserve_flat_scratch 0
		.amdhsa_float_round_mode_32 0
		.amdhsa_float_round_mode_16_64 0
		.amdhsa_float_denorm_mode_32 3
		.amdhsa_float_denorm_mode_16_64 3
		.amdhsa_dx10_clamp 1
		.amdhsa_ieee_mode 1
		.amdhsa_fp16_overflow 0
		.amdhsa_tg_split 0
		.amdhsa_exception_fp_ieee_invalid_op 0
		.amdhsa_exception_fp_denorm_src 0
		.amdhsa_exception_fp_ieee_div_zero 0
		.amdhsa_exception_fp_ieee_overflow 0
		.amdhsa_exception_fp_ieee_underflow 0
		.amdhsa_exception_fp_ieee_inexact 0
		.amdhsa_exception_int_div_zero 0
	.end_amdhsa_kernel
	.section	.text._Z11rank_kernelIxLj4ELb0EL18RadixRankAlgorithm1ELj512ELj8ELj10EEvPKT_Pi,"axG",@progbits,_Z11rank_kernelIxLj4ELb0EL18RadixRankAlgorithm1ELj512ELj8ELj10EEvPKT_Pi,comdat
.Lfunc_end127:
	.size	_Z11rank_kernelIxLj4ELb0EL18RadixRankAlgorithm1ELj512ELj8ELj10EEvPKT_Pi, .Lfunc_end127-_Z11rank_kernelIxLj4ELb0EL18RadixRankAlgorithm1ELj512ELj8ELj10EEvPKT_Pi
                                        ; -- End function
	.section	.AMDGPU.csdata,"",@progbits
; Kernel info:
; codeLenInByte = 1764
; NumSgprs: 42
; NumVgprs: 56
; NumAgprs: 0
; TotalNumVgprs: 56
; ScratchSize: 0
; MemoryBound: 0
; FloatMode: 240
; IeeeMode: 1
; LDSByteSize: 16416 bytes/workgroup (compile time only)
; SGPRBlocks: 5
; VGPRBlocks: 6
; NumSGPRsForWavesPerEU: 42
; NumVGPRsForWavesPerEU: 56
; AccumOffset: 56
; Occupancy: 6
; WaveLimiterHint : 0
; COMPUTE_PGM_RSRC2:SCRATCH_EN: 0
; COMPUTE_PGM_RSRC2:USER_SGPR: 6
; COMPUTE_PGM_RSRC2:TRAP_HANDLER: 0
; COMPUTE_PGM_RSRC2:TGID_X_EN: 1
; COMPUTE_PGM_RSRC2:TGID_Y_EN: 0
; COMPUTE_PGM_RSRC2:TGID_Z_EN: 0
; COMPUTE_PGM_RSRC2:TIDIG_COMP_CNT: 0
; COMPUTE_PGM_RSRC3_GFX90A:ACCUM_OFFSET: 13
; COMPUTE_PGM_RSRC3_GFX90A:TG_SPLIT: 0
	.section	.text._Z11rank_kernelIxLj4ELb0EL18RadixRankAlgorithm2ELj512ELj8ELj10EEvPKT_Pi,"axG",@progbits,_Z11rank_kernelIxLj4ELb0EL18RadixRankAlgorithm2ELj512ELj8ELj10EEvPKT_Pi,comdat
	.protected	_Z11rank_kernelIxLj4ELb0EL18RadixRankAlgorithm2ELj512ELj8ELj10EEvPKT_Pi ; -- Begin function _Z11rank_kernelIxLj4ELb0EL18RadixRankAlgorithm2ELj512ELj8ELj10EEvPKT_Pi
	.globl	_Z11rank_kernelIxLj4ELb0EL18RadixRankAlgorithm2ELj512ELj8ELj10EEvPKT_Pi
	.p2align	8
	.type	_Z11rank_kernelIxLj4ELb0EL18RadixRankAlgorithm2ELj512ELj8ELj10EEvPKT_Pi,@function
_Z11rank_kernelIxLj4ELb0EL18RadixRankAlgorithm2ELj512ELj8ELj10EEvPKT_Pi: ; @_Z11rank_kernelIxLj4ELb0EL18RadixRankAlgorithm2ELj512ELj8ELj10EEvPKT_Pi
; %bb.0:
	s_load_dwordx4 s[28:31], s[4:5], 0x0
	s_load_dword s24, s[4:5], 0x1c
	s_lshl_b32 s34, s6, 12
	s_mov_b32 s35, 0
	s_lshl_b64 s[0:1], s[34:35], 3
	s_waitcnt lgkmcnt(0)
	s_add_u32 s0, s28, s0
	v_and_b32_e32 v20, 0x3ff, v0
	s_addc_u32 s1, s29, s1
	v_lshlrev_b32_e32 v1, 6, v20
	global_load_dwordx4 v[2:5], v1, s[0:1]
	global_load_dwordx4 v[6:9], v1, s[0:1] offset:16
	global_load_dwordx4 v[10:13], v1, s[0:1] offset:32
	;; [unrolled: 1-line block ×3, first 2 shown]
	v_mbcnt_lo_u32_b32 v1, -1, 0
	v_mbcnt_hi_u32_b32 v22, -1, v1
	v_bfe_u32 v19, v0, 10, 10
	v_bfe_u32 v21, v0, 20, 10
	v_add_u32_e32 v26, -1, v22
	v_and_b32_e32 v27, 64, v22
	s_lshr_b32 s25, s24, 16
	v_and_b32_e32 v23, 15, v22
	v_or_b32_e32 v25, 63, v20
	v_lshrrev_b32_e32 v28, 4, v20
	v_cmp_lt_i32_e64 s[18:19], v26, v27
	s_and_b32 s24, s24, 0xffff
	v_mad_u32_u24 v19, v21, s25, v19
	v_lshlrev_b32_e32 v0, 3, v20
	v_lshlrev_b32_e32 v1, 2, v20
	v_and_b32_e32 v24, 16, v22
	v_cmp_lt_u32_e32 vcc, 31, v22
	v_cmp_gt_u32_e64 s[0:1], 8, v20
	v_cmp_lt_u32_e64 s[2:3], 63, v20
	v_cmp_eq_u32_e64 s[4:5], 0, v22
	v_and_b32_e32 v29, 7, v22
	v_cmp_eq_u32_e64 s[6:7], 0, v23
	v_cmp_lt_u32_e64 s[8:9], 1, v23
	v_cmp_lt_u32_e64 s[10:11], 3, v23
	;; [unrolled: 1-line block ×3, first 2 shown]
	v_cmp_eq_u32_e64 s[16:17], v25, v20
	v_cndmask_b32_e64 v23, v26, v22, s[18:19]
	v_and_b32_e32 v22, 28, v28
	v_mad_u64_u32 v[20:21], s[24:25], v19, s24, v[20:21]
	v_mov_b32_e32 v18, 0
	v_cmp_eq_u32_e64 s[14:15], 0, v24
	v_cmp_eq_u32_e64 s[18:19], 0, v29
	v_cmp_lt_u32_e64 s[20:21], 1, v29
	v_cmp_lt_u32_e64 s[22:23], 3, v29
	v_lshlrev_b32_e32 v23, 2, v23
	v_add_u32_e32 v24, -4, v22
	v_lshrrev_b32_e32 v25, 6, v20
	s_mov_b32 s33, s35
	s_waitcnt vmcnt(3)
	v_xor_b32_e32 v3, 0x80000000, v3
	v_xor_b32_e32 v5, 0x80000000, v5
	s_waitcnt vmcnt(2)
	v_xor_b32_e32 v7, 0x80000000, v7
	v_xor_b32_e32 v9, 0x80000000, v9
	;; [unrolled: 3-line block ×4, first 2 shown]
	s_branch .LBB128_2
.LBB128_1:                              ;   in Loop: Header=BB128_2 Depth=1
	s_add_i32 s33, s33, 1
	s_cmp_eq_u32 s33, 10
	s_cbranch_scc1 .LBB128_26
.LBB128_2:                              ; =>This Loop Header: Depth=1
                                        ;     Child Loop BB128_4 Depth 2
	s_mov_b64 s[28:29], 60
	s_mov_b32 s36, -4
	s_branch .LBB128_4
.LBB128_3:                              ;   in Loop: Header=BB128_4 Depth=2
	s_or_b64 exec, exec, s[24:25]
	s_waitcnt lgkmcnt(0)
	v_add_u32_e32 v20, v21, v20
	ds_bpermute_b32 v20, v23, v20
	s_add_i32 s36, s36, 4
	s_add_u32 s28, s28, -4
	s_addc_u32 s29, s29, -1
	s_cmp_lt_u32 s36, 60
	s_waitcnt lgkmcnt(0)
	v_cndmask_b32_e64 v20, v20, v21, s[4:5]
	ds_write_b32 v1, v20 offset:32
	s_waitcnt lgkmcnt(0)
	s_barrier
	s_cbranch_scc0 .LBB128_1
.LBB128_4:                              ;   Parent Loop BB128_2 Depth=1
                                        ; =>  This Inner Loop Header: Depth=2
	v_lshlrev_b64 v[20:21], s28, v[2:3]
	v_lshrrev_b32_e32 v27, 28, v21
	v_mad_u32_u24 v19, v27, 9, v25
	v_lshl_add_u32 v26, v19, 2, 32
	v_bfe_u32 v19, v21, 28, 1
	v_add_co_u32_e64 v28, s[24:25], -1, v19
	v_addc_co_u32_e64 v29, s[24:25], 0, -1, s[24:25]
	v_cmp_ne_u32_e64 s[24:25], 0, v19
	v_xor_b32_e32 v19, s25, v29
	v_and_b32_e32 v29, exec_hi, v19
	v_lshlrev_b32_e32 v19, 30, v27
	v_xor_b32_e32 v28, s24, v28
	v_cmp_gt_i64_e64 s[24:25], 0, v[18:19]
	v_not_b32_e32 v19, v19
	v_ashrrev_i32_e32 v19, 31, v19
	v_and_b32_e32 v28, exec_lo, v28
	v_xor_b32_e32 v30, s25, v19
	v_xor_b32_e32 v19, s24, v19
	v_and_b32_e32 v28, v28, v19
	v_lshlrev_b32_e32 v19, 29, v27
	v_cmp_gt_i64_e64 s[24:25], 0, v[18:19]
	v_not_b32_e32 v19, v19
	v_ashrrev_i32_e32 v19, 31, v19
	v_xor_b32_e32 v27, s25, v19
	v_xor_b32_e32 v19, s24, v19
	v_cmp_gt_i64_e64 s[24:25], 0, v[20:21]
	v_not_b32_e32 v20, v21
	v_ashrrev_i32_e32 v20, 31, v20
	v_and_b32_e32 v29, v29, v30
	v_and_b32_e32 v19, v28, v19
	v_xor_b32_e32 v21, s25, v20
	v_xor_b32_e32 v20, s24, v20
	v_and_b32_e32 v27, v29, v27
	v_and_b32_e32 v20, v19, v20
	;; [unrolled: 1-line block ×3, first 2 shown]
	v_mbcnt_lo_u32_b32 v19, v20, 0
	v_mbcnt_hi_u32_b32 v27, v21, v19
	v_cmp_eq_u32_e64 s[24:25], 0, v27
	v_cmp_ne_u64_e64 s[26:27], 0, v[20:21]
	s_and_b64 s[26:27], s[26:27], s[24:25]
	ds_write_b32 v1, v18 offset:32
	s_waitcnt lgkmcnt(0)
	s_barrier
	s_waitcnt lgkmcnt(0)
	; wave barrier
	s_and_saveexec_b64 s[24:25], s[26:27]
	s_cbranch_execz .LBB128_6
; %bb.5:                                ;   in Loop: Header=BB128_4 Depth=2
	v_bcnt_u32_b32 v19, v20, 0
	v_bcnt_u32_b32 v19, v21, v19
	ds_write_b32 v26, v19
.LBB128_6:                              ;   in Loop: Header=BB128_4 Depth=2
	s_or_b64 exec, exec, s[24:25]
	v_lshlrev_b64 v[20:21], s28, v[4:5]
	v_lshrrev_b32_e32 v30, 28, v21
	v_mul_u32_u24_e32 v19, 9, v30
	v_add_lshl_u32 v19, v25, v19, 2
	; wave barrier
	v_add_u32_e32 v29, 32, v19
	ds_read_b32 v28, v19 offset:32
	v_bfe_u32 v19, v21, 28, 1
	v_add_co_u32_e64 v31, s[24:25], -1, v19
	v_addc_co_u32_e64 v32, s[24:25], 0, -1, s[24:25]
	v_cmp_ne_u32_e64 s[24:25], 0, v19
	v_xor_b32_e32 v19, s25, v32
	v_and_b32_e32 v32, exec_hi, v19
	v_lshlrev_b32_e32 v19, 30, v30
	v_xor_b32_e32 v31, s24, v31
	v_cmp_gt_i64_e64 s[24:25], 0, v[18:19]
	v_not_b32_e32 v19, v19
	v_ashrrev_i32_e32 v19, 31, v19
	v_and_b32_e32 v31, exec_lo, v31
	v_xor_b32_e32 v33, s25, v19
	v_xor_b32_e32 v19, s24, v19
	v_and_b32_e32 v31, v31, v19
	v_lshlrev_b32_e32 v19, 29, v30
	v_cmp_gt_i64_e64 s[24:25], 0, v[18:19]
	v_not_b32_e32 v19, v19
	v_ashrrev_i32_e32 v19, 31, v19
	v_xor_b32_e32 v30, s25, v19
	v_xor_b32_e32 v19, s24, v19
	v_cmp_gt_i64_e64 s[24:25], 0, v[20:21]
	v_not_b32_e32 v20, v21
	v_ashrrev_i32_e32 v20, 31, v20
	v_and_b32_e32 v32, v32, v33
	v_and_b32_e32 v19, v31, v19
	v_xor_b32_e32 v21, s25, v20
	v_xor_b32_e32 v20, s24, v20
	v_and_b32_e32 v30, v32, v30
	v_and_b32_e32 v20, v19, v20
	;; [unrolled: 1-line block ×3, first 2 shown]
	v_mbcnt_lo_u32_b32 v19, v20, 0
	v_mbcnt_hi_u32_b32 v30, v21, v19
	v_cmp_eq_u32_e64 s[24:25], 0, v30
	v_cmp_ne_u64_e64 s[26:27], 0, v[20:21]
	s_and_b64 s[26:27], s[26:27], s[24:25]
	; wave barrier
	s_and_saveexec_b64 s[24:25], s[26:27]
	s_cbranch_execz .LBB128_8
; %bb.7:                                ;   in Loop: Header=BB128_4 Depth=2
	v_bcnt_u32_b32 v19, v20, 0
	v_bcnt_u32_b32 v19, v21, v19
	s_waitcnt lgkmcnt(0)
	v_add_u32_e32 v19, v28, v19
	ds_write_b32 v29, v19
.LBB128_8:                              ;   in Loop: Header=BB128_4 Depth=2
	s_or_b64 exec, exec, s[24:25]
	v_lshlrev_b64 v[20:21], s28, v[6:7]
	v_lshrrev_b32_e32 v33, 28, v21
	v_mul_u32_u24_e32 v19, 9, v33
	v_add_lshl_u32 v19, v25, v19, 2
	; wave barrier
	v_add_u32_e32 v32, 32, v19
	ds_read_b32 v31, v19 offset:32
	v_bfe_u32 v19, v21, 28, 1
	v_add_co_u32_e64 v34, s[24:25], -1, v19
	v_addc_co_u32_e64 v35, s[24:25], 0, -1, s[24:25]
	v_cmp_ne_u32_e64 s[24:25], 0, v19
	v_xor_b32_e32 v19, s25, v35
	v_and_b32_e32 v35, exec_hi, v19
	v_lshlrev_b32_e32 v19, 30, v33
	v_xor_b32_e32 v34, s24, v34
	v_cmp_gt_i64_e64 s[24:25], 0, v[18:19]
	v_not_b32_e32 v19, v19
	v_ashrrev_i32_e32 v19, 31, v19
	v_and_b32_e32 v34, exec_lo, v34
	v_xor_b32_e32 v36, s25, v19
	v_xor_b32_e32 v19, s24, v19
	v_and_b32_e32 v34, v34, v19
	v_lshlrev_b32_e32 v19, 29, v33
	v_cmp_gt_i64_e64 s[24:25], 0, v[18:19]
	v_not_b32_e32 v19, v19
	v_ashrrev_i32_e32 v19, 31, v19
	v_xor_b32_e32 v33, s25, v19
	v_xor_b32_e32 v19, s24, v19
	v_cmp_gt_i64_e64 s[24:25], 0, v[20:21]
	v_not_b32_e32 v20, v21
	v_ashrrev_i32_e32 v20, 31, v20
	v_and_b32_e32 v35, v35, v36
	v_and_b32_e32 v19, v34, v19
	v_xor_b32_e32 v21, s25, v20
	v_xor_b32_e32 v20, s24, v20
	v_and_b32_e32 v33, v35, v33
	v_and_b32_e32 v20, v19, v20
	;; [unrolled: 1-line block ×3, first 2 shown]
	v_mbcnt_lo_u32_b32 v19, v20, 0
	v_mbcnt_hi_u32_b32 v33, v21, v19
	v_cmp_eq_u32_e64 s[24:25], 0, v33
	v_cmp_ne_u64_e64 s[26:27], 0, v[20:21]
	s_and_b64 s[26:27], s[26:27], s[24:25]
	; wave barrier
	s_and_saveexec_b64 s[24:25], s[26:27]
	s_cbranch_execz .LBB128_10
; %bb.9:                                ;   in Loop: Header=BB128_4 Depth=2
	v_bcnt_u32_b32 v19, v20, 0
	v_bcnt_u32_b32 v19, v21, v19
	s_waitcnt lgkmcnt(0)
	v_add_u32_e32 v19, v31, v19
	ds_write_b32 v32, v19
.LBB128_10:                             ;   in Loop: Header=BB128_4 Depth=2
	s_or_b64 exec, exec, s[24:25]
	v_lshlrev_b64 v[20:21], s28, v[8:9]
	v_lshrrev_b32_e32 v36, 28, v21
	v_mul_u32_u24_e32 v19, 9, v36
	v_add_lshl_u32 v19, v25, v19, 2
	; wave barrier
	v_add_u32_e32 v35, 32, v19
	ds_read_b32 v34, v19 offset:32
	v_bfe_u32 v19, v21, 28, 1
	v_add_co_u32_e64 v37, s[24:25], -1, v19
	v_addc_co_u32_e64 v38, s[24:25], 0, -1, s[24:25]
	v_cmp_ne_u32_e64 s[24:25], 0, v19
	v_xor_b32_e32 v19, s25, v38
	v_and_b32_e32 v38, exec_hi, v19
	v_lshlrev_b32_e32 v19, 30, v36
	v_xor_b32_e32 v37, s24, v37
	v_cmp_gt_i64_e64 s[24:25], 0, v[18:19]
	v_not_b32_e32 v19, v19
	v_ashrrev_i32_e32 v19, 31, v19
	v_and_b32_e32 v37, exec_lo, v37
	v_xor_b32_e32 v39, s25, v19
	v_xor_b32_e32 v19, s24, v19
	v_and_b32_e32 v37, v37, v19
	v_lshlrev_b32_e32 v19, 29, v36
	v_cmp_gt_i64_e64 s[24:25], 0, v[18:19]
	v_not_b32_e32 v19, v19
	v_ashrrev_i32_e32 v19, 31, v19
	v_xor_b32_e32 v36, s25, v19
	v_xor_b32_e32 v19, s24, v19
	v_cmp_gt_i64_e64 s[24:25], 0, v[20:21]
	v_not_b32_e32 v20, v21
	v_ashrrev_i32_e32 v20, 31, v20
	v_and_b32_e32 v38, v38, v39
	v_and_b32_e32 v19, v37, v19
	v_xor_b32_e32 v21, s25, v20
	v_xor_b32_e32 v20, s24, v20
	v_and_b32_e32 v36, v38, v36
	v_and_b32_e32 v20, v19, v20
	v_and_b32_e32 v21, v36, v21
	v_mbcnt_lo_u32_b32 v19, v20, 0
	v_mbcnt_hi_u32_b32 v36, v21, v19
	v_cmp_eq_u32_e64 s[24:25], 0, v36
	v_cmp_ne_u64_e64 s[26:27], 0, v[20:21]
	s_and_b64 s[26:27], s[26:27], s[24:25]
	; wave barrier
	s_and_saveexec_b64 s[24:25], s[26:27]
	s_cbranch_execz .LBB128_12
; %bb.11:                               ;   in Loop: Header=BB128_4 Depth=2
	v_bcnt_u32_b32 v19, v20, 0
	v_bcnt_u32_b32 v19, v21, v19
	s_waitcnt lgkmcnt(0)
	v_add_u32_e32 v19, v34, v19
	ds_write_b32 v35, v19
.LBB128_12:                             ;   in Loop: Header=BB128_4 Depth=2
	s_or_b64 exec, exec, s[24:25]
	v_lshlrev_b64 v[20:21], s28, v[10:11]
	v_lshrrev_b32_e32 v39, 28, v21
	v_mul_u32_u24_e32 v19, 9, v39
	v_add_lshl_u32 v19, v25, v19, 2
	; wave barrier
	v_add_u32_e32 v38, 32, v19
	ds_read_b32 v37, v19 offset:32
	v_bfe_u32 v19, v21, 28, 1
	v_add_co_u32_e64 v40, s[24:25], -1, v19
	v_addc_co_u32_e64 v41, s[24:25], 0, -1, s[24:25]
	v_cmp_ne_u32_e64 s[24:25], 0, v19
	v_xor_b32_e32 v19, s25, v41
	v_and_b32_e32 v41, exec_hi, v19
	v_lshlrev_b32_e32 v19, 30, v39
	v_xor_b32_e32 v40, s24, v40
	v_cmp_gt_i64_e64 s[24:25], 0, v[18:19]
	v_not_b32_e32 v19, v19
	v_ashrrev_i32_e32 v19, 31, v19
	v_and_b32_e32 v40, exec_lo, v40
	v_xor_b32_e32 v42, s25, v19
	v_xor_b32_e32 v19, s24, v19
	v_and_b32_e32 v40, v40, v19
	v_lshlrev_b32_e32 v19, 29, v39
	v_cmp_gt_i64_e64 s[24:25], 0, v[18:19]
	v_not_b32_e32 v19, v19
	v_ashrrev_i32_e32 v19, 31, v19
	v_xor_b32_e32 v39, s25, v19
	v_xor_b32_e32 v19, s24, v19
	v_cmp_gt_i64_e64 s[24:25], 0, v[20:21]
	v_not_b32_e32 v20, v21
	v_ashrrev_i32_e32 v20, 31, v20
	v_and_b32_e32 v41, v41, v42
	v_and_b32_e32 v19, v40, v19
	v_xor_b32_e32 v21, s25, v20
	v_xor_b32_e32 v20, s24, v20
	v_and_b32_e32 v39, v41, v39
	v_and_b32_e32 v20, v19, v20
	v_and_b32_e32 v21, v39, v21
	v_mbcnt_lo_u32_b32 v19, v20, 0
	v_mbcnt_hi_u32_b32 v39, v21, v19
	v_cmp_eq_u32_e64 s[24:25], 0, v39
	v_cmp_ne_u64_e64 s[26:27], 0, v[20:21]
	s_and_b64 s[26:27], s[26:27], s[24:25]
	; wave barrier
	s_and_saveexec_b64 s[24:25], s[26:27]
	s_cbranch_execz .LBB128_14
; %bb.13:                               ;   in Loop: Header=BB128_4 Depth=2
	v_bcnt_u32_b32 v19, v20, 0
	v_bcnt_u32_b32 v19, v21, v19
	s_waitcnt lgkmcnt(0)
	v_add_u32_e32 v19, v37, v19
	ds_write_b32 v38, v19
.LBB128_14:                             ;   in Loop: Header=BB128_4 Depth=2
	;; [unrolled: 54-line block ×5, first 2 shown]
	s_or_b64 exec, exec, s[24:25]
	; wave barrier
	s_waitcnt lgkmcnt(0)
	s_barrier
	ds_read_b32 v20, v1 offset:32
	s_waitcnt lgkmcnt(0)
	s_nop 0
	v_mov_b32_dpp v21, v20 row_shr:1 row_mask:0xf bank_mask:0xf
	v_cndmask_b32_e64 v21, v21, 0, s[6:7]
	v_add_u32_e32 v20, v21, v20
	s_nop 1
	v_mov_b32_dpp v21, v20 row_shr:2 row_mask:0xf bank_mask:0xf
	v_cndmask_b32_e64 v21, 0, v21, s[8:9]
	v_add_u32_e32 v20, v20, v21
	;; [unrolled: 4-line block ×4, first 2 shown]
	s_nop 1
	v_mov_b32_dpp v21, v20 row_bcast:15 row_mask:0xf bank_mask:0xf
	v_cndmask_b32_e64 v21, v21, 0, s[14:15]
	v_add_u32_e32 v20, v20, v21
	s_nop 1
	v_mov_b32_dpp v21, v20 row_bcast:31 row_mask:0xf bank_mask:0xf
	v_cndmask_b32_e32 v21, 0, v21, vcc
	v_add_u32_e32 v20, v20, v21
	s_and_saveexec_b64 s[24:25], s[16:17]
	s_xor_b64 s[24:25], exec, s[24:25]
	s_cbranch_execz .LBB128_22
; %bb.21:                               ;   in Loop: Header=BB128_4 Depth=2
	ds_write_b32 v22, v20
.LBB128_22:                             ;   in Loop: Header=BB128_4 Depth=2
	s_or_b64 exec, exec, s[24:25]
	s_waitcnt lgkmcnt(0)
	s_barrier
	s_and_saveexec_b64 s[24:25], s[0:1]
	s_cbranch_execz .LBB128_24
; %bb.23:                               ;   in Loop: Header=BB128_4 Depth=2
	ds_read_b32 v21, v1
	s_waitcnt lgkmcnt(0)
	s_nop 0
	v_mov_b32_dpp v48, v21 row_shr:1 row_mask:0xf bank_mask:0xf
	v_cndmask_b32_e64 v48, v48, 0, s[18:19]
	v_add_u32_e32 v21, v48, v21
	s_nop 1
	v_mov_b32_dpp v48, v21 row_shr:2 row_mask:0xf bank_mask:0xf
	v_cndmask_b32_e64 v48, 0, v48, s[20:21]
	v_add_u32_e32 v21, v21, v48
	;; [unrolled: 4-line block ×3, first 2 shown]
	ds_write_b32 v1, v21
.LBB128_24:                             ;   in Loop: Header=BB128_4 Depth=2
	s_or_b64 exec, exec, s[24:25]
	v_mov_b32_e32 v21, 0
	s_waitcnt lgkmcnt(0)
	s_barrier
	s_and_saveexec_b64 s[24:25], s[2:3]
	s_cbranch_execz .LBB128_3
; %bb.25:                               ;   in Loop: Header=BB128_4 Depth=2
	ds_read_b32 v21, v24
	s_branch .LBB128_3
.LBB128_26:
	ds_read_b32 v4, v47
	ds_read_b32 v5, v44
	;; [unrolled: 1-line block ×8, first 2 shown]
	s_lshl_b64 s[0:1], s[34:35], 2
	s_add_u32 s0, s30, s0
	s_addc_u32 s1, s31, s1
	v_lshlrev_b32_e32 v9, 2, v0
	s_waitcnt lgkmcnt(1)
	v_add3_u32 v1, v30, v28, v1
	s_waitcnt lgkmcnt(0)
	v_add_u32_e32 v0, v3, v27
	v_add3_u32 v3, v36, v34, v2
	v_add3_u32 v2, v33, v31, v8
	global_store_dwordx4 v9, v[0:3], s[0:1]
	s_nop 0
	v_add3_u32 v1, v42, v40, v6
	v_add3_u32 v0, v39, v37, v7
	;; [unrolled: 1-line block ×4, first 2 shown]
	global_store_dwordx4 v9, v[0:3], s[0:1] offset:16
	s_endpgm
	.section	.rodata,"a",@progbits
	.p2align	6, 0x0
	.amdhsa_kernel _Z11rank_kernelIxLj4ELb0EL18RadixRankAlgorithm2ELj512ELj8ELj10EEvPKT_Pi
		.amdhsa_group_segment_fixed_size 2080
		.amdhsa_private_segment_fixed_size 0
		.amdhsa_kernarg_size 272
		.amdhsa_user_sgpr_count 6
		.amdhsa_user_sgpr_private_segment_buffer 1
		.amdhsa_user_sgpr_dispatch_ptr 0
		.amdhsa_user_sgpr_queue_ptr 0
		.amdhsa_user_sgpr_kernarg_segment_ptr 1
		.amdhsa_user_sgpr_dispatch_id 0
		.amdhsa_user_sgpr_flat_scratch_init 0
		.amdhsa_user_sgpr_kernarg_preload_length 0
		.amdhsa_user_sgpr_kernarg_preload_offset 0
		.amdhsa_user_sgpr_private_segment_size 0
		.amdhsa_uses_dynamic_stack 0
		.amdhsa_system_sgpr_private_segment_wavefront_offset 0
		.amdhsa_system_sgpr_workgroup_id_x 1
		.amdhsa_system_sgpr_workgroup_id_y 0
		.amdhsa_system_sgpr_workgroup_id_z 0
		.amdhsa_system_sgpr_workgroup_info 0
		.amdhsa_system_vgpr_workitem_id 2
		.amdhsa_next_free_vgpr 52
		.amdhsa_next_free_sgpr 37
		.amdhsa_accum_offset 52
		.amdhsa_reserve_vcc 1
		.amdhsa_reserve_flat_scratch 0
		.amdhsa_float_round_mode_32 0
		.amdhsa_float_round_mode_16_64 0
		.amdhsa_float_denorm_mode_32 3
		.amdhsa_float_denorm_mode_16_64 3
		.amdhsa_dx10_clamp 1
		.amdhsa_ieee_mode 1
		.amdhsa_fp16_overflow 0
		.amdhsa_tg_split 0
		.amdhsa_exception_fp_ieee_invalid_op 0
		.amdhsa_exception_fp_denorm_src 0
		.amdhsa_exception_fp_ieee_div_zero 0
		.amdhsa_exception_fp_ieee_overflow 0
		.amdhsa_exception_fp_ieee_underflow 0
		.amdhsa_exception_fp_ieee_inexact 0
		.amdhsa_exception_int_div_zero 0
	.end_amdhsa_kernel
	.section	.text._Z11rank_kernelIxLj4ELb0EL18RadixRankAlgorithm2ELj512ELj8ELj10EEvPKT_Pi,"axG",@progbits,_Z11rank_kernelIxLj4ELb0EL18RadixRankAlgorithm2ELj512ELj8ELj10EEvPKT_Pi,comdat
.Lfunc_end128:
	.size	_Z11rank_kernelIxLj4ELb0EL18RadixRankAlgorithm2ELj512ELj8ELj10EEvPKT_Pi, .Lfunc_end128-_Z11rank_kernelIxLj4ELb0EL18RadixRankAlgorithm2ELj512ELj8ELj10EEvPKT_Pi
                                        ; -- End function
	.section	.AMDGPU.csdata,"",@progbits
; Kernel info:
; codeLenInByte = 3144
; NumSgprs: 41
; NumVgprs: 52
; NumAgprs: 0
; TotalNumVgprs: 52
; ScratchSize: 0
; MemoryBound: 0
; FloatMode: 240
; IeeeMode: 1
; LDSByteSize: 2080 bytes/workgroup (compile time only)
; SGPRBlocks: 5
; VGPRBlocks: 6
; NumSGPRsForWavesPerEU: 41
; NumVGPRsForWavesPerEU: 52
; AccumOffset: 52
; Occupancy: 8
; WaveLimiterHint : 0
; COMPUTE_PGM_RSRC2:SCRATCH_EN: 0
; COMPUTE_PGM_RSRC2:USER_SGPR: 6
; COMPUTE_PGM_RSRC2:TRAP_HANDLER: 0
; COMPUTE_PGM_RSRC2:TGID_X_EN: 1
; COMPUTE_PGM_RSRC2:TGID_Y_EN: 0
; COMPUTE_PGM_RSRC2:TGID_Z_EN: 0
; COMPUTE_PGM_RSRC2:TIDIG_COMP_CNT: 2
; COMPUTE_PGM_RSRC3_GFX90A:ACCUM_OFFSET: 12
; COMPUTE_PGM_RSRC3_GFX90A:TG_SPLIT: 0
	.section	.text._Z11rank_kernelIxLj4ELb0EL18RadixRankAlgorithm0ELj512ELj16ELj10EEvPKT_Pi,"axG",@progbits,_Z11rank_kernelIxLj4ELb0EL18RadixRankAlgorithm0ELj512ELj16ELj10EEvPKT_Pi,comdat
	.protected	_Z11rank_kernelIxLj4ELb0EL18RadixRankAlgorithm0ELj512ELj16ELj10EEvPKT_Pi ; -- Begin function _Z11rank_kernelIxLj4ELb0EL18RadixRankAlgorithm0ELj512ELj16ELj10EEvPKT_Pi
	.globl	_Z11rank_kernelIxLj4ELb0EL18RadixRankAlgorithm0ELj512ELj16ELj10EEvPKT_Pi
	.p2align	8
	.type	_Z11rank_kernelIxLj4ELb0EL18RadixRankAlgorithm0ELj512ELj16ELj10EEvPKT_Pi,@function
_Z11rank_kernelIxLj4ELb0EL18RadixRankAlgorithm0ELj512ELj16ELj10EEvPKT_Pi: ; @_Z11rank_kernelIxLj4ELb0EL18RadixRankAlgorithm0ELj512ELj16ELj10EEvPKT_Pi
; %bb.0:
	s_load_dwordx4 s[24:27], s[4:5], 0x0
	s_lshl_b32 s28, s6, 13
	s_mov_b32 s29, 0
	s_lshl_b64 s[0:1], s[28:29], 3
	v_lshlrev_b32_e32 v1, 7, v0
	s_waitcnt lgkmcnt(0)
	s_add_u32 s0, s24, s0
	s_addc_u32 s1, s25, s1
	global_load_dwordx4 v[2:5], v1, s[0:1]
	global_load_dwordx4 v[6:9], v1, s[0:1] offset:16
	global_load_dwordx4 v[10:13], v1, s[0:1] offset:32
	;; [unrolled: 1-line block ×7, first 2 shown]
	v_mbcnt_lo_u32_b32 v36, -1, 0
	v_mbcnt_hi_u32_b32 v45, -1, v36
	v_add_u32_e32 v48, -1, v45
	v_and_b32_e32 v49, 64, v45
	v_cmp_lt_i32_e64 s[18:19], v48, v49
	v_or_b32_e32 v37, 63, v0
	v_lshrrev_b32_e32 v38, 4, v0
	v_lshlrev_b32_e32 v36, 2, v0
	v_and_b32_e32 v46, 15, v45
	v_and_b32_e32 v47, 16, v45
	v_cmp_lt_u32_e64 s[2:3], 31, v45
	v_cmp_eq_u32_e64 s[6:7], 0, v45
	v_and_b32_e32 v50, 7, v45
	v_cndmask_b32_e64 v45, v48, v45, s[18:19]
	v_mov_b32_e32 v1, 0
	s_mov_b64 s[24:25], -1
	s_movk_i32 s33, 0xe00
	v_lshlrev_b32_e32 v34, 4, v0
	v_lshlrev_b32_e32 v35, 5, v0
	v_cmp_gt_u32_e32 vcc, 8, v0
	v_cmp_lt_u32_e64 s[0:1], 63, v0
	v_cmp_eq_u32_e64 s[4:5], v37, v0
	v_and_b32_e32 v37, 28, v38
	v_or_b32_e32 v38, 0x800, v36
	v_or_b32_e32 v39, 0x1000, v36
	;; [unrolled: 1-line block ×7, first 2 shown]
	v_cmp_eq_u32_e64 s[8:9], 0, v46
	v_cmp_lt_u32_e64 s[10:11], 1, v46
	v_cmp_lt_u32_e64 s[12:13], 3, v46
	;; [unrolled: 1-line block ×3, first 2 shown]
	v_cmp_eq_u32_e64 s[16:17], 0, v47
	v_cmp_eq_u32_e64 s[18:19], 0, v50
	v_cmp_lt_u32_e64 s[20:21], 1, v50
	v_cmp_lt_u32_e64 s[22:23], 3, v50
	v_lshlrev_b32_e32 v45, 2, v45
	s_mov_b32 s36, s29
	s_waitcnt vmcnt(7)
	v_xor_b32_e32 v3, 0x80000000, v3
	v_xor_b32_e32 v5, 0x80000000, v5
	s_waitcnt vmcnt(6)
	v_xor_b32_e32 v7, 0x80000000, v7
	v_xor_b32_e32 v9, 0x80000000, v9
	;; [unrolled: 3-line block ×8, first 2 shown]
	s_branch .LBB129_2
.LBB129_1:                              ;   in Loop: Header=BB129_2 Depth=1
	s_add_i32 s36, s36, 1
	s_cmp_eq_u32 s36, 10
	s_cbranch_scc1 .LBB129_18
.LBB129_2:                              ; =>This Loop Header: Depth=1
                                        ;     Child Loop BB129_4 Depth 2
	s_mov_b32 s37, -4
	s_mov_b64 s[30:31], 60
	s_branch .LBB129_4
.LBB129_3:                              ;   in Loop: Header=BB129_4 Depth=2
	s_or_b64 exec, exec, s[34:35]
	s_waitcnt lgkmcnt(0)
	v_add_u32_e32 v78, v79, v78
	ds_bpermute_b32 v78, v45, v78
	ds_read_b32 v80, v1 offset:16412
	s_add_i32 s37, s37, 4
	s_add_u32 s30, s30, -4
	s_addc_u32 s31, s31, -1
	s_waitcnt lgkmcnt(1)
	v_cndmask_b32_e64 v81, v78, v79, s[6:7]
	ds_read2_b32 v[78:79], v35 offset1:1
	s_waitcnt lgkmcnt(1)
	v_lshl_add_u32 v84, v80, 16, v81
	ds_read2_b32 v[80:81], v35 offset0:2 offset1:3
	ds_read2_b32 v[82:83], v35 offset0:4 offset1:5
	ds_read_b32 v85, v35 offset:24
	s_cmp_lt_u32 s37, 60
	s_waitcnt lgkmcnt(3)
	v_add_u32_e32 v78, v84, v78
	ds_write2_b32 v35, v84, v78 offset1:1
	v_add_u32_e32 v78, v79, v78
	s_waitcnt lgkmcnt(3)
	v_add_u32_e32 v79, v80, v78
	ds_write2_b32 v35, v78, v79 offset0:2 offset1:3
	v_add_u32_e32 v78, v81, v79
	s_waitcnt lgkmcnt(3)
	v_add_u32_e32 v79, v82, v78
	ds_write2_b32 v35, v78, v79 offset0:4 offset1:5
	;; [unrolled: 4-line block ×3, first 2 shown]
	s_waitcnt lgkmcnt(0)
	s_barrier
	s_cbranch_scc0 .LBB129_1
.LBB129_4:                              ;   Parent Loop BB129_2 Depth=1
                                        ; =>  This Inner Loop Header: Depth=2
	ds_write_b32 v36, v1
	ds_write_b32 v38, v1
	;; [unrolled: 1-line block ×4, first 2 shown]
	s_and_saveexec_b64 s[34:35], s[24:25]
	s_cbranch_execnz .LBB129_15
; %bb.5:                                ;   in Loop: Header=BB129_4 Depth=2
	s_or_b64 exec, exec, s[34:35]
	s_and_saveexec_b64 s[34:35], s[24:25]
	s_cbranch_execnz .LBB129_16
.LBB129_6:                              ;   in Loop: Header=BB129_4 Depth=2
	s_or_b64 exec, exec, s[34:35]
	s_and_saveexec_b64 s[34:35], s[24:25]
	s_cbranch_execnz .LBB129_17
.LBB129_7:                              ;   in Loop: Header=BB129_4 Depth=2
	s_or_b64 exec, exec, s[34:35]
	s_and_saveexec_b64 s[34:35], s[24:25]
	s_cbranch_execz .LBB129_9
.LBB129_8:                              ;   in Loop: Header=BB129_4 Depth=2
	ds_write_b32 v44, v1
.LBB129_9:                              ;   in Loop: Header=BB129_4 Depth=2
	s_or_b64 exec, exec, s[34:35]
	v_lshlrev_b64 v[46:47], s30, v[2:3]
	v_lshrrev_b32_e32 v46, 19, v47
	v_lshrrev_b32_e32 v47, 30, v47
	v_and_or_b32 v46, v46, s33, v0
	v_and_b32_e32 v47, 2, v47
	v_lshl_or_b32 v48, v46, 2, v47
	ds_read_u16 v46, v48
	v_lshlrev_b64 v[50:51], s30, v[4:5]
	v_lshrrev_b32_e32 v47, 19, v51
	v_and_or_b32 v47, v47, s33, v0
	v_lshlrev_b64 v[52:53], s30, v[6:7]
	s_waitcnt lgkmcnt(0)
	v_add_u16_e32 v49, 1, v46
	ds_write_b16 v48, v49
	v_lshrrev_b32_e32 v49, 30, v51
	v_and_b32_e32 v49, 2, v49
	v_lshl_or_b32 v50, v47, 2, v49
	ds_read_u16 v47, v50
	v_lshrrev_b32_e32 v51, 30, v53
	v_and_b32_e32 v51, 2, v51
	v_lshlrev_b64 v[54:55], s30, v[8:9]
	v_lshlrev_b64 v[56:57], s30, v[10:11]
	s_waitcnt lgkmcnt(0)
	v_add_u16_e32 v49, 1, v47
	ds_write_b16 v50, v49
	v_lshrrev_b32_e32 v49, 19, v53
	v_and_or_b32 v49, v49, s33, v0
	v_lshl_or_b32 v52, v49, 2, v51
	ds_read_u16 v49, v52
	v_lshrrev_b32_e32 v53, 30, v55
	v_and_b32_e32 v53, 2, v53
	v_lshlrev_b64 v[58:59], s30, v[12:13]
	v_lshlrev_b64 v[60:61], s30, v[14:15]
	s_waitcnt lgkmcnt(0)
	v_add_u16_e32 v51, 1, v49
	ds_write_b16 v52, v51
	v_lshrrev_b32_e32 v51, 19, v55
	v_and_or_b32 v51, v51, s33, v0
	;; [unrolled: 11-line block ×6, first 2 shown]
	v_lshl_or_b32 v62, v59, 2, v61
	ds_read_u16 v59, v62
	v_lshrrev_b32_e32 v63, 30, v65
	v_and_b32_e32 v63, 2, v63
	v_lshlrev_b64 v[78:79], s30, v[32:33]
	s_waitcnt lgkmcnt(0)
	v_add_u16_e32 v61, 1, v59
	ds_write_b16 v62, v61
	v_lshrrev_b32_e32 v61, 19, v65
	v_and_or_b32 v61, v61, s33, v0
	v_lshl_or_b32 v64, v61, 2, v63
	ds_read_u16 v61, v64
	v_lshrrev_b32_e32 v65, 30, v67
	v_and_b32_e32 v65, 2, v65
	s_waitcnt lgkmcnt(0)
	v_add_u16_e32 v63, 1, v61
	ds_write_b16 v64, v63
	v_lshrrev_b32_e32 v63, 19, v67
	v_and_or_b32 v63, v63, s33, v0
	v_lshl_or_b32 v66, v63, 2, v65
	ds_read_u16 v63, v66
	v_lshrrev_b32_e32 v67, 30, v69
	v_and_b32_e32 v67, 2, v67
	;; [unrolled: 9-line block ×7, first 2 shown]
	s_waitcnt lgkmcnt(0)
	v_add_u16_e32 v75, 1, v73
	ds_write_b16 v76, v75
	v_lshrrev_b32_e32 v75, 19, v79
	v_and_or_b32 v75, v75, s33, v0
	v_lshl_or_b32 v77, v75, 2, v77
	ds_read_u16 v75, v77
	s_waitcnt lgkmcnt(0)
	v_add_u16_e32 v78, 1, v75
	ds_write_b16 v77, v78
	s_waitcnt lgkmcnt(0)
	s_barrier
	ds_read2_b32 v[78:79], v35 offset1:1
	ds_read2_b32 v[80:81], v35 offset0:2 offset1:3
	ds_read2_b32 v[82:83], v35 offset0:4 offset1:5
	;; [unrolled: 1-line block ×3, first 2 shown]
	s_waitcnt lgkmcnt(3)
	v_add_u32_e32 v78, v79, v78
	s_waitcnt lgkmcnt(2)
	v_add3_u32 v78, v78, v80, v81
	s_waitcnt lgkmcnt(1)
	v_add3_u32 v78, v78, v82, v83
	;; [unrolled: 2-line block ×3, first 2 shown]
	s_nop 1
	v_mov_b32_dpp v79, v78 row_shr:1 row_mask:0xf bank_mask:0xf
	v_cndmask_b32_e64 v79, v79, 0, s[8:9]
	v_add_u32_e32 v78, v79, v78
	s_nop 1
	v_mov_b32_dpp v79, v78 row_shr:2 row_mask:0xf bank_mask:0xf
	v_cndmask_b32_e64 v79, 0, v79, s[10:11]
	v_add_u32_e32 v78, v78, v79
	;; [unrolled: 4-line block ×4, first 2 shown]
	s_nop 1
	v_mov_b32_dpp v79, v78 row_bcast:15 row_mask:0xf bank_mask:0xf
	v_cndmask_b32_e64 v79, v79, 0, s[16:17]
	v_add_u32_e32 v78, v78, v79
	s_nop 1
	v_mov_b32_dpp v79, v78 row_bcast:31 row_mask:0xf bank_mask:0xf
	v_cndmask_b32_e64 v79, 0, v79, s[2:3]
	v_add_u32_e32 v78, v78, v79
	s_and_saveexec_b64 s[34:35], s[4:5]
	s_cbranch_execz .LBB129_11
; %bb.10:                               ;   in Loop: Header=BB129_4 Depth=2
	ds_write_b32 v37, v78 offset:16384
.LBB129_11:                             ;   in Loop: Header=BB129_4 Depth=2
	s_or_b64 exec, exec, s[34:35]
	s_waitcnt lgkmcnt(0)
	s_barrier
	s_and_saveexec_b64 s[34:35], vcc
	s_cbranch_execz .LBB129_13
; %bb.12:                               ;   in Loop: Header=BB129_4 Depth=2
	ds_read_b32 v79, v36 offset:16384
	s_waitcnt lgkmcnt(0)
	s_nop 0
	v_mov_b32_dpp v80, v79 row_shr:1 row_mask:0xf bank_mask:0xf
	v_cndmask_b32_e64 v80, v80, 0, s[18:19]
	v_add_u32_e32 v79, v80, v79
	s_nop 1
	v_mov_b32_dpp v80, v79 row_shr:2 row_mask:0xf bank_mask:0xf
	v_cndmask_b32_e64 v80, 0, v80, s[20:21]
	v_add_u32_e32 v79, v79, v80
	;; [unrolled: 4-line block ×3, first 2 shown]
	ds_write_b32 v36, v79 offset:16384
.LBB129_13:                             ;   in Loop: Header=BB129_4 Depth=2
	s_or_b64 exec, exec, s[34:35]
	v_mov_b32_e32 v79, 0
	s_waitcnt lgkmcnt(0)
	s_barrier
	s_and_saveexec_b64 s[34:35], s[0:1]
	s_cbranch_execz .LBB129_3
; %bb.14:                               ;   in Loop: Header=BB129_4 Depth=2
	ds_read_b32 v79, v37 offset:16380
	s_branch .LBB129_3
.LBB129_15:                             ;   in Loop: Header=BB129_4 Depth=2
	ds_write_b32 v41, v1
	s_or_b64 exec, exec, s[34:35]
	s_and_saveexec_b64 s[34:35], s[24:25]
	s_cbranch_execz .LBB129_6
.LBB129_16:                             ;   in Loop: Header=BB129_4 Depth=2
	ds_write_b32 v42, v1
	s_or_b64 exec, exec, s[34:35]
	s_and_saveexec_b64 s[34:35], s[24:25]
	s_cbranch_execz .LBB129_7
.LBB129_17:                             ;   in Loop: Header=BB129_4 Depth=2
	ds_write_b32 v43, v1
	s_or_b64 exec, exec, s[34:35]
	s_and_saveexec_b64 s[34:35], s[24:25]
	s_cbranch_execnz .LBB129_8
	s_branch .LBB129_9
.LBB129_18:
	ds_read_u16 v0, v77
	ds_read_u16 v1, v76
	ds_read_u16 v4, v74
	ds_read_u16 v5, v72
	ds_read_u16 v6, v70
	ds_read_u16 v8, v68
	ds_read_u16 v9, v66
	ds_read_u16 v10, v64
	ds_read_u16 v11, v62
	ds_read_u16 v12, v60
	ds_read_u16 v13, v58
	ds_read_u16 v14, v56
	ds_read_u16 v15, v54
	ds_read_u16 v16, v52
	ds_read_u16 v17, v50
	ds_read_u16 v18, v48
	s_lshl_b64 s[0:1], s[28:29], 2
	s_add_u32 s0, s26, s0
	s_waitcnt lgkmcnt(14)
	v_add_u32_sdwa v3, v0, v75 dst_sel:DWORD dst_unused:UNUSED_PAD src0_sel:DWORD src1_sel:WORD_0
	v_add_u32_sdwa v2, v1, v73 dst_sel:DWORD dst_unused:UNUSED_PAD src0_sel:DWORD src1_sel:WORD_0
	s_waitcnt lgkmcnt(13)
	v_add_u32_sdwa v1, v4, v71 dst_sel:DWORD dst_unused:UNUSED_PAD src0_sel:DWORD src1_sel:WORD_0
	s_waitcnt lgkmcnt(12)
	;; [unrolled: 2-line block ×13, first 2 shown]
	v_add_u32_sdwa v12, v18, v46 dst_sel:DWORD dst_unused:UNUSED_PAD src0_sel:DWORD src1_sel:WORD_0
	s_addc_u32 s1, s27, s1
	v_lshlrev_b32_e32 v16, 2, v34
	v_add_u32_sdwa v11, v11, v59 dst_sel:DWORD dst_unused:UNUSED_PAD src0_sel:DWORD src1_sel:WORD_0
	global_store_dwordx4 v16, v[12:15], s[0:1]
	global_store_dwordx4 v16, v[8:11], s[0:1] offset:16
	global_store_dwordx4 v16, v[4:7], s[0:1] offset:32
	global_store_dwordx4 v16, v[0:3], s[0:1] offset:48
	s_endpgm
	.section	.rodata,"a",@progbits
	.p2align	6, 0x0
	.amdhsa_kernel _Z11rank_kernelIxLj4ELb0EL18RadixRankAlgorithm0ELj512ELj16ELj10EEvPKT_Pi
		.amdhsa_group_segment_fixed_size 16416
		.amdhsa_private_segment_fixed_size 0
		.amdhsa_kernarg_size 16
		.amdhsa_user_sgpr_count 6
		.amdhsa_user_sgpr_private_segment_buffer 1
		.amdhsa_user_sgpr_dispatch_ptr 0
		.amdhsa_user_sgpr_queue_ptr 0
		.amdhsa_user_sgpr_kernarg_segment_ptr 1
		.amdhsa_user_sgpr_dispatch_id 0
		.amdhsa_user_sgpr_flat_scratch_init 0
		.amdhsa_user_sgpr_kernarg_preload_length 0
		.amdhsa_user_sgpr_kernarg_preload_offset 0
		.amdhsa_user_sgpr_private_segment_size 0
		.amdhsa_uses_dynamic_stack 0
		.amdhsa_system_sgpr_private_segment_wavefront_offset 0
		.amdhsa_system_sgpr_workgroup_id_x 1
		.amdhsa_system_sgpr_workgroup_id_y 0
		.amdhsa_system_sgpr_workgroup_id_z 0
		.amdhsa_system_sgpr_workgroup_info 0
		.amdhsa_system_vgpr_workitem_id 0
		.amdhsa_next_free_vgpr 86
		.amdhsa_next_free_sgpr 38
		.amdhsa_accum_offset 88
		.amdhsa_reserve_vcc 1
		.amdhsa_reserve_flat_scratch 0
		.amdhsa_float_round_mode_32 0
		.amdhsa_float_round_mode_16_64 0
		.amdhsa_float_denorm_mode_32 3
		.amdhsa_float_denorm_mode_16_64 3
		.amdhsa_dx10_clamp 1
		.amdhsa_ieee_mode 1
		.amdhsa_fp16_overflow 0
		.amdhsa_tg_split 0
		.amdhsa_exception_fp_ieee_invalid_op 0
		.amdhsa_exception_fp_denorm_src 0
		.amdhsa_exception_fp_ieee_div_zero 0
		.amdhsa_exception_fp_ieee_overflow 0
		.amdhsa_exception_fp_ieee_underflow 0
		.amdhsa_exception_fp_ieee_inexact 0
		.amdhsa_exception_int_div_zero 0
	.end_amdhsa_kernel
	.section	.text._Z11rank_kernelIxLj4ELb0EL18RadixRankAlgorithm0ELj512ELj16ELj10EEvPKT_Pi,"axG",@progbits,_Z11rank_kernelIxLj4ELb0EL18RadixRankAlgorithm0ELj512ELj16ELj10EEvPKT_Pi,comdat
.Lfunc_end129:
	.size	_Z11rank_kernelIxLj4ELb0EL18RadixRankAlgorithm0ELj512ELj16ELj10EEvPKT_Pi, .Lfunc_end129-_Z11rank_kernelIxLj4ELb0EL18RadixRankAlgorithm0ELj512ELj16ELj10EEvPKT_Pi
                                        ; -- End function
	.section	.AMDGPU.csdata,"",@progbits
; Kernel info:
; codeLenInByte = 2596
; NumSgprs: 42
; NumVgprs: 86
; NumAgprs: 0
; TotalNumVgprs: 86
; ScratchSize: 0
; MemoryBound: 0
; FloatMode: 240
; IeeeMode: 1
; LDSByteSize: 16416 bytes/workgroup (compile time only)
; SGPRBlocks: 5
; VGPRBlocks: 10
; NumSGPRsForWavesPerEU: 42
; NumVGPRsForWavesPerEU: 86
; AccumOffset: 88
; Occupancy: 5
; WaveLimiterHint : 0
; COMPUTE_PGM_RSRC2:SCRATCH_EN: 0
; COMPUTE_PGM_RSRC2:USER_SGPR: 6
; COMPUTE_PGM_RSRC2:TRAP_HANDLER: 0
; COMPUTE_PGM_RSRC2:TGID_X_EN: 1
; COMPUTE_PGM_RSRC2:TGID_Y_EN: 0
; COMPUTE_PGM_RSRC2:TGID_Z_EN: 0
; COMPUTE_PGM_RSRC2:TIDIG_COMP_CNT: 0
; COMPUTE_PGM_RSRC3_GFX90A:ACCUM_OFFSET: 21
; COMPUTE_PGM_RSRC3_GFX90A:TG_SPLIT: 0
	.section	.text._Z11rank_kernelIxLj4ELb0EL18RadixRankAlgorithm1ELj512ELj16ELj10EEvPKT_Pi,"axG",@progbits,_Z11rank_kernelIxLj4ELb0EL18RadixRankAlgorithm1ELj512ELj16ELj10EEvPKT_Pi,comdat
	.protected	_Z11rank_kernelIxLj4ELb0EL18RadixRankAlgorithm1ELj512ELj16ELj10EEvPKT_Pi ; -- Begin function _Z11rank_kernelIxLj4ELb0EL18RadixRankAlgorithm1ELj512ELj16ELj10EEvPKT_Pi
	.globl	_Z11rank_kernelIxLj4ELb0EL18RadixRankAlgorithm1ELj512ELj16ELj10EEvPKT_Pi
	.p2align	8
	.type	_Z11rank_kernelIxLj4ELb0EL18RadixRankAlgorithm1ELj512ELj16ELj10EEvPKT_Pi,@function
_Z11rank_kernelIxLj4ELb0EL18RadixRankAlgorithm1ELj512ELj16ELj10EEvPKT_Pi: ; @_Z11rank_kernelIxLj4ELb0EL18RadixRankAlgorithm1ELj512ELj16ELj10EEvPKT_Pi
; %bb.0:
	s_load_dwordx4 s[24:27], s[4:5], 0x0
	s_lshl_b32 s28, s6, 13
	s_mov_b32 s29, 0
	s_lshl_b64 s[0:1], s[28:29], 3
	v_lshlrev_b32_e32 v1, 7, v0
	s_waitcnt lgkmcnt(0)
	s_add_u32 s0, s24, s0
	s_addc_u32 s1, s25, s1
	global_load_dwordx4 v[2:5], v1, s[0:1]
	global_load_dwordx4 v[6:9], v1, s[0:1] offset:16
	global_load_dwordx4 v[10:13], v1, s[0:1] offset:32
	;; [unrolled: 1-line block ×7, first 2 shown]
	v_mbcnt_lo_u32_b32 v36, -1, 0
	v_mbcnt_hi_u32_b32 v36, -1, v36
	v_or_b32_e32 v37, 63, v0
	v_cmp_eq_u32_e64 s[4:5], v37, v0
	v_add_u32_e32 v37, -1, v36
	v_and_b32_e32 v41, 64, v36
	v_lshrrev_b32_e32 v38, 4, v0
	v_cmp_lt_i32_e64 s[18:19], v37, v41
	v_lshlrev_b32_e32 v44, 2, v0
	v_and_b32_e32 v39, 15, v36
	v_and_b32_e32 v40, 16, v36
	v_cmp_lt_u32_e64 s[2:3], 31, v36
	v_cmp_eq_u32_e64 s[6:7], 0, v36
	v_and_b32_e32 v45, 28, v38
	v_and_b32_e32 v38, 7, v36
	v_cndmask_b32_e64 v36, v37, v36, s[18:19]
	v_mov_b32_e32 v1, 0
	s_mov_b64 s[24:25], -1
	s_movk_i32 s33, 0xe00
	v_lshlrev_b32_e32 v34, 4, v0
	v_lshlrev_b32_e32 v35, 5, v0
	v_cmp_gt_u32_e32 vcc, 8, v0
	v_cmp_lt_u32_e64 s[0:1], 63, v0
	v_or_b32_e32 v46, 0x800, v44
	v_or_b32_e32 v47, 0x1000, v44
	;; [unrolled: 1-line block ×7, first 2 shown]
	v_cmp_eq_u32_e64 s[8:9], 0, v39
	v_cmp_lt_u32_e64 s[10:11], 1, v39
	v_cmp_lt_u32_e64 s[12:13], 3, v39
	v_cmp_lt_u32_e64 s[14:15], 7, v39
	v_cmp_eq_u32_e64 s[16:17], 0, v40
	v_cmp_eq_u32_e64 s[18:19], 0, v38
	v_cmp_lt_u32_e64 s[20:21], 1, v38
	v_cmp_lt_u32_e64 s[22:23], 3, v38
	v_lshlrev_b32_e32 v53, 2, v36
	s_mov_b32 s36, s29
	s_waitcnt vmcnt(7)
	v_xor_b32_e32 v3, 0x80000000, v3
	v_xor_b32_e32 v5, 0x80000000, v5
	s_waitcnt vmcnt(6)
	v_xor_b32_e32 v7, 0x80000000, v7
	v_xor_b32_e32 v9, 0x80000000, v9
	;; [unrolled: 3-line block ×8, first 2 shown]
	s_branch .LBB130_2
.LBB130_1:                              ;   in Loop: Header=BB130_2 Depth=1
	s_add_i32 s36, s36, 1
	s_cmp_eq_u32 s36, 10
	s_cbranch_scc1 .LBB130_18
.LBB130_2:                              ; =>This Loop Header: Depth=1
                                        ;     Child Loop BB130_4 Depth 2
	s_mov_b32 s37, -4
	s_mov_b64 s[30:31], 60
	s_branch .LBB130_4
.LBB130_3:                              ;   in Loop: Header=BB130_4 Depth=2
	s_or_b64 exec, exec, s[34:35]
	s_waitcnt lgkmcnt(0)
	v_add_u32_e32 v37, v86, v37
	ds_bpermute_b32 v37, v53, v37
	ds_read_b32 v87, v1 offset:16412
	s_add_i32 s37, s37, 4
	s_add_u32 s30, s30, -4
	s_addc_u32 s31, s31, -1
	s_waitcnt lgkmcnt(1)
	v_cndmask_b32_e64 v37, v37, v86, s[6:7]
	s_waitcnt lgkmcnt(0)
	v_lshl_add_u32 v37, v87, 16, v37
	v_add_u32_e32 v42, v37, v42
	v_add_u32_e32 v43, v42, v43
	ds_write2_b32 v35, v37, v42 offset1:1
	v_add_u32_e32 v37, v43, v40
	v_add_u32_e32 v40, v37, v41
	ds_write2_b32 v35, v43, v37 offset0:2 offset1:3
	v_add_u32_e32 v37, v40, v38
	v_add_u32_e32 v38, v37, v39
	;; [unrolled: 1-line block ×3, first 2 shown]
	s_cmp_lt_u32 s37, 60
	ds_write2_b32 v35, v40, v37 offset0:4 offset1:5
	ds_write2_b32 v35, v38, v36 offset0:6 offset1:7
	s_waitcnt lgkmcnt(0)
	s_barrier
	s_cbranch_scc0 .LBB130_1
.LBB130_4:                              ;   Parent Loop BB130_2 Depth=1
                                        ; =>  This Inner Loop Header: Depth=2
	ds_write_b32 v44, v1
	ds_write_b32 v46, v1
	;; [unrolled: 1-line block ×4, first 2 shown]
	s_and_saveexec_b64 s[34:35], s[24:25]
	s_cbranch_execnz .LBB130_15
; %bb.5:                                ;   in Loop: Header=BB130_4 Depth=2
	s_or_b64 exec, exec, s[34:35]
	s_and_saveexec_b64 s[34:35], s[24:25]
	s_cbranch_execnz .LBB130_16
.LBB130_6:                              ;   in Loop: Header=BB130_4 Depth=2
	s_or_b64 exec, exec, s[34:35]
	s_and_saveexec_b64 s[34:35], s[24:25]
	s_cbranch_execnz .LBB130_17
.LBB130_7:                              ;   in Loop: Header=BB130_4 Depth=2
	s_or_b64 exec, exec, s[34:35]
	s_and_saveexec_b64 s[34:35], s[24:25]
	s_cbranch_execz .LBB130_9
.LBB130_8:                              ;   in Loop: Header=BB130_4 Depth=2
	ds_write_b32 v52, v1
.LBB130_9:                              ;   in Loop: Header=BB130_4 Depth=2
	s_or_b64 exec, exec, s[34:35]
	v_lshlrev_b64 v[36:37], s30, v[2:3]
	v_lshrrev_b32_e32 v36, 19, v37
	v_lshrrev_b32_e32 v37, 30, v37
	v_and_or_b32 v36, v36, s33, v0
	v_and_b32_e32 v37, 2, v37
	v_lshl_or_b32 v56, v36, 2, v37
	ds_read_u16 v54, v56
	v_lshlrev_b64 v[36:37], s30, v[4:5]
	v_lshrrev_b32_e32 v36, 19, v37
	v_lshrrev_b32_e32 v37, 30, v37
	v_and_or_b32 v36, v36, s33, v0
	s_waitcnt lgkmcnt(0)
	v_add_u16_e32 v38, 1, v54
	v_and_b32_e32 v37, 2, v37
	ds_write_b16 v56, v38
	v_lshl_or_b32 v58, v36, 2, v37
	ds_read_u16 v55, v58
	s_waitcnt lgkmcnt(0)
	v_add_u16_e32 v36, 1, v55
	ds_write_b16 v58, v36
	v_lshlrev_b64 v[36:37], s30, v[6:7]
	v_lshrrev_b32_e32 v36, 19, v37
	v_lshrrev_b32_e32 v37, 30, v37
	v_and_or_b32 v36, v36, s33, v0
	v_and_b32_e32 v37, 2, v37
	v_lshl_or_b32 v60, v36, 2, v37
	ds_read_u16 v57, v60
	s_waitcnt lgkmcnt(0)
	v_add_u16_e32 v36, 1, v57
	ds_write_b16 v60, v36
	v_lshlrev_b64 v[36:37], s30, v[8:9]
	v_lshrrev_b32_e32 v36, 19, v37
	v_lshrrev_b32_e32 v37, 30, v37
	v_and_or_b32 v36, v36, s33, v0
	v_and_b32_e32 v37, 2, v37
	;; [unrolled: 10-line block ×14, first 2 shown]
	v_lshl_or_b32 v85, v36, 2, v37
	ds_read_u16 v83, v85
	s_waitcnt lgkmcnt(0)
	v_add_u16_e32 v36, 1, v83
	ds_write_b16 v85, v36
	s_waitcnt lgkmcnt(0)
	s_barrier
	ds_read2_b32 v[42:43], v35 offset1:1
	ds_read2_b32 v[40:41], v35 offset0:2 offset1:3
	ds_read2_b32 v[38:39], v35 offset0:4 offset1:5
	;; [unrolled: 1-line block ×3, first 2 shown]
	s_waitcnt lgkmcnt(3)
	v_add_u32_e32 v86, v43, v42
	s_waitcnt lgkmcnt(2)
	v_add3_u32 v86, v86, v40, v41
	s_waitcnt lgkmcnt(1)
	v_add3_u32 v86, v86, v38, v39
	;; [unrolled: 2-line block ×3, first 2 shown]
	s_nop 1
	v_mov_b32_dpp v86, v37 row_shr:1 row_mask:0xf bank_mask:0xf
	v_cndmask_b32_e64 v86, v86, 0, s[8:9]
	v_add_u32_e32 v37, v86, v37
	s_nop 1
	v_mov_b32_dpp v86, v37 row_shr:2 row_mask:0xf bank_mask:0xf
	v_cndmask_b32_e64 v86, 0, v86, s[10:11]
	v_add_u32_e32 v37, v37, v86
	;; [unrolled: 4-line block ×4, first 2 shown]
	s_nop 1
	v_mov_b32_dpp v86, v37 row_bcast:15 row_mask:0xf bank_mask:0xf
	v_cndmask_b32_e64 v86, v86, 0, s[16:17]
	v_add_u32_e32 v37, v37, v86
	s_nop 1
	v_mov_b32_dpp v86, v37 row_bcast:31 row_mask:0xf bank_mask:0xf
	v_cndmask_b32_e64 v86, 0, v86, s[2:3]
	v_add_u32_e32 v37, v37, v86
	s_and_saveexec_b64 s[34:35], s[4:5]
	s_cbranch_execz .LBB130_11
; %bb.10:                               ;   in Loop: Header=BB130_4 Depth=2
	ds_write_b32 v45, v37 offset:16384
.LBB130_11:                             ;   in Loop: Header=BB130_4 Depth=2
	s_or_b64 exec, exec, s[34:35]
	s_waitcnt lgkmcnt(0)
	s_barrier
	s_and_saveexec_b64 s[34:35], vcc
	s_cbranch_execz .LBB130_13
; %bb.12:                               ;   in Loop: Header=BB130_4 Depth=2
	ds_read_b32 v86, v44 offset:16384
	s_waitcnt lgkmcnt(0)
	s_nop 0
	v_mov_b32_dpp v87, v86 row_shr:1 row_mask:0xf bank_mask:0xf
	v_cndmask_b32_e64 v87, v87, 0, s[18:19]
	v_add_u32_e32 v86, v87, v86
	s_nop 1
	v_mov_b32_dpp v87, v86 row_shr:2 row_mask:0xf bank_mask:0xf
	v_cndmask_b32_e64 v87, 0, v87, s[20:21]
	v_add_u32_e32 v86, v86, v87
	;; [unrolled: 4-line block ×3, first 2 shown]
	ds_write_b32 v44, v86 offset:16384
.LBB130_13:                             ;   in Loop: Header=BB130_4 Depth=2
	s_or_b64 exec, exec, s[34:35]
	v_mov_b32_e32 v86, 0
	s_waitcnt lgkmcnt(0)
	s_barrier
	s_and_saveexec_b64 s[34:35], s[0:1]
	s_cbranch_execz .LBB130_3
; %bb.14:                               ;   in Loop: Header=BB130_4 Depth=2
	ds_read_b32 v86, v45 offset:16380
	s_branch .LBB130_3
.LBB130_15:                             ;   in Loop: Header=BB130_4 Depth=2
	ds_write_b32 v49, v1
	s_or_b64 exec, exec, s[34:35]
	s_and_saveexec_b64 s[34:35], s[24:25]
	s_cbranch_execz .LBB130_6
.LBB130_16:                             ;   in Loop: Header=BB130_4 Depth=2
	ds_write_b32 v50, v1
	s_or_b64 exec, exec, s[34:35]
	s_and_saveexec_b64 s[34:35], s[24:25]
	s_cbranch_execz .LBB130_7
.LBB130_17:                             ;   in Loop: Header=BB130_4 Depth=2
	ds_write_b32 v51, v1
	s_or_b64 exec, exec, s[34:35]
	s_and_saveexec_b64 s[34:35], s[24:25]
	s_cbranch_execnz .LBB130_8
	s_branch .LBB130_9
.LBB130_18:
	ds_read_u16 v0, v85
	ds_read_u16 v1, v84
	;; [unrolled: 1-line block ×16, first 2 shown]
	s_lshl_b64 s[0:1], s[28:29], 2
	s_add_u32 s0, s26, s0
	s_waitcnt lgkmcnt(14)
	v_add_u32_sdwa v3, v0, v83 dst_sel:DWORD dst_unused:UNUSED_PAD src0_sel:DWORD src1_sel:WORD_0
	v_add_u32_sdwa v2, v1, v81 dst_sel:DWORD dst_unused:UNUSED_PAD src0_sel:DWORD src1_sel:WORD_0
	s_waitcnt lgkmcnt(13)
	v_add_u32_sdwa v1, v4, v79 dst_sel:DWORD dst_unused:UNUSED_PAD src0_sel:DWORD src1_sel:WORD_0
	s_waitcnt lgkmcnt(12)
	v_add_u32_sdwa v0, v5, v77 dst_sel:DWORD dst_unused:UNUSED_PAD src0_sel:DWORD src1_sel:WORD_0
	s_waitcnt lgkmcnt(11)
	v_add_u32_sdwa v7, v6, v75 dst_sel:DWORD dst_unused:UNUSED_PAD src0_sel:DWORD src1_sel:WORD_0
	s_waitcnt lgkmcnt(10)
	v_add_u32_sdwa v6, v8, v73 dst_sel:DWORD dst_unused:UNUSED_PAD src0_sel:DWORD src1_sel:WORD_0
	s_waitcnt lgkmcnt(9)
	v_add_u32_sdwa v5, v9, v71 dst_sel:DWORD dst_unused:UNUSED_PAD src0_sel:DWORD src1_sel:WORD_0
	s_waitcnt lgkmcnt(8)
	v_add_u32_sdwa v4, v10, v69 dst_sel:DWORD dst_unused:UNUSED_PAD src0_sel:DWORD src1_sel:WORD_0
	s_waitcnt lgkmcnt(6)
	v_add_u32_sdwa v10, v12, v65 dst_sel:DWORD dst_unused:UNUSED_PAD src0_sel:DWORD src1_sel:WORD_0
	s_waitcnt lgkmcnt(5)
	v_add_u32_sdwa v9, v13, v63 dst_sel:DWORD dst_unused:UNUSED_PAD src0_sel:DWORD src1_sel:WORD_0
	s_waitcnt lgkmcnt(4)
	v_add_u32_sdwa v8, v14, v61 dst_sel:DWORD dst_unused:UNUSED_PAD src0_sel:DWORD src1_sel:WORD_0
	s_waitcnt lgkmcnt(3)
	v_add_u32_sdwa v15, v15, v59 dst_sel:DWORD dst_unused:UNUSED_PAD src0_sel:DWORD src1_sel:WORD_0
	s_waitcnt lgkmcnt(2)
	v_add_u32_sdwa v14, v16, v57 dst_sel:DWORD dst_unused:UNUSED_PAD src0_sel:DWORD src1_sel:WORD_0
	s_waitcnt lgkmcnt(1)
	v_add_u32_sdwa v13, v17, v55 dst_sel:DWORD dst_unused:UNUSED_PAD src0_sel:DWORD src1_sel:WORD_0
	s_waitcnt lgkmcnt(0)
	v_add_u32_sdwa v12, v18, v54 dst_sel:DWORD dst_unused:UNUSED_PAD src0_sel:DWORD src1_sel:WORD_0
	s_addc_u32 s1, s27, s1
	v_lshlrev_b32_e32 v16, 2, v34
	v_add_u32_sdwa v11, v11, v67 dst_sel:DWORD dst_unused:UNUSED_PAD src0_sel:DWORD src1_sel:WORD_0
	global_store_dwordx4 v16, v[12:15], s[0:1]
	global_store_dwordx4 v16, v[8:11], s[0:1] offset:16
	global_store_dwordx4 v16, v[4:7], s[0:1] offset:32
	;; [unrolled: 1-line block ×3, first 2 shown]
	s_endpgm
	.section	.rodata,"a",@progbits
	.p2align	6, 0x0
	.amdhsa_kernel _Z11rank_kernelIxLj4ELb0EL18RadixRankAlgorithm1ELj512ELj16ELj10EEvPKT_Pi
		.amdhsa_group_segment_fixed_size 16416
		.amdhsa_private_segment_fixed_size 0
		.amdhsa_kernarg_size 16
		.amdhsa_user_sgpr_count 6
		.amdhsa_user_sgpr_private_segment_buffer 1
		.amdhsa_user_sgpr_dispatch_ptr 0
		.amdhsa_user_sgpr_queue_ptr 0
		.amdhsa_user_sgpr_kernarg_segment_ptr 1
		.amdhsa_user_sgpr_dispatch_id 0
		.amdhsa_user_sgpr_flat_scratch_init 0
		.amdhsa_user_sgpr_kernarg_preload_length 0
		.amdhsa_user_sgpr_kernarg_preload_offset 0
		.amdhsa_user_sgpr_private_segment_size 0
		.amdhsa_uses_dynamic_stack 0
		.amdhsa_system_sgpr_private_segment_wavefront_offset 0
		.amdhsa_system_sgpr_workgroup_id_x 1
		.amdhsa_system_sgpr_workgroup_id_y 0
		.amdhsa_system_sgpr_workgroup_id_z 0
		.amdhsa_system_sgpr_workgroup_info 0
		.amdhsa_system_vgpr_workitem_id 0
		.amdhsa_next_free_vgpr 88
		.amdhsa_next_free_sgpr 38
		.amdhsa_accum_offset 88
		.amdhsa_reserve_vcc 1
		.amdhsa_reserve_flat_scratch 0
		.amdhsa_float_round_mode_32 0
		.amdhsa_float_round_mode_16_64 0
		.amdhsa_float_denorm_mode_32 3
		.amdhsa_float_denorm_mode_16_64 3
		.amdhsa_dx10_clamp 1
		.amdhsa_ieee_mode 1
		.amdhsa_fp16_overflow 0
		.amdhsa_tg_split 0
		.amdhsa_exception_fp_ieee_invalid_op 0
		.amdhsa_exception_fp_denorm_src 0
		.amdhsa_exception_fp_ieee_div_zero 0
		.amdhsa_exception_fp_ieee_overflow 0
		.amdhsa_exception_fp_ieee_underflow 0
		.amdhsa_exception_fp_ieee_inexact 0
		.amdhsa_exception_int_div_zero 0
	.end_amdhsa_kernel
	.section	.text._Z11rank_kernelIxLj4ELb0EL18RadixRankAlgorithm1ELj512ELj16ELj10EEvPKT_Pi,"axG",@progbits,_Z11rank_kernelIxLj4ELb0EL18RadixRankAlgorithm1ELj512ELj16ELj10EEvPKT_Pi,comdat
.Lfunc_end130:
	.size	_Z11rank_kernelIxLj4ELb0EL18RadixRankAlgorithm1ELj512ELj16ELj10EEvPKT_Pi, .Lfunc_end130-_Z11rank_kernelIxLj4ELb0EL18RadixRankAlgorithm1ELj512ELj16ELj10EEvPKT_Pi
                                        ; -- End function
	.section	.AMDGPU.csdata,"",@progbits
; Kernel info:
; codeLenInByte = 2548
; NumSgprs: 42
; NumVgprs: 88
; NumAgprs: 0
; TotalNumVgprs: 88
; ScratchSize: 0
; MemoryBound: 0
; FloatMode: 240
; IeeeMode: 1
; LDSByteSize: 16416 bytes/workgroup (compile time only)
; SGPRBlocks: 5
; VGPRBlocks: 10
; NumSGPRsForWavesPerEU: 42
; NumVGPRsForWavesPerEU: 88
; AccumOffset: 88
; Occupancy: 5
; WaveLimiterHint : 0
; COMPUTE_PGM_RSRC2:SCRATCH_EN: 0
; COMPUTE_PGM_RSRC2:USER_SGPR: 6
; COMPUTE_PGM_RSRC2:TRAP_HANDLER: 0
; COMPUTE_PGM_RSRC2:TGID_X_EN: 1
; COMPUTE_PGM_RSRC2:TGID_Y_EN: 0
; COMPUTE_PGM_RSRC2:TGID_Z_EN: 0
; COMPUTE_PGM_RSRC2:TIDIG_COMP_CNT: 0
; COMPUTE_PGM_RSRC3_GFX90A:ACCUM_OFFSET: 21
; COMPUTE_PGM_RSRC3_GFX90A:TG_SPLIT: 0
	.section	.text._Z11rank_kernelIxLj4ELb0EL18RadixRankAlgorithm2ELj512ELj16ELj10EEvPKT_Pi,"axG",@progbits,_Z11rank_kernelIxLj4ELb0EL18RadixRankAlgorithm2ELj512ELj16ELj10EEvPKT_Pi,comdat
	.protected	_Z11rank_kernelIxLj4ELb0EL18RadixRankAlgorithm2ELj512ELj16ELj10EEvPKT_Pi ; -- Begin function _Z11rank_kernelIxLj4ELb0EL18RadixRankAlgorithm2ELj512ELj16ELj10EEvPKT_Pi
	.globl	_Z11rank_kernelIxLj4ELb0EL18RadixRankAlgorithm2ELj512ELj16ELj10EEvPKT_Pi
	.p2align	8
	.type	_Z11rank_kernelIxLj4ELb0EL18RadixRankAlgorithm2ELj512ELj16ELj10EEvPKT_Pi,@function
_Z11rank_kernelIxLj4ELb0EL18RadixRankAlgorithm2ELj512ELj16ELj10EEvPKT_Pi: ; @_Z11rank_kernelIxLj4ELb0EL18RadixRankAlgorithm2ELj512ELj16ELj10EEvPKT_Pi
; %bb.0:
	s_load_dwordx4 s[28:31], s[4:5], 0x0
	s_load_dword s24, s[4:5], 0x1c
	s_lshl_b32 s34, s6, 13
	s_mov_b32 s35, 0
	s_lshl_b64 s[0:1], s[34:35], 3
	s_waitcnt lgkmcnt(0)
	s_add_u32 s0, s28, s0
	v_and_b32_e32 v36, 0x3ff, v0
	s_addc_u32 s1, s29, s1
	v_lshlrev_b32_e32 v1, 7, v36
	global_load_dwordx4 v[2:5], v1, s[0:1]
	global_load_dwordx4 v[6:9], v1, s[0:1] offset:16
	global_load_dwordx4 v[10:13], v1, s[0:1] offset:32
	;; [unrolled: 1-line block ×7, first 2 shown]
	v_mbcnt_lo_u32_b32 v1, -1, 0
	v_mbcnt_hi_u32_b32 v38, -1, v1
	v_bfe_u32 v35, v0, 10, 10
	v_bfe_u32 v37, v0, 20, 10
	v_add_u32_e32 v42, -1, v38
	v_and_b32_e32 v43, 64, v38
	s_lshr_b32 s25, s24, 16
	v_and_b32_e32 v39, 15, v38
	v_or_b32_e32 v41, 63, v36
	v_lshrrev_b32_e32 v44, 4, v36
	v_cmp_lt_i32_e64 s[18:19], v42, v43
	s_and_b32 s24, s24, 0xffff
	v_mad_u32_u24 v35, v37, s25, v35
	v_lshlrev_b32_e32 v0, 4, v36
	v_lshlrev_b32_e32 v1, 2, v36
	v_and_b32_e32 v40, 16, v38
	v_cmp_lt_u32_e32 vcc, 31, v38
	v_cmp_gt_u32_e64 s[0:1], 8, v36
	v_cmp_lt_u32_e64 s[2:3], 63, v36
	v_cmp_eq_u32_e64 s[4:5], 0, v38
	v_and_b32_e32 v45, 7, v38
	v_cmp_eq_u32_e64 s[6:7], 0, v39
	v_cmp_lt_u32_e64 s[8:9], 1, v39
	v_cmp_lt_u32_e64 s[10:11], 3, v39
	;; [unrolled: 1-line block ×3, first 2 shown]
	v_cmp_eq_u32_e64 s[16:17], v41, v36
	v_cndmask_b32_e64 v39, v42, v38, s[18:19]
	v_and_b32_e32 v38, 28, v44
	v_mad_u64_u32 v[36:37], s[24:25], v35, s24, v[36:37]
	v_mov_b32_e32 v34, 0
	v_cmp_eq_u32_e64 s[14:15], 0, v40
	v_cmp_eq_u32_e64 s[18:19], 0, v45
	v_cmp_lt_u32_e64 s[20:21], 1, v45
	v_cmp_lt_u32_e64 s[22:23], 3, v45
	v_lshlrev_b32_e32 v39, 2, v39
	v_add_u32_e32 v40, -4, v38
	v_lshrrev_b32_e32 v41, 6, v36
	s_mov_b32 s33, s35
	s_waitcnt vmcnt(7)
	v_xor_b32_e32 v3, 0x80000000, v3
	v_xor_b32_e32 v5, 0x80000000, v5
	s_waitcnt vmcnt(6)
	v_xor_b32_e32 v7, 0x80000000, v7
	v_xor_b32_e32 v9, 0x80000000, v9
	;; [unrolled: 3-line block ×8, first 2 shown]
	s_branch .LBB131_2
.LBB131_1:                              ;   in Loop: Header=BB131_2 Depth=1
	s_add_i32 s33, s33, 1
	s_cmp_eq_u32 s33, 10
	s_cbranch_scc1 .LBB131_42
.LBB131_2:                              ; =>This Loop Header: Depth=1
                                        ;     Child Loop BB131_4 Depth 2
	s_mov_b64 s[28:29], 60
	s_mov_b32 s36, -4
	s_branch .LBB131_4
.LBB131_3:                              ;   in Loop: Header=BB131_4 Depth=2
	s_or_b64 exec, exec, s[24:25]
	s_waitcnt lgkmcnt(0)
	v_add_u32_e32 v36, v37, v36
	ds_bpermute_b32 v36, v39, v36
	s_add_i32 s36, s36, 4
	s_add_u32 s28, s28, -4
	s_addc_u32 s29, s29, -1
	s_cmp_lt_u32 s36, 60
	s_waitcnt lgkmcnt(0)
	v_cndmask_b32_e64 v36, v36, v37, s[4:5]
	ds_write_b32 v1, v36 offset:32
	s_waitcnt lgkmcnt(0)
	s_barrier
	s_cbranch_scc0 .LBB131_1
.LBB131_4:                              ;   Parent Loop BB131_2 Depth=1
                                        ; =>  This Inner Loop Header: Depth=2
	v_lshlrev_b64 v[36:37], s28, v[2:3]
	v_lshrrev_b32_e32 v43, 28, v37
	v_mad_u32_u24 v35, v43, 9, v41
	v_lshl_add_u32 v42, v35, 2, 32
	v_bfe_u32 v35, v37, 28, 1
	v_add_co_u32_e64 v44, s[24:25], -1, v35
	v_addc_co_u32_e64 v45, s[24:25], 0, -1, s[24:25]
	v_cmp_ne_u32_e64 s[24:25], 0, v35
	v_xor_b32_e32 v35, s25, v45
	v_and_b32_e32 v45, exec_hi, v35
	v_lshlrev_b32_e32 v35, 30, v43
	v_xor_b32_e32 v44, s24, v44
	v_cmp_gt_i64_e64 s[24:25], 0, v[34:35]
	v_not_b32_e32 v35, v35
	v_ashrrev_i32_e32 v35, 31, v35
	v_and_b32_e32 v44, exec_lo, v44
	v_xor_b32_e32 v46, s25, v35
	v_xor_b32_e32 v35, s24, v35
	v_and_b32_e32 v44, v44, v35
	v_lshlrev_b32_e32 v35, 29, v43
	v_cmp_gt_i64_e64 s[24:25], 0, v[34:35]
	v_not_b32_e32 v35, v35
	v_ashrrev_i32_e32 v35, 31, v35
	v_xor_b32_e32 v43, s25, v35
	v_xor_b32_e32 v35, s24, v35
	v_cmp_gt_i64_e64 s[24:25], 0, v[36:37]
	v_not_b32_e32 v36, v37
	v_ashrrev_i32_e32 v36, 31, v36
	v_and_b32_e32 v45, v45, v46
	v_and_b32_e32 v35, v44, v35
	v_xor_b32_e32 v37, s25, v36
	v_xor_b32_e32 v36, s24, v36
	v_and_b32_e32 v43, v45, v43
	v_and_b32_e32 v36, v35, v36
	;; [unrolled: 1-line block ×3, first 2 shown]
	v_mbcnt_lo_u32_b32 v35, v36, 0
	v_mbcnt_hi_u32_b32 v43, v37, v35
	v_cmp_eq_u32_e64 s[24:25], 0, v43
	v_cmp_ne_u64_e64 s[26:27], 0, v[36:37]
	s_and_b64 s[26:27], s[26:27], s[24:25]
	ds_write_b32 v1, v34 offset:32
	s_waitcnt lgkmcnt(0)
	s_barrier
	s_waitcnt lgkmcnt(0)
	; wave barrier
	s_and_saveexec_b64 s[24:25], s[26:27]
	s_cbranch_execz .LBB131_6
; %bb.5:                                ;   in Loop: Header=BB131_4 Depth=2
	v_bcnt_u32_b32 v35, v36, 0
	v_bcnt_u32_b32 v35, v37, v35
	ds_write_b32 v42, v35
.LBB131_6:                              ;   in Loop: Header=BB131_4 Depth=2
	s_or_b64 exec, exec, s[24:25]
	v_lshlrev_b64 v[36:37], s28, v[4:5]
	v_lshrrev_b32_e32 v46, 28, v37
	v_mul_u32_u24_e32 v35, 9, v46
	v_add_lshl_u32 v35, v41, v35, 2
	; wave barrier
	v_add_u32_e32 v45, 32, v35
	ds_read_b32 v44, v35 offset:32
	v_bfe_u32 v35, v37, 28, 1
	v_add_co_u32_e64 v47, s[24:25], -1, v35
	v_addc_co_u32_e64 v48, s[24:25], 0, -1, s[24:25]
	v_cmp_ne_u32_e64 s[24:25], 0, v35
	v_xor_b32_e32 v35, s25, v48
	v_and_b32_e32 v48, exec_hi, v35
	v_lshlrev_b32_e32 v35, 30, v46
	v_xor_b32_e32 v47, s24, v47
	v_cmp_gt_i64_e64 s[24:25], 0, v[34:35]
	v_not_b32_e32 v35, v35
	v_ashrrev_i32_e32 v35, 31, v35
	v_and_b32_e32 v47, exec_lo, v47
	v_xor_b32_e32 v49, s25, v35
	v_xor_b32_e32 v35, s24, v35
	v_and_b32_e32 v47, v47, v35
	v_lshlrev_b32_e32 v35, 29, v46
	v_cmp_gt_i64_e64 s[24:25], 0, v[34:35]
	v_not_b32_e32 v35, v35
	v_ashrrev_i32_e32 v35, 31, v35
	v_xor_b32_e32 v46, s25, v35
	v_xor_b32_e32 v35, s24, v35
	v_cmp_gt_i64_e64 s[24:25], 0, v[36:37]
	v_not_b32_e32 v36, v37
	v_ashrrev_i32_e32 v36, 31, v36
	v_and_b32_e32 v48, v48, v49
	v_and_b32_e32 v35, v47, v35
	v_xor_b32_e32 v37, s25, v36
	v_xor_b32_e32 v36, s24, v36
	v_and_b32_e32 v46, v48, v46
	v_and_b32_e32 v36, v35, v36
	;; [unrolled: 1-line block ×3, first 2 shown]
	v_mbcnt_lo_u32_b32 v35, v36, 0
	v_mbcnt_hi_u32_b32 v46, v37, v35
	v_cmp_eq_u32_e64 s[24:25], 0, v46
	v_cmp_ne_u64_e64 s[26:27], 0, v[36:37]
	s_and_b64 s[26:27], s[26:27], s[24:25]
	; wave barrier
	s_and_saveexec_b64 s[24:25], s[26:27]
	s_cbranch_execz .LBB131_8
; %bb.7:                                ;   in Loop: Header=BB131_4 Depth=2
	v_bcnt_u32_b32 v35, v36, 0
	v_bcnt_u32_b32 v35, v37, v35
	s_waitcnt lgkmcnt(0)
	v_add_u32_e32 v35, v44, v35
	ds_write_b32 v45, v35
.LBB131_8:                              ;   in Loop: Header=BB131_4 Depth=2
	s_or_b64 exec, exec, s[24:25]
	v_lshlrev_b64 v[36:37], s28, v[6:7]
	v_lshrrev_b32_e32 v49, 28, v37
	v_mul_u32_u24_e32 v35, 9, v49
	v_add_lshl_u32 v35, v41, v35, 2
	; wave barrier
	v_add_u32_e32 v48, 32, v35
	ds_read_b32 v47, v35 offset:32
	v_bfe_u32 v35, v37, 28, 1
	v_add_co_u32_e64 v50, s[24:25], -1, v35
	v_addc_co_u32_e64 v51, s[24:25], 0, -1, s[24:25]
	v_cmp_ne_u32_e64 s[24:25], 0, v35
	v_xor_b32_e32 v35, s25, v51
	v_and_b32_e32 v51, exec_hi, v35
	v_lshlrev_b32_e32 v35, 30, v49
	v_xor_b32_e32 v50, s24, v50
	v_cmp_gt_i64_e64 s[24:25], 0, v[34:35]
	v_not_b32_e32 v35, v35
	v_ashrrev_i32_e32 v35, 31, v35
	v_and_b32_e32 v50, exec_lo, v50
	v_xor_b32_e32 v52, s25, v35
	v_xor_b32_e32 v35, s24, v35
	v_and_b32_e32 v50, v50, v35
	v_lshlrev_b32_e32 v35, 29, v49
	v_cmp_gt_i64_e64 s[24:25], 0, v[34:35]
	v_not_b32_e32 v35, v35
	v_ashrrev_i32_e32 v35, 31, v35
	v_xor_b32_e32 v49, s25, v35
	v_xor_b32_e32 v35, s24, v35
	v_cmp_gt_i64_e64 s[24:25], 0, v[36:37]
	v_not_b32_e32 v36, v37
	v_ashrrev_i32_e32 v36, 31, v36
	v_and_b32_e32 v51, v51, v52
	v_and_b32_e32 v35, v50, v35
	v_xor_b32_e32 v37, s25, v36
	v_xor_b32_e32 v36, s24, v36
	v_and_b32_e32 v49, v51, v49
	v_and_b32_e32 v36, v35, v36
	;; [unrolled: 1-line block ×3, first 2 shown]
	v_mbcnt_lo_u32_b32 v35, v36, 0
	v_mbcnt_hi_u32_b32 v49, v37, v35
	v_cmp_eq_u32_e64 s[24:25], 0, v49
	v_cmp_ne_u64_e64 s[26:27], 0, v[36:37]
	s_and_b64 s[26:27], s[26:27], s[24:25]
	; wave barrier
	s_and_saveexec_b64 s[24:25], s[26:27]
	s_cbranch_execz .LBB131_10
; %bb.9:                                ;   in Loop: Header=BB131_4 Depth=2
	v_bcnt_u32_b32 v35, v36, 0
	v_bcnt_u32_b32 v35, v37, v35
	s_waitcnt lgkmcnt(0)
	v_add_u32_e32 v35, v47, v35
	ds_write_b32 v48, v35
.LBB131_10:                             ;   in Loop: Header=BB131_4 Depth=2
	s_or_b64 exec, exec, s[24:25]
	v_lshlrev_b64 v[36:37], s28, v[8:9]
	v_lshrrev_b32_e32 v52, 28, v37
	v_mul_u32_u24_e32 v35, 9, v52
	v_add_lshl_u32 v35, v41, v35, 2
	; wave barrier
	v_add_u32_e32 v51, 32, v35
	ds_read_b32 v50, v35 offset:32
	v_bfe_u32 v35, v37, 28, 1
	v_add_co_u32_e64 v53, s[24:25], -1, v35
	v_addc_co_u32_e64 v54, s[24:25], 0, -1, s[24:25]
	v_cmp_ne_u32_e64 s[24:25], 0, v35
	v_xor_b32_e32 v35, s25, v54
	v_and_b32_e32 v54, exec_hi, v35
	v_lshlrev_b32_e32 v35, 30, v52
	v_xor_b32_e32 v53, s24, v53
	v_cmp_gt_i64_e64 s[24:25], 0, v[34:35]
	v_not_b32_e32 v35, v35
	v_ashrrev_i32_e32 v35, 31, v35
	v_and_b32_e32 v53, exec_lo, v53
	v_xor_b32_e32 v55, s25, v35
	v_xor_b32_e32 v35, s24, v35
	v_and_b32_e32 v53, v53, v35
	v_lshlrev_b32_e32 v35, 29, v52
	v_cmp_gt_i64_e64 s[24:25], 0, v[34:35]
	v_not_b32_e32 v35, v35
	v_ashrrev_i32_e32 v35, 31, v35
	v_xor_b32_e32 v52, s25, v35
	v_xor_b32_e32 v35, s24, v35
	v_cmp_gt_i64_e64 s[24:25], 0, v[36:37]
	v_not_b32_e32 v36, v37
	v_ashrrev_i32_e32 v36, 31, v36
	v_and_b32_e32 v54, v54, v55
	v_and_b32_e32 v35, v53, v35
	v_xor_b32_e32 v37, s25, v36
	v_xor_b32_e32 v36, s24, v36
	v_and_b32_e32 v52, v54, v52
	v_and_b32_e32 v36, v35, v36
	v_and_b32_e32 v37, v52, v37
	v_mbcnt_lo_u32_b32 v35, v36, 0
	v_mbcnt_hi_u32_b32 v52, v37, v35
	v_cmp_eq_u32_e64 s[24:25], 0, v52
	v_cmp_ne_u64_e64 s[26:27], 0, v[36:37]
	s_and_b64 s[26:27], s[26:27], s[24:25]
	; wave barrier
	s_and_saveexec_b64 s[24:25], s[26:27]
	s_cbranch_execz .LBB131_12
; %bb.11:                               ;   in Loop: Header=BB131_4 Depth=2
	v_bcnt_u32_b32 v35, v36, 0
	v_bcnt_u32_b32 v35, v37, v35
	s_waitcnt lgkmcnt(0)
	v_add_u32_e32 v35, v50, v35
	ds_write_b32 v51, v35
.LBB131_12:                             ;   in Loop: Header=BB131_4 Depth=2
	s_or_b64 exec, exec, s[24:25]
	v_lshlrev_b64 v[36:37], s28, v[10:11]
	v_lshrrev_b32_e32 v55, 28, v37
	v_mul_u32_u24_e32 v35, 9, v55
	v_add_lshl_u32 v35, v41, v35, 2
	; wave barrier
	v_add_u32_e32 v54, 32, v35
	ds_read_b32 v53, v35 offset:32
	v_bfe_u32 v35, v37, 28, 1
	v_add_co_u32_e64 v56, s[24:25], -1, v35
	v_addc_co_u32_e64 v57, s[24:25], 0, -1, s[24:25]
	v_cmp_ne_u32_e64 s[24:25], 0, v35
	v_xor_b32_e32 v35, s25, v57
	v_and_b32_e32 v57, exec_hi, v35
	v_lshlrev_b32_e32 v35, 30, v55
	v_xor_b32_e32 v56, s24, v56
	v_cmp_gt_i64_e64 s[24:25], 0, v[34:35]
	v_not_b32_e32 v35, v35
	v_ashrrev_i32_e32 v35, 31, v35
	v_and_b32_e32 v56, exec_lo, v56
	v_xor_b32_e32 v58, s25, v35
	v_xor_b32_e32 v35, s24, v35
	v_and_b32_e32 v56, v56, v35
	v_lshlrev_b32_e32 v35, 29, v55
	v_cmp_gt_i64_e64 s[24:25], 0, v[34:35]
	v_not_b32_e32 v35, v35
	v_ashrrev_i32_e32 v35, 31, v35
	v_xor_b32_e32 v55, s25, v35
	v_xor_b32_e32 v35, s24, v35
	v_cmp_gt_i64_e64 s[24:25], 0, v[36:37]
	v_not_b32_e32 v36, v37
	v_ashrrev_i32_e32 v36, 31, v36
	v_and_b32_e32 v57, v57, v58
	v_and_b32_e32 v35, v56, v35
	v_xor_b32_e32 v37, s25, v36
	v_xor_b32_e32 v36, s24, v36
	v_and_b32_e32 v55, v57, v55
	v_and_b32_e32 v36, v35, v36
	v_and_b32_e32 v37, v55, v37
	v_mbcnt_lo_u32_b32 v35, v36, 0
	v_mbcnt_hi_u32_b32 v55, v37, v35
	v_cmp_eq_u32_e64 s[24:25], 0, v55
	v_cmp_ne_u64_e64 s[26:27], 0, v[36:37]
	s_and_b64 s[26:27], s[26:27], s[24:25]
	; wave barrier
	s_and_saveexec_b64 s[24:25], s[26:27]
	s_cbranch_execz .LBB131_14
; %bb.13:                               ;   in Loop: Header=BB131_4 Depth=2
	v_bcnt_u32_b32 v35, v36, 0
	v_bcnt_u32_b32 v35, v37, v35
	s_waitcnt lgkmcnt(0)
	v_add_u32_e32 v35, v53, v35
	ds_write_b32 v54, v35
.LBB131_14:                             ;   in Loop: Header=BB131_4 Depth=2
	;; [unrolled: 54-line block ×13, first 2 shown]
	s_or_b64 exec, exec, s[24:25]
	; wave barrier
	s_waitcnt lgkmcnt(0)
	s_barrier
	ds_read_b32 v36, v1 offset:32
	s_waitcnt lgkmcnt(0)
	s_nop 0
	v_mov_b32_dpp v37, v36 row_shr:1 row_mask:0xf bank_mask:0xf
	v_cndmask_b32_e64 v37, v37, 0, s[6:7]
	v_add_u32_e32 v36, v37, v36
	s_nop 1
	v_mov_b32_dpp v37, v36 row_shr:2 row_mask:0xf bank_mask:0xf
	v_cndmask_b32_e64 v37, 0, v37, s[8:9]
	v_add_u32_e32 v36, v36, v37
	;; [unrolled: 4-line block ×4, first 2 shown]
	s_nop 1
	v_mov_b32_dpp v37, v36 row_bcast:15 row_mask:0xf bank_mask:0xf
	v_cndmask_b32_e64 v37, v37, 0, s[14:15]
	v_add_u32_e32 v36, v36, v37
	s_nop 1
	v_mov_b32_dpp v37, v36 row_bcast:31 row_mask:0xf bank_mask:0xf
	v_cndmask_b32_e32 v37, 0, v37, vcc
	v_add_u32_e32 v36, v36, v37
	s_and_saveexec_b64 s[24:25], s[16:17]
	s_xor_b64 s[24:25], exec, s[24:25]
	s_cbranch_execz .LBB131_38
; %bb.37:                               ;   in Loop: Header=BB131_4 Depth=2
	ds_write_b32 v38, v36
.LBB131_38:                             ;   in Loop: Header=BB131_4 Depth=2
	s_or_b64 exec, exec, s[24:25]
	s_waitcnt lgkmcnt(0)
	s_barrier
	s_and_saveexec_b64 s[24:25], s[0:1]
	s_cbranch_execz .LBB131_40
; %bb.39:                               ;   in Loop: Header=BB131_4 Depth=2
	ds_read_b32 v37, v1
	s_waitcnt lgkmcnt(0)
	s_nop 0
	v_mov_b32_dpp v88, v37 row_shr:1 row_mask:0xf bank_mask:0xf
	v_cndmask_b32_e64 v88, v88, 0, s[18:19]
	v_add_u32_e32 v37, v88, v37
	s_nop 1
	v_mov_b32_dpp v88, v37 row_shr:2 row_mask:0xf bank_mask:0xf
	v_cndmask_b32_e64 v88, 0, v88, s[20:21]
	v_add_u32_e32 v37, v37, v88
	;; [unrolled: 4-line block ×3, first 2 shown]
	ds_write_b32 v1, v37
.LBB131_40:                             ;   in Loop: Header=BB131_4 Depth=2
	s_or_b64 exec, exec, s[24:25]
	v_mov_b32_e32 v37, 0
	s_waitcnt lgkmcnt(0)
	s_barrier
	s_and_saveexec_b64 s[24:25], s[2:3]
	s_cbranch_execz .LBB131_3
; %bb.41:                               ;   in Loop: Header=BB131_4 Depth=2
	ds_read_b32 v37, v40
	s_branch .LBB131_3
.LBB131_42:
	ds_read_b32 v4, v87
	ds_read_b32 v5, v85
	ds_read_b32 v6, v82
	ds_read_b32 v7, v79
	ds_read_b32 v8, v75
	ds_read_b32 v9, v72
	ds_read_b32 v10, v69
	ds_read_b32 v11, v66
	ds_read_b32 v12, v63
	ds_read_b32 v13, v60
	ds_read_b32 v14, v57
	ds_read_b32 v15, v54
	ds_read_b32 v2, v51
	ds_read_b32 v16, v48
	ds_read_b32 v1, v45
	ds_read_b32 v3, v42
	s_lshl_b64 s[0:1], s[34:35], 2
	s_add_u32 s0, s30, s0
	s_addc_u32 s1, s31, s1
	v_lshlrev_b32_e32 v17, 2, v0
	s_waitcnt lgkmcnt(1)
	v_add3_u32 v1, v46, v44, v1
	s_waitcnt lgkmcnt(0)
	v_add_u32_e32 v0, v3, v43
	v_add3_u32 v3, v52, v50, v2
	v_add3_u32 v2, v49, v47, v16
	global_store_dwordx4 v17, v[0:3], s[0:1]
	s_nop 0
	v_add3_u32 v1, v58, v56, v14
	v_add3_u32 v0, v55, v53, v15
	v_add3_u32 v3, v64, v62, v12
	v_add3_u32 v2, v61, v59, v13
	global_store_dwordx4 v17, v[0:3], s[0:1] offset:16
	s_nop 0
	v_add3_u32 v1, v70, v68, v10
	v_add3_u32 v0, v67, v65, v11
	v_add3_u32 v3, v76, v74, v8
	v_add3_u32 v2, v73, v71, v9
	global_store_dwordx4 v17, v[0:3], s[0:1] offset:32
	;; [unrolled: 6-line block ×3, first 2 shown]
	s_endpgm
	.section	.rodata,"a",@progbits
	.p2align	6, 0x0
	.amdhsa_kernel _Z11rank_kernelIxLj4ELb0EL18RadixRankAlgorithm2ELj512ELj16ELj10EEvPKT_Pi
		.amdhsa_group_segment_fixed_size 2080
		.amdhsa_private_segment_fixed_size 0
		.amdhsa_kernarg_size 272
		.amdhsa_user_sgpr_count 6
		.amdhsa_user_sgpr_private_segment_buffer 1
		.amdhsa_user_sgpr_dispatch_ptr 0
		.amdhsa_user_sgpr_queue_ptr 0
		.amdhsa_user_sgpr_kernarg_segment_ptr 1
		.amdhsa_user_sgpr_dispatch_id 0
		.amdhsa_user_sgpr_flat_scratch_init 0
		.amdhsa_user_sgpr_kernarg_preload_length 0
		.amdhsa_user_sgpr_kernarg_preload_offset 0
		.amdhsa_user_sgpr_private_segment_size 0
		.amdhsa_uses_dynamic_stack 0
		.amdhsa_system_sgpr_private_segment_wavefront_offset 0
		.amdhsa_system_sgpr_workgroup_id_x 1
		.amdhsa_system_sgpr_workgroup_id_y 0
		.amdhsa_system_sgpr_workgroup_id_z 0
		.amdhsa_system_sgpr_workgroup_info 0
		.amdhsa_system_vgpr_workitem_id 2
		.amdhsa_next_free_vgpr 92
		.amdhsa_next_free_sgpr 37
		.amdhsa_accum_offset 92
		.amdhsa_reserve_vcc 1
		.amdhsa_reserve_flat_scratch 0
		.amdhsa_float_round_mode_32 0
		.amdhsa_float_round_mode_16_64 0
		.amdhsa_float_denorm_mode_32 3
		.amdhsa_float_denorm_mode_16_64 3
		.amdhsa_dx10_clamp 1
		.amdhsa_ieee_mode 1
		.amdhsa_fp16_overflow 0
		.amdhsa_tg_split 0
		.amdhsa_exception_fp_ieee_invalid_op 0
		.amdhsa_exception_fp_denorm_src 0
		.amdhsa_exception_fp_ieee_div_zero 0
		.amdhsa_exception_fp_ieee_overflow 0
		.amdhsa_exception_fp_ieee_underflow 0
		.amdhsa_exception_fp_ieee_inexact 0
		.amdhsa_exception_int_div_zero 0
	.end_amdhsa_kernel
	.section	.text._Z11rank_kernelIxLj4ELb0EL18RadixRankAlgorithm2ELj512ELj16ELj10EEvPKT_Pi,"axG",@progbits,_Z11rank_kernelIxLj4ELb0EL18RadixRankAlgorithm2ELj512ELj16ELj10EEvPKT_Pi,comdat
.Lfunc_end131:
	.size	_Z11rank_kernelIxLj4ELb0EL18RadixRankAlgorithm2ELj512ELj16ELj10EEvPKT_Pi, .Lfunc_end131-_Z11rank_kernelIxLj4ELb0EL18RadixRankAlgorithm2ELj512ELj16ELj10EEvPKT_Pi
                                        ; -- End function
	.section	.AMDGPU.csdata,"",@progbits
; Kernel info:
; codeLenInByte = 5552
; NumSgprs: 41
; NumVgprs: 92
; NumAgprs: 0
; TotalNumVgprs: 92
; ScratchSize: 0
; MemoryBound: 0
; FloatMode: 240
; IeeeMode: 1
; LDSByteSize: 2080 bytes/workgroup (compile time only)
; SGPRBlocks: 5
; VGPRBlocks: 11
; NumSGPRsForWavesPerEU: 41
; NumVGPRsForWavesPerEU: 92
; AccumOffset: 92
; Occupancy: 5
; WaveLimiterHint : 0
; COMPUTE_PGM_RSRC2:SCRATCH_EN: 0
; COMPUTE_PGM_RSRC2:USER_SGPR: 6
; COMPUTE_PGM_RSRC2:TRAP_HANDLER: 0
; COMPUTE_PGM_RSRC2:TGID_X_EN: 1
; COMPUTE_PGM_RSRC2:TGID_Y_EN: 0
; COMPUTE_PGM_RSRC2:TGID_Z_EN: 0
; COMPUTE_PGM_RSRC2:TIDIG_COMP_CNT: 2
; COMPUTE_PGM_RSRC3_GFX90A:ACCUM_OFFSET: 22
; COMPUTE_PGM_RSRC3_GFX90A:TG_SPLIT: 0
	.section	.text._Z11rank_kernelIxLj4ELb0EL18RadixRankAlgorithm0ELj512ELj32ELj10EEvPKT_Pi,"axG",@progbits,_Z11rank_kernelIxLj4ELb0EL18RadixRankAlgorithm0ELj512ELj32ELj10EEvPKT_Pi,comdat
	.protected	_Z11rank_kernelIxLj4ELb0EL18RadixRankAlgorithm0ELj512ELj32ELj10EEvPKT_Pi ; -- Begin function _Z11rank_kernelIxLj4ELb0EL18RadixRankAlgorithm0ELj512ELj32ELj10EEvPKT_Pi
	.globl	_Z11rank_kernelIxLj4ELb0EL18RadixRankAlgorithm0ELj512ELj32ELj10EEvPKT_Pi
	.p2align	8
	.type	_Z11rank_kernelIxLj4ELb0EL18RadixRankAlgorithm0ELj512ELj32ELj10EEvPKT_Pi,@function
_Z11rank_kernelIxLj4ELb0EL18RadixRankAlgorithm0ELj512ELj32ELj10EEvPKT_Pi: ; @_Z11rank_kernelIxLj4ELb0EL18RadixRankAlgorithm0ELj512ELj32ELj10EEvPKT_Pi
; %bb.0:
	s_load_dwordx4 s[24:27], s[4:5], 0x0
	s_lshl_b32 s28, s6, 14
	s_mov_b32 s29, 0
	s_lshl_b64 s[0:1], s[28:29], 3
	v_lshlrev_b32_e32 v1, 8, v0
	s_waitcnt lgkmcnt(0)
	s_add_u32 s0, s24, s0
	s_addc_u32 s1, s25, s1
	global_load_dwordx4 v[2:5], v1, s[0:1]
	global_load_dwordx4 v[6:9], v1, s[0:1] offset:16
	global_load_dwordx4 v[10:13], v1, s[0:1] offset:32
	;; [unrolled: 1-line block ×15, first 2 shown]
	v_mbcnt_lo_u32_b32 v66, -1, 0
	v_mbcnt_hi_u32_b32 v66, -1, v66
	v_add_u32_e32 v74, -1, v66
	v_and_b32_e32 v75, 64, v66
	v_cmp_lt_i32_e64 s[18:19], v74, v75
	v_or_b32_e32 v68, 63, v0
	v_lshrrev_b32_e32 v69, 4, v0
	v_lshlrev_b32_e32 v67, 2, v0
	v_and_b32_e32 v72, 15, v66
	v_and_b32_e32 v73, 16, v66
	v_cmp_lt_u32_e64 s[2:3], 31, v66
	v_cmp_eq_u32_e64 s[6:7], 0, v66
	v_and_b32_e32 v76, 7, v66
	v_cndmask_b32_e64 v66, v74, v66, s[18:19]
	v_mov_b32_e32 v1, 0
	v_cmp_gt_u32_e32 vcc, 8, v0
	v_cmp_lt_u32_e64 s[0:1], 63, v0
	v_cmp_eq_u32_e64 s[4:5], v68, v0
	v_and_b32_e32 v68, 28, v69
	v_or_b32_e32 v69, 0x800, v67
	v_or_b32_e32 v70, 0x1000, v67
	;; [unrolled: 1-line block ×3, first 2 shown]
	v_cmp_eq_u32_e64 s[8:9], 0, v72
	v_cmp_lt_u32_e64 s[10:11], 1, v72
	v_cmp_lt_u32_e64 s[12:13], 3, v72
	;; [unrolled: 1-line block ×3, first 2 shown]
	v_cmp_eq_u32_e64 s[16:17], 0, v73
	v_cmp_eq_u32_e64 s[18:19], 0, v76
	v_cmp_lt_u32_e64 s[20:21], 1, v76
	v_cmp_lt_u32_e64 s[22:23], 3, v76
	v_lshlrev_b32_e32 v72, 2, v66
	v_or_b32_e32 v73, 0x2000, v67
	v_or_b32_e32 v74, 0x2800, v67
	;; [unrolled: 1-line block ×4, first 2 shown]
	s_mov_b64 s[24:25], -1
	s_movk_i32 s33, 0xe00
	s_mov_b32 s36, s29
	v_lshlrev_b32_e32 v66, 5, v0
	s_waitcnt vmcnt(15)
	v_xor_b32_e32 v3, 0x80000000, v3
	v_xor_b32_e32 v5, 0x80000000, v5
	s_waitcnt vmcnt(14)
	v_xor_b32_e32 v7, 0x80000000, v7
	v_xor_b32_e32 v9, 0x80000000, v9
	;; [unrolled: 3-line block ×16, first 2 shown]
	s_branch .LBB132_2
.LBB132_1:                              ;   in Loop: Header=BB132_2 Depth=1
	s_add_i32 s36, s36, 1
	s_cmp_eq_u32 s36, 10
	s_cbranch_scc1 .LBB132_18
.LBB132_2:                              ; =>This Loop Header: Depth=1
                                        ;     Child Loop BB132_4 Depth 2
	s_mov_b32 s37, -4
	s_mov_b64 s[30:31], 60
	s_branch .LBB132_4
.LBB132_3:                              ;   in Loop: Header=BB132_4 Depth=2
	s_or_b64 exec, exec, s[34:35]
	s_waitcnt lgkmcnt(0)
	v_add_u32_e32 v141, v142, v141
	ds_bpermute_b32 v141, v72, v141
	ds_read_b32 v144, v1 offset:16412
	s_add_i32 s37, s37, 4
	s_add_u32 s30, s30, -4
	s_addc_u32 s31, s31, -1
	s_waitcnt lgkmcnt(1)
	v_cndmask_b32_e64 v141, v141, v142, s[6:7]
	ds_read2_b32 v[142:143], v66 offset1:1
	s_waitcnt lgkmcnt(1)
	v_lshl_add_u32 v141, v144, 16, v141
	ds_read2_b32 v[144:145], v66 offset0:2 offset1:3
	ds_read2_b32 v[146:147], v66 offset0:4 offset1:5
	ds_read_b32 v148, v66 offset:24
	s_cmp_lt_u32 s37, 60
	s_waitcnt lgkmcnt(3)
	v_add_u32_e32 v142, v141, v142
	ds_write2_b32 v66, v141, v142 offset1:1
	v_add_u32_e32 v141, v143, v142
	s_waitcnt lgkmcnt(3)
	v_add_u32_e32 v142, v144, v141
	ds_write2_b32 v66, v141, v142 offset0:2 offset1:3
	v_add_u32_e32 v141, v145, v142
	s_waitcnt lgkmcnt(3)
	v_add_u32_e32 v142, v146, v141
	ds_write2_b32 v66, v141, v142 offset0:4 offset1:5
	;; [unrolled: 4-line block ×3, first 2 shown]
	s_waitcnt lgkmcnt(0)
	s_barrier
	s_cbranch_scc0 .LBB132_1
.LBB132_4:                              ;   Parent Loop BB132_2 Depth=1
                                        ; =>  This Inner Loop Header: Depth=2
	ds_write_b32 v67, v1
	ds_write_b32 v69, v1
	;; [unrolled: 1-line block ×4, first 2 shown]
	s_and_saveexec_b64 s[34:35], s[24:25]
	s_cbranch_execnz .LBB132_15
; %bb.5:                                ;   in Loop: Header=BB132_4 Depth=2
	s_or_b64 exec, exec, s[34:35]
	s_and_saveexec_b64 s[34:35], s[24:25]
	s_cbranch_execnz .LBB132_16
.LBB132_6:                              ;   in Loop: Header=BB132_4 Depth=2
	s_or_b64 exec, exec, s[34:35]
	s_and_saveexec_b64 s[34:35], s[24:25]
	s_cbranch_execnz .LBB132_17
.LBB132_7:                              ;   in Loop: Header=BB132_4 Depth=2
	s_or_b64 exec, exec, s[34:35]
	s_and_saveexec_b64 s[34:35], s[24:25]
	s_cbranch_execz .LBB132_9
.LBB132_8:                              ;   in Loop: Header=BB132_4 Depth=2
	ds_write_b32 v76, v1
.LBB132_9:                              ;   in Loop: Header=BB132_4 Depth=2
	s_or_b64 exec, exec, s[34:35]
	v_lshlrev_b64 v[78:79], s30, v[2:3]
	v_lshrrev_b32_e32 v77, 19, v79
	v_lshrrev_b32_e32 v78, 30, v79
	v_and_or_b32 v77, v77, s33, v0
	v_and_b32_e32 v78, 2, v78
	v_lshl_or_b32 v78, v77, 2, v78
	ds_read_u16 v77, v78
	v_lshlrev_b64 v[80:81], s30, v[4:5]
	v_lshrrev_b32_e32 v79, 19, v81
	v_and_or_b32 v79, v79, s33, v0
	v_lshlrev_b64 v[82:83], s30, v[6:7]
	s_waitcnt lgkmcnt(0)
	v_add_u16_e32 v80, 1, v77
	ds_write_b16 v78, v80
	v_lshrrev_b32_e32 v80, 30, v81
	v_and_b32_e32 v80, 2, v80
	v_lshl_or_b32 v81, v79, 2, v80
	ds_read_u16 v79, v81
	v_lshrrev_b32_e32 v82, 30, v83
	v_and_b32_e32 v82, 2, v82
	v_lshlrev_b64 v[84:85], s30, v[8:9]
	v_lshrrev_b32_e32 v84, 30, v85
	s_waitcnt lgkmcnt(0)
	v_add_u16_e32 v80, 1, v79
	ds_write_b16 v81, v80
	v_lshrrev_b32_e32 v80, 19, v83
	v_and_or_b32 v80, v80, s33, v0
	v_lshl_or_b32 v83, v80, 2, v82
	ds_read_u16 v80, v83
	v_and_b32_e32 v84, 2, v84
	v_lshlrev_b64 v[86:87], s30, v[10:11]
	v_lshrrev_b32_e32 v86, 30, v87
	v_and_b32_e32 v86, 2, v86
	s_waitcnt lgkmcnt(0)
	v_add_u16_e32 v82, 1, v80
	ds_write_b16 v83, v82
	v_lshrrev_b32_e32 v82, 19, v85
	v_and_or_b32 v82, v82, s33, v0
	v_lshl_or_b32 v85, v82, 2, v84
	ds_read_u16 v82, v85
	v_lshlrev_b64 v[88:89], s30, v[12:13]
	v_lshrrev_b32_e32 v88, 30, v89
	v_and_b32_e32 v88, 2, v88
	v_lshlrev_b64 v[90:91], s30, v[14:15]
	s_waitcnt lgkmcnt(0)
	v_add_u16_e32 v84, 1, v82
	ds_write_b16 v85, v84
	v_lshrrev_b32_e32 v84, 19, v87
	v_and_or_b32 v84, v84, s33, v0
	v_lshl_or_b32 v87, v84, 2, v86
	ds_read_u16 v84, v87
	v_lshrrev_b32_e32 v90, 30, v91
	v_and_b32_e32 v90, 2, v90
	v_lshlrev_b64 v[96:97], s30, v[18:19]
	v_lshrrev_b32_e32 v93, 30, v97
	s_waitcnt lgkmcnt(0)
	v_add_u16_e32 v86, 1, v84
	ds_write_b16 v87, v86
	v_lshrrev_b32_e32 v86, 19, v89
	v_and_or_b32 v86, v86, s33, v0
	v_lshl_or_b32 v89, v86, 2, v88
	ds_read_u16 v86, v89
	v_and_b32_e32 v93, 2, v93
	v_lshlrev_b64 v[98:99], s30, v[22:23]
	v_lshrrev_b32_e32 v98, 30, v99
	v_and_b32_e32 v98, 2, v98
	s_waitcnt lgkmcnt(0)
	v_add_u16_e32 v88, 1, v86
	ds_write_b16 v89, v88
	v_lshrrev_b32_e32 v88, 19, v91
	v_and_or_b32 v88, v88, s33, v0
	v_lshl_or_b32 v92, v88, 2, v90
	ds_read_u16 v88, v92
	v_lshlrev_b64 v[100:101], s30, v[24:25]
	v_lshrrev_b32_e32 v100, 30, v101
	v_and_b32_e32 v100, 2, v100
	v_lshlrev_b64 v[102:103], s30, v[26:27]
	s_waitcnt lgkmcnt(0)
	v_add_u16_e32 v90, 1, v88
	ds_write_b16 v92, v90
	v_lshlrev_b64 v[90:91], s30, v[16:17]
	v_lshrrev_b32_e32 v90, 19, v91
	v_lshrrev_b32_e32 v91, 30, v91
	v_and_or_b32 v90, v90, s33, v0
	v_and_b32_e32 v91, 2, v91
	v_lshl_or_b32 v95, v90, 2, v91
	ds_read_u16 v90, v95
	v_lshrrev_b32_e32 v102, 30, v103
	v_and_b32_e32 v102, 2, v102
	v_lshlrev_b64 v[104:105], s30, v[28:29]
	v_lshrrev_b32_e32 v104, 30, v105
	s_waitcnt lgkmcnt(0)
	v_add_u16_e32 v91, 1, v90
	ds_write_b16 v95, v91
	v_lshrrev_b32_e32 v91, 19, v97
	v_and_or_b32 v91, v91, s33, v0
	v_lshl_or_b32 v93, v91, 2, v93
	ds_read_u16 v91, v93
	v_lshlrev_b64 v[96:97], s30, v[20:21]
	v_lshrrev_b32_e32 v96, 30, v97
	v_and_b32_e32 v96, 2, v96
	v_and_b32_e32 v104, 2, v104
	s_waitcnt lgkmcnt(0)
	v_add_u16_e32 v94, 1, v91
	ds_write_b16 v93, v94
	v_lshrrev_b32_e32 v94, 19, v97
	v_and_or_b32 v94, v94, s33, v0
	v_lshl_or_b32 v97, v94, 2, v96
	ds_read_u16 v94, v97
	v_lshlrev_b64 v[106:107], s30, v[30:31]
	v_lshrrev_b32_e32 v106, 30, v107
	v_and_b32_e32 v106, 2, v106
	v_lshlrev_b64 v[112:113], s30, v[34:35]
	s_waitcnt lgkmcnt(0)
	v_add_u16_e32 v96, 1, v94
	ds_write_b16 v97, v96
	v_lshrrev_b32_e32 v96, 19, v99
	v_and_or_b32 v96, v96, s33, v0
	v_lshl_or_b32 v99, v96, 2, v98
	ds_read_u16 v96, v99
	v_lshrrev_b32_e32 v109, 30, v113
	v_and_b32_e32 v109, 2, v109
	v_lshlrev_b64 v[122:123], s30, v[42:43]
	v_lshrrev_b32_e32 v115, 30, v123
	s_waitcnt lgkmcnt(0)
	v_add_u16_e32 v98, 1, v96
	ds_write_b16 v99, v98
	v_lshrrev_b32_e32 v98, 19, v101
	v_and_or_b32 v98, v98, s33, v0
	v_lshl_or_b32 v101, v98, 2, v100
	ds_read_u16 v98, v101
	v_and_b32_e32 v115, 2, v115
	v_lshlrev_b64 v[124:125], s30, v[44:45]
	v_lshrrev_b32_e32 v117, 30, v125
	v_and_b32_e32 v117, 2, v117
	s_waitcnt lgkmcnt(0)
	v_add_u16_e32 v100, 1, v98
	ds_write_b16 v101, v100
	v_lshrrev_b32_e32 v100, 19, v103
	v_and_or_b32 v100, v100, s33, v0
	v_lshl_or_b32 v103, v100, 2, v102
	ds_read_u16 v100, v103
	v_lshlrev_b64 v[126:127], s30, v[46:47]
	v_lshrrev_b32_e32 v119, 30, v127
	v_and_b32_e32 v119, 2, v119
	v_lshlrev_b64 v[128:129], s30, v[48:49]
	s_waitcnt lgkmcnt(0)
	v_add_u16_e32 v102, 1, v100
	ds_write_b16 v103, v102
	v_lshrrev_b32_e32 v102, 19, v105
	v_and_or_b32 v102, v102, s33, v0
	v_lshl_or_b32 v105, v102, 2, v104
	ds_read_u16 v102, v105
	v_lshrrev_b32_e32 v120, 30, v129
	v_and_b32_e32 v120, 2, v120
	v_lshlrev_b64 v[130:131], s30, v[50:51]
	v_lshrrev_b32_e32 v122, 30, v131
	s_waitcnt lgkmcnt(0)
	v_add_u16_e32 v104, 1, v102
	ds_write_b16 v105, v104
	v_lshrrev_b32_e32 v104, 19, v107
	v_and_or_b32 v104, v104, s33, v0
	v_lshl_or_b32 v108, v104, 2, v106
	ds_read_u16 v104, v108
	v_and_b32_e32 v122, 2, v122
	v_lshlrev_b64 v[140:141], s30, v[62:63]
	v_lshrrev_b32_e32 v133, 30, v141
	v_and_b32_e32 v133, 2, v133
	s_waitcnt lgkmcnt(0)
	v_add_u16_e32 v106, 1, v104
	ds_write_b16 v108, v106
	v_lshlrev_b64 v[106:107], s30, v[32:33]
	v_lshrrev_b32_e32 v106, 19, v107
	v_lshrrev_b32_e32 v107, 30, v107
	v_and_or_b32 v106, v106, s33, v0
	v_and_b32_e32 v107, 2, v107
	v_lshl_or_b32 v110, v106, 2, v107
	ds_read_u16 v106, v110
	s_waitcnt lgkmcnt(0)
	v_add_u16_e32 v107, 1, v106
	ds_write_b16 v110, v107
	v_lshrrev_b32_e32 v107, 19, v113
	v_and_or_b32 v107, v107, s33, v0
	v_lshl_or_b32 v114, v107, 2, v109
	ds_read_u16 v107, v114
	v_lshlrev_b64 v[112:113], s30, v[36:37]
	v_lshrrev_b32_e32 v111, 30, v113
	v_and_b32_e32 v111, 2, v111
	s_waitcnt lgkmcnt(0)
	v_add_u16_e32 v109, 1, v107
	ds_write_b16 v114, v109
	v_lshrrev_b32_e32 v109, 19, v113
	v_and_or_b32 v109, v109, s33, v0
	v_lshl_or_b32 v116, v109, 2, v111
	ds_read_u16 v109, v116
	v_lshlrev_b64 v[112:113], s30, v[38:39]
	v_lshrrev_b32_e32 v112, 30, v113
	v_and_b32_e32 v112, 2, v112
	s_waitcnt lgkmcnt(0)
	v_add_u16_e32 v111, 1, v109
	ds_write_b16 v116, v111
	v_lshrrev_b32_e32 v111, 19, v113
	v_and_or_b32 v111, v111, s33, v0
	v_lshl_or_b32 v118, v111, 2, v112
	ds_read_u16 v111, v118
	s_waitcnt lgkmcnt(0)
	v_add_u16_e32 v112, 1, v111
	ds_write_b16 v118, v112
	v_lshlrev_b64 v[112:113], s30, v[40:41]
	v_lshrrev_b32_e32 v112, 19, v113
	v_lshrrev_b32_e32 v113, 30, v113
	v_and_or_b32 v112, v112, s33, v0
	v_and_b32_e32 v113, 2, v113
	v_lshl_or_b32 v121, v112, 2, v113
	ds_read_u16 v112, v121
	s_waitcnt lgkmcnt(0)
	v_add_u16_e32 v113, 1, v112
	ds_write_b16 v121, v113
	v_lshrrev_b32_e32 v113, 19, v123
	v_and_or_b32 v113, v113, s33, v0
	v_lshl_or_b32 v123, v113, 2, v115
	ds_read_u16 v113, v123
	s_waitcnt lgkmcnt(0)
	v_add_u16_e32 v115, 1, v113
	ds_write_b16 v123, v115
	v_lshrrev_b32_e32 v115, 19, v125
	v_and_or_b32 v115, v115, s33, v0
	;; [unrolled: 7-line block ×5, first 2 shown]
	v_lshl_or_b32 v132, v120, 2, v122
	ds_read_u16 v120, v132
	v_lshlrev_b64 v[130:131], s30, v[52:53]
	v_lshrrev_b32_e32 v124, 30, v131
	v_and_b32_e32 v124, 2, v124
	s_waitcnt lgkmcnt(0)
	v_add_u16_e32 v122, 1, v120
	ds_write_b16 v132, v122
	v_lshrrev_b32_e32 v122, 19, v131
	v_and_or_b32 v122, v122, s33, v0
	v_lshl_or_b32 v134, v122, 2, v124
	ds_read_u16 v122, v134
	v_lshlrev_b64 v[130:131], s30, v[54:55]
	v_lshrrev_b32_e32 v126, 30, v131
	v_and_b32_e32 v126, 2, v126
	s_waitcnt lgkmcnt(0)
	v_add_u16_e32 v124, 1, v122
	ds_write_b16 v134, v124
	v_lshrrev_b32_e32 v124, 19, v131
	v_and_or_b32 v124, v124, s33, v0
	;; [unrolled: 10-line block ×4, first 2 shown]
	v_lshl_or_b32 v137, v128, 2, v130
	ds_read_u16 v128, v137
	s_waitcnt lgkmcnt(0)
	v_add_u16_e32 v130, 1, v128
	ds_write_b16 v137, v130
	v_lshlrev_b64 v[130:131], s30, v[60:61]
	v_lshrrev_b32_e32 v130, 19, v131
	v_lshrrev_b32_e32 v131, 30, v131
	v_and_or_b32 v130, v130, s33, v0
	v_and_b32_e32 v131, 2, v131
	v_lshl_or_b32 v138, v130, 2, v131
	ds_read_u16 v130, v138
	s_waitcnt lgkmcnt(0)
	v_add_u16_e32 v131, 1, v130
	ds_write_b16 v138, v131
	v_lshrrev_b32_e32 v131, 19, v141
	v_and_or_b32 v131, v131, s33, v0
	v_lshl_or_b32 v139, v131, 2, v133
	ds_read_u16 v131, v139
	v_lshlrev_b64 v[140:141], s30, v[64:65]
	v_lshrrev_b32_e32 v140, 30, v141
	v_and_b32_e32 v140, 2, v140
	s_waitcnt lgkmcnt(0)
	v_add_u16_e32 v133, 1, v131
	ds_write_b16 v139, v133
	v_lshrrev_b32_e32 v133, 19, v141
	v_and_or_b32 v133, v133, s33, v0
	v_lshl_or_b32 v140, v133, 2, v140
	ds_read_u16 v133, v140
	s_waitcnt lgkmcnt(0)
	v_add_u16_e32 v141, 1, v133
	ds_write_b16 v140, v141
	s_waitcnt lgkmcnt(0)
	s_barrier
	ds_read2_b32 v[142:143], v66 offset1:1
	ds_read2_b32 v[144:145], v66 offset0:2 offset1:3
	ds_read2_b32 v[146:147], v66 offset0:4 offset1:5
	ds_read2_b32 v[148:149], v66 offset0:6 offset1:7
	s_waitcnt lgkmcnt(3)
	v_add_u32_e32 v141, v143, v142
	s_waitcnt lgkmcnt(2)
	v_add3_u32 v141, v141, v144, v145
	s_waitcnt lgkmcnt(1)
	v_add3_u32 v141, v141, v146, v147
	;; [unrolled: 2-line block ×3, first 2 shown]
	s_nop 1
	v_mov_b32_dpp v142, v141 row_shr:1 row_mask:0xf bank_mask:0xf
	v_cndmask_b32_e64 v142, v142, 0, s[8:9]
	v_add_u32_e32 v141, v142, v141
	s_nop 1
	v_mov_b32_dpp v142, v141 row_shr:2 row_mask:0xf bank_mask:0xf
	v_cndmask_b32_e64 v142, 0, v142, s[10:11]
	v_add_u32_e32 v141, v141, v142
	;; [unrolled: 4-line block ×4, first 2 shown]
	s_nop 1
	v_mov_b32_dpp v142, v141 row_bcast:15 row_mask:0xf bank_mask:0xf
	v_cndmask_b32_e64 v142, v142, 0, s[16:17]
	v_add_u32_e32 v141, v141, v142
	s_nop 1
	v_mov_b32_dpp v142, v141 row_bcast:31 row_mask:0xf bank_mask:0xf
	v_cndmask_b32_e64 v142, 0, v142, s[2:3]
	v_add_u32_e32 v141, v141, v142
	s_and_saveexec_b64 s[34:35], s[4:5]
	s_cbranch_execz .LBB132_11
; %bb.10:                               ;   in Loop: Header=BB132_4 Depth=2
	ds_write_b32 v68, v141 offset:16384
.LBB132_11:                             ;   in Loop: Header=BB132_4 Depth=2
	s_or_b64 exec, exec, s[34:35]
	s_waitcnt lgkmcnt(0)
	s_barrier
	s_and_saveexec_b64 s[34:35], vcc
	s_cbranch_execz .LBB132_13
; %bb.12:                               ;   in Loop: Header=BB132_4 Depth=2
	ds_read_b32 v142, v67 offset:16384
	s_waitcnt lgkmcnt(0)
	s_nop 0
	v_mov_b32_dpp v143, v142 row_shr:1 row_mask:0xf bank_mask:0xf
	v_cndmask_b32_e64 v143, v143, 0, s[18:19]
	v_add_u32_e32 v142, v143, v142
	s_nop 1
	v_mov_b32_dpp v143, v142 row_shr:2 row_mask:0xf bank_mask:0xf
	v_cndmask_b32_e64 v143, 0, v143, s[20:21]
	v_add_u32_e32 v142, v142, v143
	;; [unrolled: 4-line block ×3, first 2 shown]
	ds_write_b32 v67, v142 offset:16384
.LBB132_13:                             ;   in Loop: Header=BB132_4 Depth=2
	s_or_b64 exec, exec, s[34:35]
	v_mov_b32_e32 v142, 0
	s_waitcnt lgkmcnt(0)
	s_barrier
	s_and_saveexec_b64 s[34:35], s[0:1]
	s_cbranch_execz .LBB132_3
; %bb.14:                               ;   in Loop: Header=BB132_4 Depth=2
	ds_read_b32 v142, v68 offset:16380
	s_branch .LBB132_3
.LBB132_15:                             ;   in Loop: Header=BB132_4 Depth=2
	ds_write_b32 v73, v1
	s_or_b64 exec, exec, s[34:35]
	s_and_saveexec_b64 s[34:35], s[24:25]
	s_cbranch_execz .LBB132_6
.LBB132_16:                             ;   in Loop: Header=BB132_4 Depth=2
	ds_write_b32 v74, v1
	s_or_b64 exec, exec, s[34:35]
	s_and_saveexec_b64 s[34:35], s[24:25]
	s_cbranch_execz .LBB132_7
.LBB132_17:                             ;   in Loop: Header=BB132_4 Depth=2
	ds_write_b32 v75, v1
	s_or_b64 exec, exec, s[34:35]
	s_and_saveexec_b64 s[34:35], s[24:25]
	s_cbranch_execnz .LBB132_8
	s_branch .LBB132_9
.LBB132_18:
	ds_read_u16 v31, v140
	ds_read_u16 v30, v139
	;; [unrolled: 1-line block ×32, first 2 shown]
	s_lshl_b64 s[0:1], s[28:29], 2
	s_add_u32 s0, s26, s0
	s_waitcnt lgkmcnt(8)
	v_add_u32_sdwa v0, v0, v77 dst_sel:DWORD dst_unused:UNUSED_PAD src0_sel:DWORD src1_sel:WORD_0
	v_add_u32_sdwa v1, v1, v79 dst_sel:DWORD dst_unused:UNUSED_PAD src0_sel:DWORD src1_sel:WORD_0
	;; [unrolled: 1-line block ×4, first 2 shown]
	s_addc_u32 s1, s27, s1
	v_lshlrev_b32_e32 v32, 2, v66
	v_add_u32_sdwa v4, v4, v84 dst_sel:DWORD dst_unused:UNUSED_PAD src0_sel:DWORD src1_sel:WORD_0
	v_add_u32_sdwa v5, v5, v86 dst_sel:DWORD dst_unused:UNUSED_PAD src0_sel:DWORD src1_sel:WORD_0
	;; [unrolled: 1-line block ×4, first 2 shown]
	s_waitcnt lgkmcnt(0)
	v_add_u32_sdwa v8, v8, v91 dst_sel:DWORD dst_unused:UNUSED_PAD src0_sel:DWORD src1_sel:WORD_0
	v_add_u32_sdwa v9, v9, v94 dst_sel:DWORD dst_unused:UNUSED_PAD src0_sel:DWORD src1_sel:WORD_0
	;; [unrolled: 1-line block ×24, first 2 shown]
	global_store_dwordx4 v32, v[0:3], s[0:1]
	global_store_dwordx4 v32, v[4:7], s[0:1] offset:16
	global_store_dwordx4 v32, v[8:11], s[0:1] offset:32
	;; [unrolled: 1-line block ×7, first 2 shown]
	s_endpgm
	.section	.rodata,"a",@progbits
	.p2align	6, 0x0
	.amdhsa_kernel _Z11rank_kernelIxLj4ELb0EL18RadixRankAlgorithm0ELj512ELj32ELj10EEvPKT_Pi
		.amdhsa_group_segment_fixed_size 16416
		.amdhsa_private_segment_fixed_size 0
		.amdhsa_kernarg_size 16
		.amdhsa_user_sgpr_count 6
		.amdhsa_user_sgpr_private_segment_buffer 1
		.amdhsa_user_sgpr_dispatch_ptr 0
		.amdhsa_user_sgpr_queue_ptr 0
		.amdhsa_user_sgpr_kernarg_segment_ptr 1
		.amdhsa_user_sgpr_dispatch_id 0
		.amdhsa_user_sgpr_flat_scratch_init 0
		.amdhsa_user_sgpr_kernarg_preload_length 0
		.amdhsa_user_sgpr_kernarg_preload_offset 0
		.amdhsa_user_sgpr_private_segment_size 0
		.amdhsa_uses_dynamic_stack 0
		.amdhsa_system_sgpr_private_segment_wavefront_offset 0
		.amdhsa_system_sgpr_workgroup_id_x 1
		.amdhsa_system_sgpr_workgroup_id_y 0
		.amdhsa_system_sgpr_workgroup_id_z 0
		.amdhsa_system_sgpr_workgroup_info 0
		.amdhsa_system_vgpr_workitem_id 0
		.amdhsa_next_free_vgpr 150
		.amdhsa_next_free_sgpr 38
		.amdhsa_accum_offset 152
		.amdhsa_reserve_vcc 1
		.amdhsa_reserve_flat_scratch 0
		.amdhsa_float_round_mode_32 0
		.amdhsa_float_round_mode_16_64 0
		.amdhsa_float_denorm_mode_32 3
		.amdhsa_float_denorm_mode_16_64 3
		.amdhsa_dx10_clamp 1
		.amdhsa_ieee_mode 1
		.amdhsa_fp16_overflow 0
		.amdhsa_tg_split 0
		.amdhsa_exception_fp_ieee_invalid_op 0
		.amdhsa_exception_fp_denorm_src 0
		.amdhsa_exception_fp_ieee_div_zero 0
		.amdhsa_exception_fp_ieee_overflow 0
		.amdhsa_exception_fp_ieee_underflow 0
		.amdhsa_exception_fp_ieee_inexact 0
		.amdhsa_exception_int_div_zero 0
	.end_amdhsa_kernel
	.section	.text._Z11rank_kernelIxLj4ELb0EL18RadixRankAlgorithm0ELj512ELj32ELj10EEvPKT_Pi,"axG",@progbits,_Z11rank_kernelIxLj4ELb0EL18RadixRankAlgorithm0ELj512ELj32ELj10EEvPKT_Pi,comdat
.Lfunc_end132:
	.size	_Z11rank_kernelIxLj4ELb0EL18RadixRankAlgorithm0ELj512ELj32ELj10EEvPKT_Pi, .Lfunc_end132-_Z11rank_kernelIxLj4ELb0EL18RadixRankAlgorithm0ELj512ELj32ELj10EEvPKT_Pi
                                        ; -- End function
	.section	.AMDGPU.csdata,"",@progbits
; Kernel info:
; codeLenInByte = 4016
; NumSgprs: 42
; NumVgprs: 150
; NumAgprs: 0
; TotalNumVgprs: 150
; ScratchSize: 0
; MemoryBound: 0
; FloatMode: 240
; IeeeMode: 1
; LDSByteSize: 16416 bytes/workgroup (compile time only)
; SGPRBlocks: 5
; VGPRBlocks: 18
; NumSGPRsForWavesPerEU: 42
; NumVGPRsForWavesPerEU: 150
; AccumOffset: 152
; Occupancy: 3
; WaveLimiterHint : 0
; COMPUTE_PGM_RSRC2:SCRATCH_EN: 0
; COMPUTE_PGM_RSRC2:USER_SGPR: 6
; COMPUTE_PGM_RSRC2:TRAP_HANDLER: 0
; COMPUTE_PGM_RSRC2:TGID_X_EN: 1
; COMPUTE_PGM_RSRC2:TGID_Y_EN: 0
; COMPUTE_PGM_RSRC2:TGID_Z_EN: 0
; COMPUTE_PGM_RSRC2:TIDIG_COMP_CNT: 0
; COMPUTE_PGM_RSRC3_GFX90A:ACCUM_OFFSET: 37
; COMPUTE_PGM_RSRC3_GFX90A:TG_SPLIT: 0
	.section	.text._Z11rank_kernelIxLj4ELb0EL18RadixRankAlgorithm1ELj512ELj32ELj10EEvPKT_Pi,"axG",@progbits,_Z11rank_kernelIxLj4ELb0EL18RadixRankAlgorithm1ELj512ELj32ELj10EEvPKT_Pi,comdat
	.protected	_Z11rank_kernelIxLj4ELb0EL18RadixRankAlgorithm1ELj512ELj32ELj10EEvPKT_Pi ; -- Begin function _Z11rank_kernelIxLj4ELb0EL18RadixRankAlgorithm1ELj512ELj32ELj10EEvPKT_Pi
	.globl	_Z11rank_kernelIxLj4ELb0EL18RadixRankAlgorithm1ELj512ELj32ELj10EEvPKT_Pi
	.p2align	8
	.type	_Z11rank_kernelIxLj4ELb0EL18RadixRankAlgorithm1ELj512ELj32ELj10EEvPKT_Pi,@function
_Z11rank_kernelIxLj4ELb0EL18RadixRankAlgorithm1ELj512ELj32ELj10EEvPKT_Pi: ; @_Z11rank_kernelIxLj4ELb0EL18RadixRankAlgorithm1ELj512ELj32ELj10EEvPKT_Pi
; %bb.0:
	s_load_dwordx4 s[24:27], s[4:5], 0x0
	s_lshl_b32 s28, s6, 14
	s_mov_b32 s29, 0
	s_lshl_b64 s[0:1], s[28:29], 3
	v_lshlrev_b32_e32 v1, 8, v0
	s_waitcnt lgkmcnt(0)
	s_add_u32 s0, s24, s0
	s_addc_u32 s1, s25, s1
	global_load_dwordx4 v[2:5], v1, s[0:1]
	global_load_dwordx4 v[6:9], v1, s[0:1] offset:16
	global_load_dwordx4 v[10:13], v1, s[0:1] offset:32
	;; [unrolled: 1-line block ×15, first 2 shown]
	v_mbcnt_lo_u32_b32 v66, -1, 0
	v_mbcnt_hi_u32_b32 v66, -1, v66
	v_or_b32_e32 v68, 63, v0
	v_cmp_eq_u32_e64 s[4:5], v68, v0
	v_add_u32_e32 v68, -1, v66
	v_and_b32_e32 v72, 64, v66
	v_lshrrev_b32_e32 v69, 4, v0
	v_cmp_lt_i32_e64 s[18:19], v68, v72
	v_lshlrev_b32_e32 v67, 2, v0
	v_and_b32_e32 v70, 15, v66
	v_and_b32_e32 v71, 16, v66
	v_cmp_lt_u32_e64 s[2:3], 31, v66
	v_cmp_eq_u32_e64 s[6:7], 0, v66
	v_and_b32_e32 v76, 28, v69
	v_and_b32_e32 v69, 7, v66
	v_cndmask_b32_e64 v66, v68, v66, s[18:19]
	v_mov_b32_e32 v1, 0
	v_cmp_gt_u32_e32 vcc, 8, v0
	v_cmp_lt_u32_e64 s[0:1], 63, v0
	v_or_b32_e32 v77, 0x800, v67
	v_or_b32_e32 v78, 0x1000, v67
	;; [unrolled: 1-line block ×3, first 2 shown]
	v_cmp_eq_u32_e64 s[8:9], 0, v70
	v_cmp_lt_u32_e64 s[10:11], 1, v70
	v_cmp_lt_u32_e64 s[12:13], 3, v70
	;; [unrolled: 1-line block ×3, first 2 shown]
	v_cmp_eq_u32_e64 s[16:17], 0, v71
	v_cmp_eq_u32_e64 s[18:19], 0, v69
	v_cmp_lt_u32_e64 s[20:21], 1, v69
	v_cmp_lt_u32_e64 s[22:23], 3, v69
	v_lshlrev_b32_e32 v80, 2, v66
	v_or_b32_e32 v81, 0x2000, v67
	v_or_b32_e32 v82, 0x2800, v67
	;; [unrolled: 1-line block ×4, first 2 shown]
	s_mov_b64 s[24:25], -1
	s_movk_i32 s33, 0xe00
	s_mov_b32 s36, s29
	v_lshlrev_b32_e32 v66, 5, v0
	s_waitcnt vmcnt(15)
	v_xor_b32_e32 v3, 0x80000000, v3
	v_xor_b32_e32 v5, 0x80000000, v5
	s_waitcnt vmcnt(14)
	v_xor_b32_e32 v7, 0x80000000, v7
	v_xor_b32_e32 v9, 0x80000000, v9
	;; [unrolled: 3-line block ×16, first 2 shown]
	s_branch .LBB133_2
.LBB133_1:                              ;   in Loop: Header=BB133_2 Depth=1
	s_add_i32 s36, s36, 1
	s_cmp_eq_u32 s36, 10
	s_cbranch_scc1 .LBB133_18
.LBB133_2:                              ; =>This Loop Header: Depth=1
                                        ;     Child Loop BB133_4 Depth 2
	s_mov_b32 s37, -4
	s_mov_b64 s[30:31], 60
	s_branch .LBB133_4
.LBB133_3:                              ;   in Loop: Header=BB133_4 Depth=2
	s_or_b64 exec, exec, s[34:35]
	s_waitcnt lgkmcnt(0)
	v_add_u32_e32 v71, v149, v71
	ds_bpermute_b32 v71, v80, v71
	ds_read_b32 v150, v1 offset:16412
	s_add_i32 s37, s37, 4
	s_add_u32 s30, s30, -4
	s_addc_u32 s31, s31, -1
	s_waitcnt lgkmcnt(1)
	v_cndmask_b32_e64 v71, v71, v149, s[6:7]
	s_waitcnt lgkmcnt(0)
	v_lshl_add_u32 v71, v150, 16, v71
	v_add_u32_e32 v74, v71, v74
	v_add_u32_e32 v75, v74, v75
	ds_write2_b32 v66, v71, v74 offset1:1
	v_add_u32_e32 v71, v75, v72
	v_add_u32_e32 v72, v71, v73
	;; [unrolled: 1-line block ×4, first 2 shown]
	ds_write2_b32 v66, v72, v68 offset0:4 offset1:5
	v_add_u32_e32 v68, v69, v70
	s_cmp_lt_u32 s37, 60
	ds_write2_b32 v66, v75, v71 offset0:2 offset1:3
	ds_write2_b32 v66, v69, v68 offset0:6 offset1:7
	s_waitcnt lgkmcnt(0)
	s_barrier
	s_cbranch_scc0 .LBB133_1
.LBB133_4:                              ;   Parent Loop BB133_2 Depth=1
                                        ; =>  This Inner Loop Header: Depth=2
	ds_write_b32 v67, v1
	ds_write_b32 v77, v1
	;; [unrolled: 1-line block ×4, first 2 shown]
	s_and_saveexec_b64 s[34:35], s[24:25]
	s_cbranch_execnz .LBB133_15
; %bb.5:                                ;   in Loop: Header=BB133_4 Depth=2
	s_or_b64 exec, exec, s[34:35]
	s_and_saveexec_b64 s[34:35], s[24:25]
	s_cbranch_execnz .LBB133_16
.LBB133_6:                              ;   in Loop: Header=BB133_4 Depth=2
	s_or_b64 exec, exec, s[34:35]
	s_and_saveexec_b64 s[34:35], s[24:25]
	s_cbranch_execnz .LBB133_17
.LBB133_7:                              ;   in Loop: Header=BB133_4 Depth=2
	s_or_b64 exec, exec, s[34:35]
	s_and_saveexec_b64 s[34:35], s[24:25]
	s_cbranch_execz .LBB133_9
.LBB133_8:                              ;   in Loop: Header=BB133_4 Depth=2
	ds_write_b32 v84, v1
.LBB133_9:                              ;   in Loop: Header=BB133_4 Depth=2
	s_or_b64 exec, exec, s[34:35]
	v_lshlrev_b64 v[68:69], s30, v[2:3]
	v_lshrrev_b32_e32 v68, 19, v69
	v_lshrrev_b32_e32 v69, 30, v69
	v_and_or_b32 v68, v68, s33, v0
	v_and_b32_e32 v69, 2, v69
	v_lshl_or_b32 v86, v68, 2, v69
	ds_read_u16 v85, v86
	v_lshlrev_b64 v[68:69], s30, v[4:5]
	v_lshrrev_b32_e32 v68, 19, v69
	v_lshrrev_b32_e32 v69, 30, v69
	v_and_or_b32 v68, v68, s33, v0
	s_waitcnt lgkmcnt(0)
	v_add_u16_e32 v70, 1, v85
	v_and_b32_e32 v69, 2, v69
	ds_write_b16 v86, v70
	v_lshl_or_b32 v89, v68, 2, v69
	ds_read_u16 v87, v89
	s_waitcnt lgkmcnt(0)
	v_add_u16_e32 v68, 1, v87
	ds_write_b16 v89, v68
	v_lshlrev_b64 v[68:69], s30, v[6:7]
	v_lshrrev_b32_e32 v68, 19, v69
	v_lshrrev_b32_e32 v69, 30, v69
	v_and_or_b32 v68, v68, s33, v0
	v_and_b32_e32 v69, 2, v69
	v_lshl_or_b32 v91, v68, 2, v69
	ds_read_u16 v88, v91
	s_waitcnt lgkmcnt(0)
	v_add_u16_e32 v68, 1, v88
	ds_write_b16 v91, v68
	v_lshlrev_b64 v[68:69], s30, v[8:9]
	v_lshrrev_b32_e32 v68, 19, v69
	v_lshrrev_b32_e32 v69, 30, v69
	v_and_or_b32 v68, v68, s33, v0
	v_and_b32_e32 v69, 2, v69
	;; [unrolled: 10-line block ×30, first 2 shown]
	v_lshl_or_b32 v148, v68, 2, v69
	ds_read_u16 v141, v148
	s_waitcnt lgkmcnt(0)
	v_add_u16_e32 v68, 1, v141
	ds_write_b16 v148, v68
	s_waitcnt lgkmcnt(0)
	s_barrier
	ds_read2_b32 v[74:75], v66 offset1:1
	ds_read2_b32 v[72:73], v66 offset0:2 offset1:3
	ds_read2_b32 v[68:69], v66 offset0:4 offset1:5
	;; [unrolled: 1-line block ×3, first 2 shown]
	s_waitcnt lgkmcnt(3)
	v_add_u32_e32 v149, v75, v74
	s_waitcnt lgkmcnt(2)
	v_add3_u32 v149, v149, v72, v73
	s_waitcnt lgkmcnt(1)
	v_add3_u32 v149, v149, v68, v69
	;; [unrolled: 2-line block ×3, first 2 shown]
	s_nop 1
	v_mov_b32_dpp v149, v71 row_shr:1 row_mask:0xf bank_mask:0xf
	v_cndmask_b32_e64 v149, v149, 0, s[8:9]
	v_add_u32_e32 v71, v149, v71
	s_nop 1
	v_mov_b32_dpp v149, v71 row_shr:2 row_mask:0xf bank_mask:0xf
	v_cndmask_b32_e64 v149, 0, v149, s[10:11]
	v_add_u32_e32 v71, v71, v149
	;; [unrolled: 4-line block ×4, first 2 shown]
	s_nop 1
	v_mov_b32_dpp v149, v71 row_bcast:15 row_mask:0xf bank_mask:0xf
	v_cndmask_b32_e64 v149, v149, 0, s[16:17]
	v_add_u32_e32 v71, v71, v149
	s_nop 1
	v_mov_b32_dpp v149, v71 row_bcast:31 row_mask:0xf bank_mask:0xf
	v_cndmask_b32_e64 v149, 0, v149, s[2:3]
	v_add_u32_e32 v71, v71, v149
	s_and_saveexec_b64 s[34:35], s[4:5]
	s_cbranch_execz .LBB133_11
; %bb.10:                               ;   in Loop: Header=BB133_4 Depth=2
	ds_write_b32 v76, v71 offset:16384
.LBB133_11:                             ;   in Loop: Header=BB133_4 Depth=2
	s_or_b64 exec, exec, s[34:35]
	s_waitcnt lgkmcnt(0)
	s_barrier
	s_and_saveexec_b64 s[34:35], vcc
	s_cbranch_execz .LBB133_13
; %bb.12:                               ;   in Loop: Header=BB133_4 Depth=2
	ds_read_b32 v149, v67 offset:16384
	s_waitcnt lgkmcnt(0)
	s_nop 0
	v_mov_b32_dpp v150, v149 row_shr:1 row_mask:0xf bank_mask:0xf
	v_cndmask_b32_e64 v150, v150, 0, s[18:19]
	v_add_u32_e32 v149, v150, v149
	s_nop 1
	v_mov_b32_dpp v150, v149 row_shr:2 row_mask:0xf bank_mask:0xf
	v_cndmask_b32_e64 v150, 0, v150, s[20:21]
	v_add_u32_e32 v149, v149, v150
	;; [unrolled: 4-line block ×3, first 2 shown]
	ds_write_b32 v67, v149 offset:16384
.LBB133_13:                             ;   in Loop: Header=BB133_4 Depth=2
	s_or_b64 exec, exec, s[34:35]
	v_mov_b32_e32 v149, 0
	s_waitcnt lgkmcnt(0)
	s_barrier
	s_and_saveexec_b64 s[34:35], s[0:1]
	s_cbranch_execz .LBB133_3
; %bb.14:                               ;   in Loop: Header=BB133_4 Depth=2
	ds_read_b32 v149, v76 offset:16380
	s_branch .LBB133_3
.LBB133_15:                             ;   in Loop: Header=BB133_4 Depth=2
	ds_write_b32 v81, v1
	s_or_b64 exec, exec, s[34:35]
	s_and_saveexec_b64 s[34:35], s[24:25]
	s_cbranch_execz .LBB133_6
.LBB133_16:                             ;   in Loop: Header=BB133_4 Depth=2
	ds_write_b32 v82, v1
	s_or_b64 exec, exec, s[34:35]
	s_and_saveexec_b64 s[34:35], s[24:25]
	s_cbranch_execz .LBB133_7
.LBB133_17:                             ;   in Loop: Header=BB133_4 Depth=2
	ds_write_b32 v83, v1
	s_or_b64 exec, exec, s[34:35]
	s_and_saveexec_b64 s[34:35], s[24:25]
	s_cbranch_execnz .LBB133_8
	s_branch .LBB133_9
.LBB133_18:
	ds_read_u16 v31, v148
	ds_read_u16 v30, v147
	;; [unrolled: 1-line block ×32, first 2 shown]
	s_lshl_b64 s[0:1], s[28:29], 2
	s_add_u32 s0, s26, s0
	s_waitcnt lgkmcnt(8)
	v_add_u32_sdwa v0, v0, v85 dst_sel:DWORD dst_unused:UNUSED_PAD src0_sel:DWORD src1_sel:WORD_0
	v_add_u32_sdwa v1, v1, v87 dst_sel:DWORD dst_unused:UNUSED_PAD src0_sel:DWORD src1_sel:WORD_0
	;; [unrolled: 1-line block ×4, first 2 shown]
	s_addc_u32 s1, s27, s1
	v_lshlrev_b32_e32 v32, 2, v66
	v_add_u32_sdwa v4, v4, v92 dst_sel:DWORD dst_unused:UNUSED_PAD src0_sel:DWORD src1_sel:WORD_0
	v_add_u32_sdwa v5, v5, v94 dst_sel:DWORD dst_unused:UNUSED_PAD src0_sel:DWORD src1_sel:WORD_0
	;; [unrolled: 1-line block ×4, first 2 shown]
	s_waitcnt lgkmcnt(0)
	v_add_u32_sdwa v8, v8, v99 dst_sel:DWORD dst_unused:UNUSED_PAD src0_sel:DWORD src1_sel:WORD_0
	v_add_u32_sdwa v9, v9, v102 dst_sel:DWORD dst_unused:UNUSED_PAD src0_sel:DWORD src1_sel:WORD_0
	;; [unrolled: 1-line block ×24, first 2 shown]
	global_store_dwordx4 v32, v[0:3], s[0:1]
	global_store_dwordx4 v32, v[4:7], s[0:1] offset:16
	global_store_dwordx4 v32, v[8:11], s[0:1] offset:32
	global_store_dwordx4 v32, v[12:15], s[0:1] offset:48
	global_store_dwordx4 v32, v[16:19], s[0:1] offset:64
	global_store_dwordx4 v32, v[20:23], s[0:1] offset:80
	global_store_dwordx4 v32, v[24:27], s[0:1] offset:96
	global_store_dwordx4 v32, v[28:31], s[0:1] offset:112
	s_endpgm
	.section	.rodata,"a",@progbits
	.p2align	6, 0x0
	.amdhsa_kernel _Z11rank_kernelIxLj4ELb0EL18RadixRankAlgorithm1ELj512ELj32ELj10EEvPKT_Pi
		.amdhsa_group_segment_fixed_size 16416
		.amdhsa_private_segment_fixed_size 0
		.amdhsa_kernarg_size 16
		.amdhsa_user_sgpr_count 6
		.amdhsa_user_sgpr_private_segment_buffer 1
		.amdhsa_user_sgpr_dispatch_ptr 0
		.amdhsa_user_sgpr_queue_ptr 0
		.amdhsa_user_sgpr_kernarg_segment_ptr 1
		.amdhsa_user_sgpr_dispatch_id 0
		.amdhsa_user_sgpr_flat_scratch_init 0
		.amdhsa_user_sgpr_kernarg_preload_length 0
		.amdhsa_user_sgpr_kernarg_preload_offset 0
		.amdhsa_user_sgpr_private_segment_size 0
		.amdhsa_uses_dynamic_stack 0
		.amdhsa_system_sgpr_private_segment_wavefront_offset 0
		.amdhsa_system_sgpr_workgroup_id_x 1
		.amdhsa_system_sgpr_workgroup_id_y 0
		.amdhsa_system_sgpr_workgroup_id_z 0
		.amdhsa_system_sgpr_workgroup_info 0
		.amdhsa_system_vgpr_workitem_id 0
		.amdhsa_next_free_vgpr 151
		.amdhsa_next_free_sgpr 38
		.amdhsa_accum_offset 152
		.amdhsa_reserve_vcc 1
		.amdhsa_reserve_flat_scratch 0
		.amdhsa_float_round_mode_32 0
		.amdhsa_float_round_mode_16_64 0
		.amdhsa_float_denorm_mode_32 3
		.amdhsa_float_denorm_mode_16_64 3
		.amdhsa_dx10_clamp 1
		.amdhsa_ieee_mode 1
		.amdhsa_fp16_overflow 0
		.amdhsa_tg_split 0
		.amdhsa_exception_fp_ieee_invalid_op 0
		.amdhsa_exception_fp_denorm_src 0
		.amdhsa_exception_fp_ieee_div_zero 0
		.amdhsa_exception_fp_ieee_overflow 0
		.amdhsa_exception_fp_ieee_underflow 0
		.amdhsa_exception_fp_ieee_inexact 0
		.amdhsa_exception_int_div_zero 0
	.end_amdhsa_kernel
	.section	.text._Z11rank_kernelIxLj4ELb0EL18RadixRankAlgorithm1ELj512ELj32ELj10EEvPKT_Pi,"axG",@progbits,_Z11rank_kernelIxLj4ELb0EL18RadixRankAlgorithm1ELj512ELj32ELj10EEvPKT_Pi,comdat
.Lfunc_end133:
	.size	_Z11rank_kernelIxLj4ELb0EL18RadixRankAlgorithm1ELj512ELj32ELj10EEvPKT_Pi, .Lfunc_end133-_Z11rank_kernelIxLj4ELb0EL18RadixRankAlgorithm1ELj512ELj32ELj10EEvPKT_Pi
                                        ; -- End function
	.section	.AMDGPU.csdata,"",@progbits
; Kernel info:
; codeLenInByte = 3968
; NumSgprs: 42
; NumVgprs: 151
; NumAgprs: 0
; TotalNumVgprs: 151
; ScratchSize: 0
; MemoryBound: 0
; FloatMode: 240
; IeeeMode: 1
; LDSByteSize: 16416 bytes/workgroup (compile time only)
; SGPRBlocks: 5
; VGPRBlocks: 18
; NumSGPRsForWavesPerEU: 42
; NumVGPRsForWavesPerEU: 151
; AccumOffset: 152
; Occupancy: 3
; WaveLimiterHint : 0
; COMPUTE_PGM_RSRC2:SCRATCH_EN: 0
; COMPUTE_PGM_RSRC2:USER_SGPR: 6
; COMPUTE_PGM_RSRC2:TRAP_HANDLER: 0
; COMPUTE_PGM_RSRC2:TGID_X_EN: 1
; COMPUTE_PGM_RSRC2:TGID_Y_EN: 0
; COMPUTE_PGM_RSRC2:TGID_Z_EN: 0
; COMPUTE_PGM_RSRC2:TIDIG_COMP_CNT: 0
; COMPUTE_PGM_RSRC3_GFX90A:ACCUM_OFFSET: 37
; COMPUTE_PGM_RSRC3_GFX90A:TG_SPLIT: 0
	.section	.text._Z11rank_kernelIxLj4ELb0EL18RadixRankAlgorithm2ELj512ELj32ELj10EEvPKT_Pi,"axG",@progbits,_Z11rank_kernelIxLj4ELb0EL18RadixRankAlgorithm2ELj512ELj32ELj10EEvPKT_Pi,comdat
	.protected	_Z11rank_kernelIxLj4ELb0EL18RadixRankAlgorithm2ELj512ELj32ELj10EEvPKT_Pi ; -- Begin function _Z11rank_kernelIxLj4ELb0EL18RadixRankAlgorithm2ELj512ELj32ELj10EEvPKT_Pi
	.globl	_Z11rank_kernelIxLj4ELb0EL18RadixRankAlgorithm2ELj512ELj32ELj10EEvPKT_Pi
	.p2align	8
	.type	_Z11rank_kernelIxLj4ELb0EL18RadixRankAlgorithm2ELj512ELj32ELj10EEvPKT_Pi,@function
_Z11rank_kernelIxLj4ELb0EL18RadixRankAlgorithm2ELj512ELj32ELj10EEvPKT_Pi: ; @_Z11rank_kernelIxLj4ELb0EL18RadixRankAlgorithm2ELj512ELj32ELj10EEvPKT_Pi
; %bb.0:
	s_load_dwordx4 s[28:31], s[4:5], 0x0
	s_load_dword s24, s[4:5], 0x1c
	s_lshl_b32 s34, s6, 14
	s_mov_b32 s35, 0
	s_lshl_b64 s[0:1], s[34:35], 3
	s_waitcnt lgkmcnt(0)
	s_add_u32 s0, s28, s0
	v_and_b32_e32 v66, 0x3ff, v0
	s_addc_u32 s1, s29, s1
	v_lshlrev_b32_e32 v1, 8, v66
	global_load_dwordx4 v[2:5], v1, s[0:1]
	global_load_dwordx4 v[6:9], v1, s[0:1] offset:16
	global_load_dwordx4 v[10:13], v1, s[0:1] offset:32
	;; [unrolled: 1-line block ×15, first 2 shown]
	v_mbcnt_lo_u32_b32 v1, -1, 0
	v_mbcnt_hi_u32_b32 v69, -1, v1
	v_bfe_u32 v67, v0, 10, 10
	v_bfe_u32 v68, v0, 20, 10
	v_add_u32_e32 v73, -1, v69
	v_and_b32_e32 v74, 64, v69
	s_lshr_b32 s25, s24, 16
	v_or_b32_e32 v72, 63, v66
	v_lshrrev_b32_e32 v76, 4, v66
	v_cmp_lt_i32_e64 s[18:19], v73, v74
	s_and_b32 s24, s24, 0xffff
	v_mad_u32_u24 v67, v68, s25, v67
	v_and_b32_e32 v70, 15, v69
	v_and_b32_e32 v71, 16, v69
	v_lshlrev_b32_e32 v1, 2, v66
	v_cmp_lt_u32_e32 vcc, 31, v69
	v_cmp_gt_u32_e64 s[0:1], 8, v66
	v_cmp_lt_u32_e64 s[2:3], 63, v66
	v_cmp_eq_u32_e64 s[4:5], 0, v69
	v_and_b32_e32 v75, 7, v69
	v_lshlrev_b32_e32 v0, 5, v66
	v_cmp_eq_u32_e64 s[16:17], v72, v66
	v_cndmask_b32_e64 v69, v73, v69, s[18:19]
	v_mad_u64_u32 v[66:67], s[24:25], v67, s24, v[66:67]
	v_and_b32_e32 v74, 28, v76
	v_cmp_eq_u32_e64 s[6:7], 0, v70
	v_cmp_lt_u32_e64 s[8:9], 1, v70
	v_cmp_lt_u32_e64 s[10:11], 3, v70
	;; [unrolled: 1-line block ×3, first 2 shown]
	v_cmp_eq_u32_e64 s[14:15], 0, v71
	v_cmp_eq_u32_e64 s[18:19], 0, v75
	v_cmp_lt_u32_e64 s[20:21], 1, v75
	v_cmp_lt_u32_e64 s[22:23], 3, v75
	v_lshrrev_b32_e32 v71, 6, v66
	v_lshlrev_b32_e32 v73, 2, v69
	s_mov_b32 s33, s35
	v_add_u32_e32 v75, -4, v74
	v_mov_b32_e32 v66, 0
	s_waitcnt vmcnt(15)
	v_xor_b32_e32 v3, 0x80000000, v3
	v_xor_b32_e32 v5, 0x80000000, v5
	s_waitcnt vmcnt(14)
	v_xor_b32_e32 v7, 0x80000000, v7
	v_xor_b32_e32 v9, 0x80000000, v9
	;; [unrolled: 3-line block ×16, first 2 shown]
	s_branch .LBB134_2
.LBB134_1:                              ;   in Loop: Header=BB134_2 Depth=1
	s_add_i32 s33, s33, 1
	s_cmp_eq_u32 s33, 10
	s_cbranch_scc1 .LBB134_74
.LBB134_2:                              ; =>This Loop Header: Depth=1
                                        ;     Child Loop BB134_4 Depth 2
	s_mov_b64 s[28:29], 60
	s_mov_b32 s36, -4
	s_branch .LBB134_4
.LBB134_3:                              ;   in Loop: Header=BB134_4 Depth=2
	s_or_b64 exec, exec, s[24:25]
	s_waitcnt lgkmcnt(0)
	v_add_u32_e32 v68, v69, v68
	ds_bpermute_b32 v68, v73, v68
	s_add_i32 s36, s36, 4
	s_add_u32 s28, s28, -4
	s_addc_u32 s29, s29, -1
	s_cmp_lt_u32 s36, 60
	s_waitcnt lgkmcnt(0)
	v_cndmask_b32_e64 v68, v68, v69, s[4:5]
	ds_write_b32 v1, v68 offset:32
	s_waitcnt lgkmcnt(0)
	s_barrier
	s_cbranch_scc0 .LBB134_1
.LBB134_4:                              ;   Parent Loop BB134_2 Depth=1
                                        ; =>  This Inner Loop Header: Depth=2
	v_lshlrev_b64 v[68:69], s28, v[2:3]
	v_lshrrev_b32_e32 v72, 28, v69
	v_mad_u32_u24 v67, v72, 9, v71
	v_lshl_add_u32 v70, v67, 2, 32
	v_bfe_u32 v67, v69, 28, 1
	v_add_co_u32_e64 v76, s[24:25], -1, v67
	v_addc_co_u32_e64 v77, s[24:25], 0, -1, s[24:25]
	v_cmp_ne_u32_e64 s[24:25], 0, v67
	v_xor_b32_e32 v67, s25, v77
	v_and_b32_e32 v77, exec_hi, v67
	v_lshlrev_b32_e32 v67, 30, v72
	v_xor_b32_e32 v76, s24, v76
	v_cmp_gt_i64_e64 s[24:25], 0, v[66:67]
	v_not_b32_e32 v67, v67
	v_ashrrev_i32_e32 v67, 31, v67
	v_and_b32_e32 v76, exec_lo, v76
	v_xor_b32_e32 v78, s25, v67
	v_xor_b32_e32 v67, s24, v67
	v_and_b32_e32 v76, v76, v67
	v_lshlrev_b32_e32 v67, 29, v72
	v_cmp_gt_i64_e64 s[24:25], 0, v[66:67]
	v_not_b32_e32 v67, v67
	v_ashrrev_i32_e32 v67, 31, v67
	v_xor_b32_e32 v72, s25, v67
	v_xor_b32_e32 v67, s24, v67
	v_cmp_gt_i64_e64 s[24:25], 0, v[68:69]
	v_not_b32_e32 v68, v69
	v_ashrrev_i32_e32 v68, 31, v68
	v_and_b32_e32 v77, v77, v78
	v_and_b32_e32 v67, v76, v67
	v_xor_b32_e32 v69, s25, v68
	v_xor_b32_e32 v68, s24, v68
	v_and_b32_e32 v72, v77, v72
	v_and_b32_e32 v68, v67, v68
	;; [unrolled: 1-line block ×3, first 2 shown]
	v_mbcnt_lo_u32_b32 v67, v68, 0
	v_mbcnt_hi_u32_b32 v72, v69, v67
	v_cmp_eq_u32_e64 s[24:25], 0, v72
	v_cmp_ne_u64_e64 s[26:27], 0, v[68:69]
	s_and_b64 s[26:27], s[26:27], s[24:25]
	ds_write_b32 v1, v66 offset:32
	s_waitcnt lgkmcnt(0)
	s_barrier
	s_waitcnt lgkmcnt(0)
	; wave barrier
	s_and_saveexec_b64 s[24:25], s[26:27]
	s_cbranch_execz .LBB134_6
; %bb.5:                                ;   in Loop: Header=BB134_4 Depth=2
	v_bcnt_u32_b32 v67, v68, 0
	v_bcnt_u32_b32 v67, v69, v67
	ds_write_b32 v70, v67
.LBB134_6:                              ;   in Loop: Header=BB134_4 Depth=2
	s_or_b64 exec, exec, s[24:25]
	v_lshlrev_b64 v[68:69], s28, v[4:5]
	v_lshrrev_b32_e32 v78, 28, v69
	v_mul_u32_u24_e32 v67, 9, v78
	v_add_lshl_u32 v67, v67, v71, 2
	; wave barrier
	v_add_u32_e32 v77, 32, v67
	ds_read_b32 v76, v67 offset:32
	v_bfe_u32 v67, v69, 28, 1
	v_add_co_u32_e64 v79, s[24:25], -1, v67
	v_addc_co_u32_e64 v80, s[24:25], 0, -1, s[24:25]
	v_cmp_ne_u32_e64 s[24:25], 0, v67
	v_xor_b32_e32 v67, s25, v80
	v_and_b32_e32 v80, exec_hi, v67
	v_lshlrev_b32_e32 v67, 30, v78
	v_xor_b32_e32 v79, s24, v79
	v_cmp_gt_i64_e64 s[24:25], 0, v[66:67]
	v_not_b32_e32 v67, v67
	v_ashrrev_i32_e32 v67, 31, v67
	v_and_b32_e32 v79, exec_lo, v79
	v_xor_b32_e32 v81, s25, v67
	v_xor_b32_e32 v67, s24, v67
	v_and_b32_e32 v79, v79, v67
	v_lshlrev_b32_e32 v67, 29, v78
	v_cmp_gt_i64_e64 s[24:25], 0, v[66:67]
	v_not_b32_e32 v67, v67
	v_ashrrev_i32_e32 v67, 31, v67
	v_xor_b32_e32 v78, s25, v67
	v_xor_b32_e32 v67, s24, v67
	v_cmp_gt_i64_e64 s[24:25], 0, v[68:69]
	v_not_b32_e32 v68, v69
	v_ashrrev_i32_e32 v68, 31, v68
	v_and_b32_e32 v80, v80, v81
	v_and_b32_e32 v67, v79, v67
	v_xor_b32_e32 v69, s25, v68
	v_xor_b32_e32 v68, s24, v68
	v_and_b32_e32 v78, v80, v78
	v_and_b32_e32 v68, v67, v68
	;; [unrolled: 1-line block ×3, first 2 shown]
	v_mbcnt_lo_u32_b32 v67, v68, 0
	v_mbcnt_hi_u32_b32 v78, v69, v67
	v_cmp_eq_u32_e64 s[24:25], 0, v78
	v_cmp_ne_u64_e64 s[26:27], 0, v[68:69]
	s_and_b64 s[26:27], s[26:27], s[24:25]
	; wave barrier
	s_and_saveexec_b64 s[24:25], s[26:27]
	s_cbranch_execz .LBB134_8
; %bb.7:                                ;   in Loop: Header=BB134_4 Depth=2
	v_bcnt_u32_b32 v67, v68, 0
	v_bcnt_u32_b32 v67, v69, v67
	s_waitcnt lgkmcnt(0)
	v_add_u32_e32 v67, v76, v67
	ds_write_b32 v77, v67
.LBB134_8:                              ;   in Loop: Header=BB134_4 Depth=2
	s_or_b64 exec, exec, s[24:25]
	v_lshlrev_b64 v[68:69], s28, v[6:7]
	v_lshrrev_b32_e32 v81, 28, v69
	v_mul_u32_u24_e32 v67, 9, v81
	v_add_lshl_u32 v67, v67, v71, 2
	; wave barrier
	v_add_u32_e32 v80, 32, v67
	ds_read_b32 v79, v67 offset:32
	v_bfe_u32 v67, v69, 28, 1
	v_add_co_u32_e64 v82, s[24:25], -1, v67
	v_addc_co_u32_e64 v83, s[24:25], 0, -1, s[24:25]
	v_cmp_ne_u32_e64 s[24:25], 0, v67
	v_xor_b32_e32 v67, s25, v83
	v_and_b32_e32 v83, exec_hi, v67
	v_lshlrev_b32_e32 v67, 30, v81
	v_xor_b32_e32 v82, s24, v82
	v_cmp_gt_i64_e64 s[24:25], 0, v[66:67]
	v_not_b32_e32 v67, v67
	v_ashrrev_i32_e32 v67, 31, v67
	v_and_b32_e32 v82, exec_lo, v82
	v_xor_b32_e32 v84, s25, v67
	v_xor_b32_e32 v67, s24, v67
	v_and_b32_e32 v82, v82, v67
	v_lshlrev_b32_e32 v67, 29, v81
	v_cmp_gt_i64_e64 s[24:25], 0, v[66:67]
	v_not_b32_e32 v67, v67
	v_ashrrev_i32_e32 v67, 31, v67
	v_xor_b32_e32 v81, s25, v67
	v_xor_b32_e32 v67, s24, v67
	v_cmp_gt_i64_e64 s[24:25], 0, v[68:69]
	v_not_b32_e32 v68, v69
	v_ashrrev_i32_e32 v68, 31, v68
	v_and_b32_e32 v83, v83, v84
	v_and_b32_e32 v67, v82, v67
	v_xor_b32_e32 v69, s25, v68
	v_xor_b32_e32 v68, s24, v68
	v_and_b32_e32 v81, v83, v81
	v_and_b32_e32 v68, v67, v68
	;; [unrolled: 1-line block ×3, first 2 shown]
	v_mbcnt_lo_u32_b32 v67, v68, 0
	v_mbcnt_hi_u32_b32 v81, v69, v67
	v_cmp_eq_u32_e64 s[24:25], 0, v81
	v_cmp_ne_u64_e64 s[26:27], 0, v[68:69]
	s_and_b64 s[26:27], s[26:27], s[24:25]
	; wave barrier
	s_and_saveexec_b64 s[24:25], s[26:27]
	s_cbranch_execz .LBB134_10
; %bb.9:                                ;   in Loop: Header=BB134_4 Depth=2
	v_bcnt_u32_b32 v67, v68, 0
	v_bcnt_u32_b32 v67, v69, v67
	s_waitcnt lgkmcnt(0)
	v_add_u32_e32 v67, v79, v67
	ds_write_b32 v80, v67
.LBB134_10:                             ;   in Loop: Header=BB134_4 Depth=2
	s_or_b64 exec, exec, s[24:25]
	v_lshlrev_b64 v[68:69], s28, v[8:9]
	v_lshrrev_b32_e32 v84, 28, v69
	v_mul_u32_u24_e32 v67, 9, v84
	v_add_lshl_u32 v67, v67, v71, 2
	; wave barrier
	v_add_u32_e32 v83, 32, v67
	ds_read_b32 v82, v67 offset:32
	v_bfe_u32 v67, v69, 28, 1
	v_add_co_u32_e64 v85, s[24:25], -1, v67
	v_addc_co_u32_e64 v86, s[24:25], 0, -1, s[24:25]
	v_cmp_ne_u32_e64 s[24:25], 0, v67
	v_xor_b32_e32 v67, s25, v86
	v_and_b32_e32 v86, exec_hi, v67
	v_lshlrev_b32_e32 v67, 30, v84
	v_xor_b32_e32 v85, s24, v85
	v_cmp_gt_i64_e64 s[24:25], 0, v[66:67]
	v_not_b32_e32 v67, v67
	v_ashrrev_i32_e32 v67, 31, v67
	v_and_b32_e32 v85, exec_lo, v85
	v_xor_b32_e32 v87, s25, v67
	v_xor_b32_e32 v67, s24, v67
	v_and_b32_e32 v85, v85, v67
	v_lshlrev_b32_e32 v67, 29, v84
	v_cmp_gt_i64_e64 s[24:25], 0, v[66:67]
	v_not_b32_e32 v67, v67
	v_ashrrev_i32_e32 v67, 31, v67
	v_xor_b32_e32 v84, s25, v67
	v_xor_b32_e32 v67, s24, v67
	v_cmp_gt_i64_e64 s[24:25], 0, v[68:69]
	v_not_b32_e32 v68, v69
	v_ashrrev_i32_e32 v68, 31, v68
	v_and_b32_e32 v86, v86, v87
	v_and_b32_e32 v67, v85, v67
	v_xor_b32_e32 v69, s25, v68
	v_xor_b32_e32 v68, s24, v68
	v_and_b32_e32 v84, v86, v84
	v_and_b32_e32 v68, v67, v68
	v_and_b32_e32 v69, v84, v69
	v_mbcnt_lo_u32_b32 v67, v68, 0
	v_mbcnt_hi_u32_b32 v84, v69, v67
	v_cmp_eq_u32_e64 s[24:25], 0, v84
	v_cmp_ne_u64_e64 s[26:27], 0, v[68:69]
	s_and_b64 s[26:27], s[26:27], s[24:25]
	; wave barrier
	s_and_saveexec_b64 s[24:25], s[26:27]
	s_cbranch_execz .LBB134_12
; %bb.11:                               ;   in Loop: Header=BB134_4 Depth=2
	v_bcnt_u32_b32 v67, v68, 0
	v_bcnt_u32_b32 v67, v69, v67
	s_waitcnt lgkmcnt(0)
	v_add_u32_e32 v67, v82, v67
	ds_write_b32 v83, v67
.LBB134_12:                             ;   in Loop: Header=BB134_4 Depth=2
	s_or_b64 exec, exec, s[24:25]
	v_lshlrev_b64 v[68:69], s28, v[10:11]
	v_lshrrev_b32_e32 v87, 28, v69
	v_mul_u32_u24_e32 v67, 9, v87
	v_add_lshl_u32 v67, v67, v71, 2
	; wave barrier
	v_add_u32_e32 v86, 32, v67
	ds_read_b32 v85, v67 offset:32
	v_bfe_u32 v67, v69, 28, 1
	v_add_co_u32_e64 v88, s[24:25], -1, v67
	v_addc_co_u32_e64 v89, s[24:25], 0, -1, s[24:25]
	v_cmp_ne_u32_e64 s[24:25], 0, v67
	v_xor_b32_e32 v67, s25, v89
	v_and_b32_e32 v89, exec_hi, v67
	v_lshlrev_b32_e32 v67, 30, v87
	v_xor_b32_e32 v88, s24, v88
	v_cmp_gt_i64_e64 s[24:25], 0, v[66:67]
	v_not_b32_e32 v67, v67
	v_ashrrev_i32_e32 v67, 31, v67
	v_and_b32_e32 v88, exec_lo, v88
	v_xor_b32_e32 v90, s25, v67
	v_xor_b32_e32 v67, s24, v67
	v_and_b32_e32 v88, v88, v67
	v_lshlrev_b32_e32 v67, 29, v87
	v_cmp_gt_i64_e64 s[24:25], 0, v[66:67]
	v_not_b32_e32 v67, v67
	v_ashrrev_i32_e32 v67, 31, v67
	v_xor_b32_e32 v87, s25, v67
	v_xor_b32_e32 v67, s24, v67
	v_cmp_gt_i64_e64 s[24:25], 0, v[68:69]
	v_not_b32_e32 v68, v69
	v_ashrrev_i32_e32 v68, 31, v68
	v_and_b32_e32 v89, v89, v90
	v_and_b32_e32 v67, v88, v67
	v_xor_b32_e32 v69, s25, v68
	v_xor_b32_e32 v68, s24, v68
	v_and_b32_e32 v87, v89, v87
	v_and_b32_e32 v68, v67, v68
	v_and_b32_e32 v69, v87, v69
	v_mbcnt_lo_u32_b32 v67, v68, 0
	v_mbcnt_hi_u32_b32 v87, v69, v67
	v_cmp_eq_u32_e64 s[24:25], 0, v87
	v_cmp_ne_u64_e64 s[26:27], 0, v[68:69]
	s_and_b64 s[26:27], s[26:27], s[24:25]
	; wave barrier
	s_and_saveexec_b64 s[24:25], s[26:27]
	s_cbranch_execz .LBB134_14
; %bb.13:                               ;   in Loop: Header=BB134_4 Depth=2
	v_bcnt_u32_b32 v67, v68, 0
	v_bcnt_u32_b32 v67, v69, v67
	s_waitcnt lgkmcnt(0)
	v_add_u32_e32 v67, v85, v67
	ds_write_b32 v86, v67
.LBB134_14:                             ;   in Loop: Header=BB134_4 Depth=2
	;; [unrolled: 54-line block ×29, first 2 shown]
	s_or_b64 exec, exec, s[24:25]
	; wave barrier
	s_waitcnt lgkmcnt(0)
	s_barrier
	ds_read_b32 v68, v1 offset:32
	s_waitcnt lgkmcnt(0)
	s_nop 0
	v_mov_b32_dpp v69, v68 row_shr:1 row_mask:0xf bank_mask:0xf
	v_cndmask_b32_e64 v69, v69, 0, s[6:7]
	v_add_u32_e32 v68, v69, v68
	s_nop 1
	v_mov_b32_dpp v69, v68 row_shr:2 row_mask:0xf bank_mask:0xf
	v_cndmask_b32_e64 v69, 0, v69, s[8:9]
	v_add_u32_e32 v68, v68, v69
	;; [unrolled: 4-line block ×4, first 2 shown]
	s_nop 1
	v_mov_b32_dpp v69, v68 row_bcast:15 row_mask:0xf bank_mask:0xf
	v_cndmask_b32_e64 v69, v69, 0, s[14:15]
	v_add_u32_e32 v68, v68, v69
	s_nop 1
	v_mov_b32_dpp v69, v68 row_bcast:31 row_mask:0xf bank_mask:0xf
	v_cndmask_b32_e32 v69, 0, v69, vcc
	v_add_u32_e32 v68, v68, v69
	s_and_saveexec_b64 s[24:25], s[16:17]
	s_xor_b64 s[24:25], exec, s[24:25]
	s_cbranch_execz .LBB134_70
; %bb.69:                               ;   in Loop: Header=BB134_4 Depth=2
	ds_write_b32 v74, v68
.LBB134_70:                             ;   in Loop: Header=BB134_4 Depth=2
	s_or_b64 exec, exec, s[24:25]
	s_waitcnt lgkmcnt(0)
	s_barrier
	s_and_saveexec_b64 s[24:25], s[0:1]
	s_cbranch_execz .LBB134_72
; %bb.71:                               ;   in Loop: Header=BB134_4 Depth=2
	ds_read_b32 v69, v1
	s_waitcnt lgkmcnt(0)
	s_nop 0
	v_mov_b32_dpp v168, v69 row_shr:1 row_mask:0xf bank_mask:0xf
	v_cndmask_b32_e64 v168, v168, 0, s[18:19]
	v_add_u32_e32 v69, v168, v69
	s_nop 1
	v_mov_b32_dpp v168, v69 row_shr:2 row_mask:0xf bank_mask:0xf
	v_cndmask_b32_e64 v168, 0, v168, s[20:21]
	v_add_u32_e32 v69, v69, v168
	;; [unrolled: 4-line block ×3, first 2 shown]
	ds_write_b32 v1, v69
.LBB134_72:                             ;   in Loop: Header=BB134_4 Depth=2
	s_or_b64 exec, exec, s[24:25]
	v_mov_b32_e32 v69, 0
	s_waitcnt lgkmcnt(0)
	s_barrier
	s_and_saveexec_b64 s[24:25], s[2:3]
	s_cbranch_execz .LBB134_3
; %bb.73:                               ;   in Loop: Header=BB134_4 Depth=2
	ds_read_b32 v69, v75
	s_branch .LBB134_3
.LBB134_74:
	ds_read_b32 v1, v77
	ds_read_b32 v6, v92
	;; [unrolled: 1-line block ×8, first 2 shown]
	s_lshl_b64 s[0:1], s[34:35], 2
	s_add_u32 s0, s30, s0
	s_waitcnt lgkmcnt(7)
	v_add3_u32 v3, v78, v76, v1
	s_waitcnt lgkmcnt(3)
	v_add3_u32 v5, v84, v82, v2
	;; [unrolled: 2-line block ×3, first 2 shown]
	s_waitcnt lgkmcnt(1)
	v_add_u32_e32 v2, v9, v72
	v_lshlrev_b32_e32 v9, 2, v0
	s_addc_u32 s1, s31, s1
	global_store_dwordx4 v9, v[2:5], s[0:1]
	v_add3_u32 v1, v91, v88, v7
	v_add3_u32 v0, v87, v85, v8
	ds_read_b32 v4, v119
	ds_read_b32 v5, v116
	;; [unrolled: 1-line block ×8, first 2 shown]
	s_waitcnt lgkmcnt(8)
	v_add3_u32 v3, v96, v94, v10
	v_add3_u32 v2, v93, v90, v6
	global_store_dwordx4 v9, v[0:3], s[0:1] offset:16
	s_waitcnt lgkmcnt(1)
	v_add3_u32 v1, v102, v100, v13
	s_waitcnt lgkmcnt(0)
	v_add3_u32 v0, v99, v97, v14
	v_add3_u32 v3, v108, v106, v11
	ds_read_b32 v6, v167
	ds_read_b32 v10, v165
	;; [unrolled: 1-line block ×16, first 2 shown]
	v_add3_u32 v2, v105, v103, v12
	global_store_dwordx4 v9, v[0:3], s[0:1] offset:32
	s_nop 0
	v_add3_u32 v1, v114, v112, v7
	v_add3_u32 v0, v111, v109, v8
	;; [unrolled: 1-line block ×4, first 2 shown]
	global_store_dwordx4 v9, v[0:3], s[0:1] offset:48
	s_waitcnt lgkmcnt(1)
	v_add3_u32 v1, v126, v124, v24
	s_waitcnt lgkmcnt(0)
	v_add3_u32 v0, v123, v121, v25
	v_add3_u32 v3, v132, v130, v22
	v_add3_u32 v2, v129, v127, v23
	global_store_dwordx4 v9, v[0:3], s[0:1] offset:64
	s_nop 0
	v_add3_u32 v1, v138, v136, v20
	v_add3_u32 v0, v135, v133, v21
	v_add3_u32 v3, v144, v142, v18
	v_add3_u32 v2, v141, v139, v19
	global_store_dwordx4 v9, v[0:3], s[0:1] offset:80
	s_nop 0
	v_add3_u32 v1, v150, v148, v16
	;; [unrolled: 6-line block ×3, first 2 shown]
	v_add3_u32 v0, v158, v157, v13
	v_add3_u32 v3, v67, v166, v6
	;; [unrolled: 1-line block ×3, first 2 shown]
	global_store_dwordx4 v9, v[0:3], s[0:1] offset:112
	s_endpgm
	.section	.rodata,"a",@progbits
	.p2align	6, 0x0
	.amdhsa_kernel _Z11rank_kernelIxLj4ELb0EL18RadixRankAlgorithm2ELj512ELj32ELj10EEvPKT_Pi
		.amdhsa_group_segment_fixed_size 2080
		.amdhsa_private_segment_fixed_size 0
		.amdhsa_kernarg_size 272
		.amdhsa_user_sgpr_count 6
		.amdhsa_user_sgpr_private_segment_buffer 1
		.amdhsa_user_sgpr_dispatch_ptr 0
		.amdhsa_user_sgpr_queue_ptr 0
		.amdhsa_user_sgpr_kernarg_segment_ptr 1
		.amdhsa_user_sgpr_dispatch_id 0
		.amdhsa_user_sgpr_flat_scratch_init 0
		.amdhsa_user_sgpr_kernarg_preload_length 0
		.amdhsa_user_sgpr_kernarg_preload_offset 0
		.amdhsa_user_sgpr_private_segment_size 0
		.amdhsa_uses_dynamic_stack 0
		.amdhsa_system_sgpr_private_segment_wavefront_offset 0
		.amdhsa_system_sgpr_workgroup_id_x 1
		.amdhsa_system_sgpr_workgroup_id_y 0
		.amdhsa_system_sgpr_workgroup_id_z 0
		.amdhsa_system_sgpr_workgroup_info 0
		.amdhsa_system_vgpr_workitem_id 2
		.amdhsa_next_free_vgpr 172
		.amdhsa_next_free_sgpr 37
		.amdhsa_accum_offset 172
		.amdhsa_reserve_vcc 1
		.amdhsa_reserve_flat_scratch 0
		.amdhsa_float_round_mode_32 0
		.amdhsa_float_round_mode_16_64 0
		.amdhsa_float_denorm_mode_32 3
		.amdhsa_float_denorm_mode_16_64 3
		.amdhsa_dx10_clamp 1
		.amdhsa_ieee_mode 1
		.amdhsa_fp16_overflow 0
		.amdhsa_tg_split 0
		.amdhsa_exception_fp_ieee_invalid_op 0
		.amdhsa_exception_fp_denorm_src 0
		.amdhsa_exception_fp_ieee_div_zero 0
		.amdhsa_exception_fp_ieee_overflow 0
		.amdhsa_exception_fp_ieee_underflow 0
		.amdhsa_exception_fp_ieee_inexact 0
		.amdhsa_exception_int_div_zero 0
	.end_amdhsa_kernel
	.section	.text._Z11rank_kernelIxLj4ELb0EL18RadixRankAlgorithm2ELj512ELj32ELj10EEvPKT_Pi,"axG",@progbits,_Z11rank_kernelIxLj4ELb0EL18RadixRankAlgorithm2ELj512ELj32ELj10EEvPKT_Pi,comdat
.Lfunc_end134:
	.size	_Z11rank_kernelIxLj4ELb0EL18RadixRankAlgorithm2ELj512ELj32ELj10EEvPKT_Pi, .Lfunc_end134-_Z11rank_kernelIxLj4ELb0EL18RadixRankAlgorithm2ELj512ELj32ELj10EEvPKT_Pi
                                        ; -- End function
	.section	.AMDGPU.csdata,"",@progbits
; Kernel info:
; codeLenInByte = 10384
; NumSgprs: 41
; NumVgprs: 172
; NumAgprs: 0
; TotalNumVgprs: 172
; ScratchSize: 0
; MemoryBound: 0
; FloatMode: 240
; IeeeMode: 1
; LDSByteSize: 2080 bytes/workgroup (compile time only)
; SGPRBlocks: 5
; VGPRBlocks: 21
; NumSGPRsForWavesPerEU: 41
; NumVGPRsForWavesPerEU: 172
; AccumOffset: 172
; Occupancy: 2
; WaveLimiterHint : 0
; COMPUTE_PGM_RSRC2:SCRATCH_EN: 0
; COMPUTE_PGM_RSRC2:USER_SGPR: 6
; COMPUTE_PGM_RSRC2:TRAP_HANDLER: 0
; COMPUTE_PGM_RSRC2:TGID_X_EN: 1
; COMPUTE_PGM_RSRC2:TGID_Y_EN: 0
; COMPUTE_PGM_RSRC2:TGID_Z_EN: 0
; COMPUTE_PGM_RSRC2:TIDIG_COMP_CNT: 2
; COMPUTE_PGM_RSRC3_GFX90A:ACCUM_OFFSET: 42
; COMPUTE_PGM_RSRC3_GFX90A:TG_SPLIT: 0
	.text
	.p2alignl 6, 3212836864
	.fill 256, 4, 3212836864
	.type	__hip_cuid_6a07c0eb785f0409,@object ; @__hip_cuid_6a07c0eb785f0409
	.section	.bss,"aw",@nobits
	.globl	__hip_cuid_6a07c0eb785f0409
__hip_cuid_6a07c0eb785f0409:
	.byte	0                               ; 0x0
	.size	__hip_cuid_6a07c0eb785f0409, 1

	.ident	"AMD clang version 19.0.0git (https://github.com/RadeonOpenCompute/llvm-project roc-6.4.0 25133 c7fe45cf4b819c5991fe208aaa96edf142730f1d)"
	.section	".note.GNU-stack","",@progbits
	.addrsig
	.addrsig_sym __hip_cuid_6a07c0eb785f0409
	.amdgpu_metadata
---
amdhsa.kernels:
  - .agpr_count:     0
    .args:
      - .address_space:  global
        .offset:         0
        .size:           8
        .value_kind:     global_buffer
      - .address_space:  global
        .offset:         8
        .size:           8
        .value_kind:     global_buffer
    .group_segment_fixed_size: 4104
    .kernarg_segment_align: 8
    .kernarg_segment_size: 16
    .language:       OpenCL C
    .language_version:
      - 2
      - 0
    .max_flat_workgroup_size: 128
    .name:           _Z11rank_kernelIiLj4ELb0EL18RadixRankAlgorithm0ELj128ELj1ELj10EEvPKT_Pi
    .private_segment_fixed_size: 0
    .sgpr_count:     42
    .sgpr_spill_count: 0
    .symbol:         _Z11rank_kernelIiLj4ELb0EL18RadixRankAlgorithm0ELj128ELj1ELj10EEvPKT_Pi.kd
    .uniform_work_group_size: 1
    .uses_dynamic_stack: false
    .vgpr_count:     18
    .vgpr_spill_count: 0
    .wavefront_size: 64
  - .agpr_count:     0
    .args:
      - .address_space:  global
        .offset:         0
        .size:           8
        .value_kind:     global_buffer
      - .address_space:  global
        .offset:         8
        .size:           8
        .value_kind:     global_buffer
    .group_segment_fixed_size: 4104
    .kernarg_segment_align: 8
    .kernarg_segment_size: 16
    .language:       OpenCL C
    .language_version:
      - 2
      - 0
    .max_flat_workgroup_size: 128
    .name:           _Z11rank_kernelIiLj4ELb0EL18RadixRankAlgorithm1ELj128ELj1ELj10EEvPKT_Pi
    .private_segment_fixed_size: 0
    .sgpr_count:     42
    .sgpr_spill_count: 0
    .symbol:         _Z11rank_kernelIiLj4ELb0EL18RadixRankAlgorithm1ELj128ELj1ELj10EEvPKT_Pi.kd
    .uniform_work_group_size: 1
    .uses_dynamic_stack: false
    .vgpr_count:     20
    .vgpr_spill_count: 0
    .wavefront_size: 64
  - .agpr_count:     0
    .args:
      - .address_space:  global
        .offset:         0
        .size:           8
        .value_kind:     global_buffer
      - .address_space:  global
        .offset:         8
        .size:           8
        .value_kind:     global_buffer
      - .offset:         16
        .size:           4
        .value_kind:     hidden_block_count_x
      - .offset:         20
        .size:           4
        .value_kind:     hidden_block_count_y
      - .offset:         24
        .size:           4
        .value_kind:     hidden_block_count_z
      - .offset:         28
        .size:           2
        .value_kind:     hidden_group_size_x
      - .offset:         30
        .size:           2
        .value_kind:     hidden_group_size_y
      - .offset:         32
        .size:           2
        .value_kind:     hidden_group_size_z
      - .offset:         34
        .size:           2
        .value_kind:     hidden_remainder_x
      - .offset:         36
        .size:           2
        .value_kind:     hidden_remainder_y
      - .offset:         38
        .size:           2
        .value_kind:     hidden_remainder_z
      - .offset:         56
        .size:           8
        .value_kind:     hidden_global_offset_x
      - .offset:         64
        .size:           8
        .value_kind:     hidden_global_offset_y
      - .offset:         72
        .size:           8
        .value_kind:     hidden_global_offset_z
      - .offset:         80
        .size:           2
        .value_kind:     hidden_grid_dims
    .group_segment_fixed_size: 520
    .kernarg_segment_align: 8
    .kernarg_segment_size: 272
    .language:       OpenCL C
    .language_version:
      - 2
      - 0
    .max_flat_workgroup_size: 128
    .name:           _Z11rank_kernelIiLj4ELb0EL18RadixRankAlgorithm2ELj128ELj1ELj10EEvPKT_Pi
    .private_segment_fixed_size: 0
    .sgpr_count:     36
    .sgpr_spill_count: 0
    .symbol:         _Z11rank_kernelIiLj4ELb0EL18RadixRankAlgorithm2ELj128ELj1ELj10EEvPKT_Pi.kd
    .uniform_work_group_size: 1
    .uses_dynamic_stack: false
    .vgpr_count:     15
    .vgpr_spill_count: 0
    .wavefront_size: 64
  - .agpr_count:     0
    .args:
      - .address_space:  global
        .offset:         0
        .size:           8
        .value_kind:     global_buffer
      - .address_space:  global
        .offset:         8
        .size:           8
        .value_kind:     global_buffer
    .group_segment_fixed_size: 4104
    .kernarg_segment_align: 8
    .kernarg_segment_size: 16
    .language:       OpenCL C
    .language_version:
      - 2
      - 0
    .max_flat_workgroup_size: 128
    .name:           _Z11rank_kernelIiLj4ELb0EL18RadixRankAlgorithm0ELj128ELj4ELj10EEvPKT_Pi
    .private_segment_fixed_size: 0
    .sgpr_count:     42
    .sgpr_spill_count: 0
    .symbol:         _Z11rank_kernelIiLj4ELb0EL18RadixRankAlgorithm0ELj128ELj4ELj10EEvPKT_Pi.kd
    .uniform_work_group_size: 1
    .uses_dynamic_stack: false
    .vgpr_count:     28
    .vgpr_spill_count: 0
    .wavefront_size: 64
  - .agpr_count:     0
    .args:
      - .address_space:  global
        .offset:         0
        .size:           8
        .value_kind:     global_buffer
      - .address_space:  global
        .offset:         8
        .size:           8
        .value_kind:     global_buffer
    .group_segment_fixed_size: 4104
    .kernarg_segment_align: 8
    .kernarg_segment_size: 16
    .language:       OpenCL C
    .language_version:
      - 2
      - 0
    .max_flat_workgroup_size: 128
    .name:           _Z11rank_kernelIiLj4ELb0EL18RadixRankAlgorithm1ELj128ELj4ELj10EEvPKT_Pi
    .private_segment_fixed_size: 0
    .sgpr_count:     42
    .sgpr_spill_count: 0
    .symbol:         _Z11rank_kernelIiLj4ELb0EL18RadixRankAlgorithm1ELj128ELj4ELj10EEvPKT_Pi.kd
    .uniform_work_group_size: 1
    .uses_dynamic_stack: false
    .vgpr_count:     29
    .vgpr_spill_count: 0
    .wavefront_size: 64
  - .agpr_count:     0
    .args:
      - .address_space:  global
        .offset:         0
        .size:           8
        .value_kind:     global_buffer
      - .address_space:  global
        .offset:         8
        .size:           8
        .value_kind:     global_buffer
      - .offset:         16
        .size:           4
        .value_kind:     hidden_block_count_x
      - .offset:         20
        .size:           4
        .value_kind:     hidden_block_count_y
      - .offset:         24
        .size:           4
        .value_kind:     hidden_block_count_z
      - .offset:         28
        .size:           2
        .value_kind:     hidden_group_size_x
      - .offset:         30
        .size:           2
        .value_kind:     hidden_group_size_y
      - .offset:         32
        .size:           2
        .value_kind:     hidden_group_size_z
      - .offset:         34
        .size:           2
        .value_kind:     hidden_remainder_x
      - .offset:         36
        .size:           2
        .value_kind:     hidden_remainder_y
      - .offset:         38
        .size:           2
        .value_kind:     hidden_remainder_z
      - .offset:         56
        .size:           8
        .value_kind:     hidden_global_offset_x
      - .offset:         64
        .size:           8
        .value_kind:     hidden_global_offset_y
      - .offset:         72
        .size:           8
        .value_kind:     hidden_global_offset_z
      - .offset:         80
        .size:           2
        .value_kind:     hidden_grid_dims
    .group_segment_fixed_size: 520
    .kernarg_segment_align: 8
    .kernarg_segment_size: 272
    .language:       OpenCL C
    .language_version:
      - 2
      - 0
    .max_flat_workgroup_size: 128
    .name:           _Z11rank_kernelIiLj4ELb0EL18RadixRankAlgorithm2ELj128ELj4ELj10EEvPKT_Pi
    .private_segment_fixed_size: 0
    .sgpr_count:     36
    .sgpr_spill_count: 0
    .symbol:         _Z11rank_kernelIiLj4ELb0EL18RadixRankAlgorithm2ELj128ELj4ELj10EEvPKT_Pi.kd
    .uniform_work_group_size: 1
    .uses_dynamic_stack: false
    .vgpr_count:     26
    .vgpr_spill_count: 0
    .wavefront_size: 64
  - .agpr_count:     0
    .args:
      - .address_space:  global
        .offset:         0
        .size:           8
        .value_kind:     global_buffer
      - .address_space:  global
        .offset:         8
        .size:           8
        .value_kind:     global_buffer
    .group_segment_fixed_size: 4104
    .kernarg_segment_align: 8
    .kernarg_segment_size: 16
    .language:       OpenCL C
    .language_version:
      - 2
      - 0
    .max_flat_workgroup_size: 128
    .name:           _Z11rank_kernelIiLj4ELb0EL18RadixRankAlgorithm0ELj128ELj8ELj10EEvPKT_Pi
    .private_segment_fixed_size: 0
    .sgpr_count:     42
    .sgpr_spill_count: 0
    .symbol:         _Z11rank_kernelIiLj4ELb0EL18RadixRankAlgorithm0ELj128ELj8ELj10EEvPKT_Pi.kd
    .uniform_work_group_size: 1
    .uses_dynamic_stack: false
    .vgpr_count:     40
    .vgpr_spill_count: 0
    .wavefront_size: 64
  - .agpr_count:     0
    .args:
      - .address_space:  global
        .offset:         0
        .size:           8
        .value_kind:     global_buffer
      - .address_space:  global
        .offset:         8
        .size:           8
        .value_kind:     global_buffer
    .group_segment_fixed_size: 4104
    .kernarg_segment_align: 8
    .kernarg_segment_size: 16
    .language:       OpenCL C
    .language_version:
      - 2
      - 0
    .max_flat_workgroup_size: 128
    .name:           _Z11rank_kernelIiLj4ELb0EL18RadixRankAlgorithm1ELj128ELj8ELj10EEvPKT_Pi
    .private_segment_fixed_size: 0
    .sgpr_count:     42
    .sgpr_spill_count: 0
    .symbol:         _Z11rank_kernelIiLj4ELb0EL18RadixRankAlgorithm1ELj128ELj8ELj10EEvPKT_Pi.kd
    .uniform_work_group_size: 1
    .uses_dynamic_stack: false
    .vgpr_count:     42
    .vgpr_spill_count: 0
    .wavefront_size: 64
  - .agpr_count:     0
    .args:
      - .address_space:  global
        .offset:         0
        .size:           8
        .value_kind:     global_buffer
      - .address_space:  global
        .offset:         8
        .size:           8
        .value_kind:     global_buffer
      - .offset:         16
        .size:           4
        .value_kind:     hidden_block_count_x
      - .offset:         20
        .size:           4
        .value_kind:     hidden_block_count_y
      - .offset:         24
        .size:           4
        .value_kind:     hidden_block_count_z
      - .offset:         28
        .size:           2
        .value_kind:     hidden_group_size_x
      - .offset:         30
        .size:           2
        .value_kind:     hidden_group_size_y
      - .offset:         32
        .size:           2
        .value_kind:     hidden_group_size_z
      - .offset:         34
        .size:           2
        .value_kind:     hidden_remainder_x
      - .offset:         36
        .size:           2
        .value_kind:     hidden_remainder_y
      - .offset:         38
        .size:           2
        .value_kind:     hidden_remainder_z
      - .offset:         56
        .size:           8
        .value_kind:     hidden_global_offset_x
      - .offset:         64
        .size:           8
        .value_kind:     hidden_global_offset_y
      - .offset:         72
        .size:           8
        .value_kind:     hidden_global_offset_z
      - .offset:         80
        .size:           2
        .value_kind:     hidden_grid_dims
    .group_segment_fixed_size: 520
    .kernarg_segment_align: 8
    .kernarg_segment_size: 272
    .language:       OpenCL C
    .language_version:
      - 2
      - 0
    .max_flat_workgroup_size: 128
    .name:           _Z11rank_kernelIiLj4ELb0EL18RadixRankAlgorithm2ELj128ELj8ELj10EEvPKT_Pi
    .private_segment_fixed_size: 0
    .sgpr_count:     36
    .sgpr_spill_count: 0
    .symbol:         _Z11rank_kernelIiLj4ELb0EL18RadixRankAlgorithm2ELj128ELj8ELj10EEvPKT_Pi.kd
    .uniform_work_group_size: 1
    .uses_dynamic_stack: false
    .vgpr_count:     43
    .vgpr_spill_count: 0
    .wavefront_size: 64
  - .agpr_count:     0
    .args:
      - .address_space:  global
        .offset:         0
        .size:           8
        .value_kind:     global_buffer
      - .address_space:  global
        .offset:         8
        .size:           8
        .value_kind:     global_buffer
    .group_segment_fixed_size: 4104
    .kernarg_segment_align: 8
    .kernarg_segment_size: 16
    .language:       OpenCL C
    .language_version:
      - 2
      - 0
    .max_flat_workgroup_size: 128
    .name:           _Z11rank_kernelIiLj4ELb0EL18RadixRankAlgorithm0ELj128ELj16ELj10EEvPKT_Pi
    .private_segment_fixed_size: 0
    .sgpr_count:     42
    .sgpr_spill_count: 0
    .symbol:         _Z11rank_kernelIiLj4ELb0EL18RadixRankAlgorithm0ELj128ELj16ELj10EEvPKT_Pi.kd
    .uniform_work_group_size: 1
    .uses_dynamic_stack: false
    .vgpr_count:     59
    .vgpr_spill_count: 0
    .wavefront_size: 64
  - .agpr_count:     0
    .args:
      - .address_space:  global
        .offset:         0
        .size:           8
        .value_kind:     global_buffer
      - .address_space:  global
        .offset:         8
        .size:           8
        .value_kind:     global_buffer
    .group_segment_fixed_size: 4104
    .kernarg_segment_align: 8
    .kernarg_segment_size: 16
    .language:       OpenCL C
    .language_version:
      - 2
      - 0
    .max_flat_workgroup_size: 128
    .name:           _Z11rank_kernelIiLj4ELb0EL18RadixRankAlgorithm1ELj128ELj16ELj10EEvPKT_Pi
    .private_segment_fixed_size: 0
    .sgpr_count:     42
    .sgpr_spill_count: 0
    .symbol:         _Z11rank_kernelIiLj4ELb0EL18RadixRankAlgorithm1ELj128ELj16ELj10EEvPKT_Pi.kd
    .uniform_work_group_size: 1
    .uses_dynamic_stack: false
    .vgpr_count:     66
    .vgpr_spill_count: 0
    .wavefront_size: 64
  - .agpr_count:     0
    .args:
      - .address_space:  global
        .offset:         0
        .size:           8
        .value_kind:     global_buffer
      - .address_space:  global
        .offset:         8
        .size:           8
        .value_kind:     global_buffer
      - .offset:         16
        .size:           4
        .value_kind:     hidden_block_count_x
      - .offset:         20
        .size:           4
        .value_kind:     hidden_block_count_y
      - .offset:         24
        .size:           4
        .value_kind:     hidden_block_count_z
      - .offset:         28
        .size:           2
        .value_kind:     hidden_group_size_x
      - .offset:         30
        .size:           2
        .value_kind:     hidden_group_size_y
      - .offset:         32
        .size:           2
        .value_kind:     hidden_group_size_z
      - .offset:         34
        .size:           2
        .value_kind:     hidden_remainder_x
      - .offset:         36
        .size:           2
        .value_kind:     hidden_remainder_y
      - .offset:         38
        .size:           2
        .value_kind:     hidden_remainder_z
      - .offset:         56
        .size:           8
        .value_kind:     hidden_global_offset_x
      - .offset:         64
        .size:           8
        .value_kind:     hidden_global_offset_y
      - .offset:         72
        .size:           8
        .value_kind:     hidden_global_offset_z
      - .offset:         80
        .size:           2
        .value_kind:     hidden_grid_dims
    .group_segment_fixed_size: 520
    .kernarg_segment_align: 8
    .kernarg_segment_size: 272
    .language:       OpenCL C
    .language_version:
      - 2
      - 0
    .max_flat_workgroup_size: 128
    .name:           _Z11rank_kernelIiLj4ELb0EL18RadixRankAlgorithm2ELj128ELj16ELj10EEvPKT_Pi
    .private_segment_fixed_size: 0
    .sgpr_count:     36
    .sgpr_spill_count: 0
    .symbol:         _Z11rank_kernelIiLj4ELb0EL18RadixRankAlgorithm2ELj128ELj16ELj10EEvPKT_Pi.kd
    .uniform_work_group_size: 1
    .uses_dynamic_stack: false
    .vgpr_count:     75
    .vgpr_spill_count: 0
    .wavefront_size: 64
  - .agpr_count:     0
    .args:
      - .address_space:  global
        .offset:         0
        .size:           8
        .value_kind:     global_buffer
      - .address_space:  global
        .offset:         8
        .size:           8
        .value_kind:     global_buffer
    .group_segment_fixed_size: 4104
    .kernarg_segment_align: 8
    .kernarg_segment_size: 16
    .language:       OpenCL C
    .language_version:
      - 2
      - 0
    .max_flat_workgroup_size: 128
    .name:           _Z11rank_kernelIiLj4ELb0EL18RadixRankAlgorithm0ELj128ELj32ELj10EEvPKT_Pi
    .private_segment_fixed_size: 0
    .sgpr_count:     42
    .sgpr_spill_count: 0
    .symbol:         _Z11rank_kernelIiLj4ELb0EL18RadixRankAlgorithm0ELj128ELj32ELj10EEvPKT_Pi.kd
    .uniform_work_group_size: 1
    .uses_dynamic_stack: false
    .vgpr_count:     112
    .vgpr_spill_count: 0
    .wavefront_size: 64
  - .agpr_count:     0
    .args:
      - .address_space:  global
        .offset:         0
        .size:           8
        .value_kind:     global_buffer
      - .address_space:  global
        .offset:         8
        .size:           8
        .value_kind:     global_buffer
    .group_segment_fixed_size: 4104
    .kernarg_segment_align: 8
    .kernarg_segment_size: 16
    .language:       OpenCL C
    .language_version:
      - 2
      - 0
    .max_flat_workgroup_size: 128
    .name:           _Z11rank_kernelIiLj4ELb0EL18RadixRankAlgorithm1ELj128ELj32ELj10EEvPKT_Pi
    .private_segment_fixed_size: 0
    .sgpr_count:     42
    .sgpr_spill_count: 0
    .symbol:         _Z11rank_kernelIiLj4ELb0EL18RadixRankAlgorithm1ELj128ELj32ELj10EEvPKT_Pi.kd
    .uniform_work_group_size: 1
    .uses_dynamic_stack: false
    .vgpr_count:     113
    .vgpr_spill_count: 0
    .wavefront_size: 64
  - .agpr_count:     0
    .args:
      - .address_space:  global
        .offset:         0
        .size:           8
        .value_kind:     global_buffer
      - .address_space:  global
        .offset:         8
        .size:           8
        .value_kind:     global_buffer
      - .offset:         16
        .size:           4
        .value_kind:     hidden_block_count_x
      - .offset:         20
        .size:           4
        .value_kind:     hidden_block_count_y
      - .offset:         24
        .size:           4
        .value_kind:     hidden_block_count_z
      - .offset:         28
        .size:           2
        .value_kind:     hidden_group_size_x
      - .offset:         30
        .size:           2
        .value_kind:     hidden_group_size_y
      - .offset:         32
        .size:           2
        .value_kind:     hidden_group_size_z
      - .offset:         34
        .size:           2
        .value_kind:     hidden_remainder_x
      - .offset:         36
        .size:           2
        .value_kind:     hidden_remainder_y
      - .offset:         38
        .size:           2
        .value_kind:     hidden_remainder_z
      - .offset:         56
        .size:           8
        .value_kind:     hidden_global_offset_x
      - .offset:         64
        .size:           8
        .value_kind:     hidden_global_offset_y
      - .offset:         72
        .size:           8
        .value_kind:     hidden_global_offset_z
      - .offset:         80
        .size:           2
        .value_kind:     hidden_grid_dims
    .group_segment_fixed_size: 520
    .kernarg_segment_align: 8
    .kernarg_segment_size: 272
    .language:       OpenCL C
    .language_version:
      - 2
      - 0
    .max_flat_workgroup_size: 128
    .name:           _Z11rank_kernelIiLj4ELb0EL18RadixRankAlgorithm2ELj128ELj32ELj10EEvPKT_Pi
    .private_segment_fixed_size: 0
    .sgpr_count:     36
    .sgpr_spill_count: 0
    .symbol:         _Z11rank_kernelIiLj4ELb0EL18RadixRankAlgorithm2ELj128ELj32ELj10EEvPKT_Pi.kd
    .uniform_work_group_size: 1
    .uses_dynamic_stack: false
    .vgpr_count:     139
    .vgpr_spill_count: 0
    .wavefront_size: 64
  - .agpr_count:     0
    .args:
      - .address_space:  global
        .offset:         0
        .size:           8
        .value_kind:     global_buffer
      - .address_space:  global
        .offset:         8
        .size:           8
        .value_kind:     global_buffer
    .group_segment_fixed_size: 8208
    .kernarg_segment_align: 8
    .kernarg_segment_size: 16
    .language:       OpenCL C
    .language_version:
      - 2
      - 0
    .max_flat_workgroup_size: 256
    .name:           _Z11rank_kernelIiLj4ELb0EL18RadixRankAlgorithm0ELj256ELj1ELj10EEvPKT_Pi
    .private_segment_fixed_size: 0
    .sgpr_count:     44
    .sgpr_spill_count: 0
    .symbol:         _Z11rank_kernelIiLj4ELb0EL18RadixRankAlgorithm0ELj256ELj1ELj10EEvPKT_Pi.kd
    .uniform_work_group_size: 1
    .uses_dynamic_stack: false
    .vgpr_count:     18
    .vgpr_spill_count: 0
    .wavefront_size: 64
  - .agpr_count:     0
    .args:
      - .address_space:  global
        .offset:         0
        .size:           8
        .value_kind:     global_buffer
      - .address_space:  global
        .offset:         8
        .size:           8
        .value_kind:     global_buffer
    .group_segment_fixed_size: 8208
    .kernarg_segment_align: 8
    .kernarg_segment_size: 16
    .language:       OpenCL C
    .language_version:
      - 2
      - 0
    .max_flat_workgroup_size: 256
    .name:           _Z11rank_kernelIiLj4ELb0EL18RadixRankAlgorithm1ELj256ELj1ELj10EEvPKT_Pi
    .private_segment_fixed_size: 0
    .sgpr_count:     44
    .sgpr_spill_count: 0
    .symbol:         _Z11rank_kernelIiLj4ELb0EL18RadixRankAlgorithm1ELj256ELj1ELj10EEvPKT_Pi.kd
    .uniform_work_group_size: 1
    .uses_dynamic_stack: false
    .vgpr_count:     20
    .vgpr_spill_count: 0
    .wavefront_size: 64
  - .agpr_count:     0
    .args:
      - .address_space:  global
        .offset:         0
        .size:           8
        .value_kind:     global_buffer
      - .address_space:  global
        .offset:         8
        .size:           8
        .value_kind:     global_buffer
      - .offset:         16
        .size:           4
        .value_kind:     hidden_block_count_x
      - .offset:         20
        .size:           4
        .value_kind:     hidden_block_count_y
      - .offset:         24
        .size:           4
        .value_kind:     hidden_block_count_z
      - .offset:         28
        .size:           2
        .value_kind:     hidden_group_size_x
      - .offset:         30
        .size:           2
        .value_kind:     hidden_group_size_y
      - .offset:         32
        .size:           2
        .value_kind:     hidden_group_size_z
      - .offset:         34
        .size:           2
        .value_kind:     hidden_remainder_x
      - .offset:         36
        .size:           2
        .value_kind:     hidden_remainder_y
      - .offset:         38
        .size:           2
        .value_kind:     hidden_remainder_z
      - .offset:         56
        .size:           8
        .value_kind:     hidden_global_offset_x
      - .offset:         64
        .size:           8
        .value_kind:     hidden_global_offset_y
      - .offset:         72
        .size:           8
        .value_kind:     hidden_global_offset_z
      - .offset:         80
        .size:           2
        .value_kind:     hidden_grid_dims
    .group_segment_fixed_size: 1040
    .kernarg_segment_align: 8
    .kernarg_segment_size: 272
    .language:       OpenCL C
    .language_version:
      - 2
      - 0
    .max_flat_workgroup_size: 256
    .name:           _Z11rank_kernelIiLj4ELb0EL18RadixRankAlgorithm2ELj256ELj1ELj10EEvPKT_Pi
    .private_segment_fixed_size: 0
    .sgpr_count:     38
    .sgpr_spill_count: 0
    .symbol:         _Z11rank_kernelIiLj4ELb0EL18RadixRankAlgorithm2ELj256ELj1ELj10EEvPKT_Pi.kd
    .uniform_work_group_size: 1
    .uses_dynamic_stack: false
    .vgpr_count:     15
    .vgpr_spill_count: 0
    .wavefront_size: 64
  - .agpr_count:     0
    .args:
      - .address_space:  global
        .offset:         0
        .size:           8
        .value_kind:     global_buffer
      - .address_space:  global
        .offset:         8
        .size:           8
        .value_kind:     global_buffer
    .group_segment_fixed_size: 8208
    .kernarg_segment_align: 8
    .kernarg_segment_size: 16
    .language:       OpenCL C
    .language_version:
      - 2
      - 0
    .max_flat_workgroup_size: 256
    .name:           _Z11rank_kernelIiLj4ELb0EL18RadixRankAlgorithm0ELj256ELj4ELj10EEvPKT_Pi
    .private_segment_fixed_size: 0
    .sgpr_count:     44
    .sgpr_spill_count: 0
    .symbol:         _Z11rank_kernelIiLj4ELb0EL18RadixRankAlgorithm0ELj256ELj4ELj10EEvPKT_Pi.kd
    .uniform_work_group_size: 1
    .uses_dynamic_stack: false
    .vgpr_count:     28
    .vgpr_spill_count: 0
    .wavefront_size: 64
  - .agpr_count:     0
    .args:
      - .address_space:  global
        .offset:         0
        .size:           8
        .value_kind:     global_buffer
      - .address_space:  global
        .offset:         8
        .size:           8
        .value_kind:     global_buffer
    .group_segment_fixed_size: 8208
    .kernarg_segment_align: 8
    .kernarg_segment_size: 16
    .language:       OpenCL C
    .language_version:
      - 2
      - 0
    .max_flat_workgroup_size: 256
    .name:           _Z11rank_kernelIiLj4ELb0EL18RadixRankAlgorithm1ELj256ELj4ELj10EEvPKT_Pi
    .private_segment_fixed_size: 0
    .sgpr_count:     44
    .sgpr_spill_count: 0
    .symbol:         _Z11rank_kernelIiLj4ELb0EL18RadixRankAlgorithm1ELj256ELj4ELj10EEvPKT_Pi.kd
    .uniform_work_group_size: 1
    .uses_dynamic_stack: false
    .vgpr_count:     29
    .vgpr_spill_count: 0
    .wavefront_size: 64
  - .agpr_count:     0
    .args:
      - .address_space:  global
        .offset:         0
        .size:           8
        .value_kind:     global_buffer
      - .address_space:  global
        .offset:         8
        .size:           8
        .value_kind:     global_buffer
      - .offset:         16
        .size:           4
        .value_kind:     hidden_block_count_x
      - .offset:         20
        .size:           4
        .value_kind:     hidden_block_count_y
      - .offset:         24
        .size:           4
        .value_kind:     hidden_block_count_z
      - .offset:         28
        .size:           2
        .value_kind:     hidden_group_size_x
      - .offset:         30
        .size:           2
        .value_kind:     hidden_group_size_y
      - .offset:         32
        .size:           2
        .value_kind:     hidden_group_size_z
      - .offset:         34
        .size:           2
        .value_kind:     hidden_remainder_x
      - .offset:         36
        .size:           2
        .value_kind:     hidden_remainder_y
      - .offset:         38
        .size:           2
        .value_kind:     hidden_remainder_z
      - .offset:         56
        .size:           8
        .value_kind:     hidden_global_offset_x
      - .offset:         64
        .size:           8
        .value_kind:     hidden_global_offset_y
      - .offset:         72
        .size:           8
        .value_kind:     hidden_global_offset_z
      - .offset:         80
        .size:           2
        .value_kind:     hidden_grid_dims
    .group_segment_fixed_size: 1040
    .kernarg_segment_align: 8
    .kernarg_segment_size: 272
    .language:       OpenCL C
    .language_version:
      - 2
      - 0
    .max_flat_workgroup_size: 256
    .name:           _Z11rank_kernelIiLj4ELb0EL18RadixRankAlgorithm2ELj256ELj4ELj10EEvPKT_Pi
    .private_segment_fixed_size: 0
    .sgpr_count:     38
    .sgpr_spill_count: 0
    .symbol:         _Z11rank_kernelIiLj4ELb0EL18RadixRankAlgorithm2ELj256ELj4ELj10EEvPKT_Pi.kd
    .uniform_work_group_size: 1
    .uses_dynamic_stack: false
    .vgpr_count:     26
    .vgpr_spill_count: 0
    .wavefront_size: 64
  - .agpr_count:     0
    .args:
      - .address_space:  global
        .offset:         0
        .size:           8
        .value_kind:     global_buffer
      - .address_space:  global
        .offset:         8
        .size:           8
        .value_kind:     global_buffer
    .group_segment_fixed_size: 8208
    .kernarg_segment_align: 8
    .kernarg_segment_size: 16
    .language:       OpenCL C
    .language_version:
      - 2
      - 0
    .max_flat_workgroup_size: 256
    .name:           _Z11rank_kernelIiLj4ELb0EL18RadixRankAlgorithm0ELj256ELj8ELj10EEvPKT_Pi
    .private_segment_fixed_size: 0
    .sgpr_count:     44
    .sgpr_spill_count: 0
    .symbol:         _Z11rank_kernelIiLj4ELb0EL18RadixRankAlgorithm0ELj256ELj8ELj10EEvPKT_Pi.kd
    .uniform_work_group_size: 1
    .uses_dynamic_stack: false
    .vgpr_count:     40
    .vgpr_spill_count: 0
    .wavefront_size: 64
  - .agpr_count:     0
    .args:
      - .address_space:  global
        .offset:         0
        .size:           8
        .value_kind:     global_buffer
      - .address_space:  global
        .offset:         8
        .size:           8
        .value_kind:     global_buffer
    .group_segment_fixed_size: 8208
    .kernarg_segment_align: 8
    .kernarg_segment_size: 16
    .language:       OpenCL C
    .language_version:
      - 2
      - 0
    .max_flat_workgroup_size: 256
    .name:           _Z11rank_kernelIiLj4ELb0EL18RadixRankAlgorithm1ELj256ELj8ELj10EEvPKT_Pi
    .private_segment_fixed_size: 0
    .sgpr_count:     44
    .sgpr_spill_count: 0
    .symbol:         _Z11rank_kernelIiLj4ELb0EL18RadixRankAlgorithm1ELj256ELj8ELj10EEvPKT_Pi.kd
    .uniform_work_group_size: 1
    .uses_dynamic_stack: false
    .vgpr_count:     42
    .vgpr_spill_count: 0
    .wavefront_size: 64
  - .agpr_count:     0
    .args:
      - .address_space:  global
        .offset:         0
        .size:           8
        .value_kind:     global_buffer
      - .address_space:  global
        .offset:         8
        .size:           8
        .value_kind:     global_buffer
      - .offset:         16
        .size:           4
        .value_kind:     hidden_block_count_x
      - .offset:         20
        .size:           4
        .value_kind:     hidden_block_count_y
      - .offset:         24
        .size:           4
        .value_kind:     hidden_block_count_z
      - .offset:         28
        .size:           2
        .value_kind:     hidden_group_size_x
      - .offset:         30
        .size:           2
        .value_kind:     hidden_group_size_y
      - .offset:         32
        .size:           2
        .value_kind:     hidden_group_size_z
      - .offset:         34
        .size:           2
        .value_kind:     hidden_remainder_x
      - .offset:         36
        .size:           2
        .value_kind:     hidden_remainder_y
      - .offset:         38
        .size:           2
        .value_kind:     hidden_remainder_z
      - .offset:         56
        .size:           8
        .value_kind:     hidden_global_offset_x
      - .offset:         64
        .size:           8
        .value_kind:     hidden_global_offset_y
      - .offset:         72
        .size:           8
        .value_kind:     hidden_global_offset_z
      - .offset:         80
        .size:           2
        .value_kind:     hidden_grid_dims
    .group_segment_fixed_size: 1040
    .kernarg_segment_align: 8
    .kernarg_segment_size: 272
    .language:       OpenCL C
    .language_version:
      - 2
      - 0
    .max_flat_workgroup_size: 256
    .name:           _Z11rank_kernelIiLj4ELb0EL18RadixRankAlgorithm2ELj256ELj8ELj10EEvPKT_Pi
    .private_segment_fixed_size: 0
    .sgpr_count:     38
    .sgpr_spill_count: 0
    .symbol:         _Z11rank_kernelIiLj4ELb0EL18RadixRankAlgorithm2ELj256ELj8ELj10EEvPKT_Pi.kd
    .uniform_work_group_size: 1
    .uses_dynamic_stack: false
    .vgpr_count:     43
    .vgpr_spill_count: 0
    .wavefront_size: 64
  - .agpr_count:     0
    .args:
      - .address_space:  global
        .offset:         0
        .size:           8
        .value_kind:     global_buffer
      - .address_space:  global
        .offset:         8
        .size:           8
        .value_kind:     global_buffer
    .group_segment_fixed_size: 8208
    .kernarg_segment_align: 8
    .kernarg_segment_size: 16
    .language:       OpenCL C
    .language_version:
      - 2
      - 0
    .max_flat_workgroup_size: 256
    .name:           _Z11rank_kernelIiLj4ELb0EL18RadixRankAlgorithm0ELj256ELj16ELj10EEvPKT_Pi
    .private_segment_fixed_size: 0
    .sgpr_count:     44
    .sgpr_spill_count: 0
    .symbol:         _Z11rank_kernelIiLj4ELb0EL18RadixRankAlgorithm0ELj256ELj16ELj10EEvPKT_Pi.kd
    .uniform_work_group_size: 1
    .uses_dynamic_stack: false
    .vgpr_count:     64
    .vgpr_spill_count: 0
    .wavefront_size: 64
  - .agpr_count:     0
    .args:
      - .address_space:  global
        .offset:         0
        .size:           8
        .value_kind:     global_buffer
      - .address_space:  global
        .offset:         8
        .size:           8
        .value_kind:     global_buffer
    .group_segment_fixed_size: 8208
    .kernarg_segment_align: 8
    .kernarg_segment_size: 16
    .language:       OpenCL C
    .language_version:
      - 2
      - 0
    .max_flat_workgroup_size: 256
    .name:           _Z11rank_kernelIiLj4ELb0EL18RadixRankAlgorithm1ELj256ELj16ELj10EEvPKT_Pi
    .private_segment_fixed_size: 0
    .sgpr_count:     44
    .sgpr_spill_count: 0
    .symbol:         _Z11rank_kernelIiLj4ELb0EL18RadixRankAlgorithm1ELj256ELj16ELj10EEvPKT_Pi.kd
    .uniform_work_group_size: 1
    .uses_dynamic_stack: false
    .vgpr_count:     66
    .vgpr_spill_count: 0
    .wavefront_size: 64
  - .agpr_count:     0
    .args:
      - .address_space:  global
        .offset:         0
        .size:           8
        .value_kind:     global_buffer
      - .address_space:  global
        .offset:         8
        .size:           8
        .value_kind:     global_buffer
      - .offset:         16
        .size:           4
        .value_kind:     hidden_block_count_x
      - .offset:         20
        .size:           4
        .value_kind:     hidden_block_count_y
      - .offset:         24
        .size:           4
        .value_kind:     hidden_block_count_z
      - .offset:         28
        .size:           2
        .value_kind:     hidden_group_size_x
      - .offset:         30
        .size:           2
        .value_kind:     hidden_group_size_y
      - .offset:         32
        .size:           2
        .value_kind:     hidden_group_size_z
      - .offset:         34
        .size:           2
        .value_kind:     hidden_remainder_x
      - .offset:         36
        .size:           2
        .value_kind:     hidden_remainder_y
      - .offset:         38
        .size:           2
        .value_kind:     hidden_remainder_z
      - .offset:         56
        .size:           8
        .value_kind:     hidden_global_offset_x
      - .offset:         64
        .size:           8
        .value_kind:     hidden_global_offset_y
      - .offset:         72
        .size:           8
        .value_kind:     hidden_global_offset_z
      - .offset:         80
        .size:           2
        .value_kind:     hidden_grid_dims
    .group_segment_fixed_size: 1040
    .kernarg_segment_align: 8
    .kernarg_segment_size: 272
    .language:       OpenCL C
    .language_version:
      - 2
      - 0
    .max_flat_workgroup_size: 256
    .name:           _Z11rank_kernelIiLj4ELb0EL18RadixRankAlgorithm2ELj256ELj16ELj10EEvPKT_Pi
    .private_segment_fixed_size: 0
    .sgpr_count:     38
    .sgpr_spill_count: 0
    .symbol:         _Z11rank_kernelIiLj4ELb0EL18RadixRankAlgorithm2ELj256ELj16ELj10EEvPKT_Pi.kd
    .uniform_work_group_size: 1
    .uses_dynamic_stack: false
    .vgpr_count:     75
    .vgpr_spill_count: 0
    .wavefront_size: 64
  - .agpr_count:     0
    .args:
      - .address_space:  global
        .offset:         0
        .size:           8
        .value_kind:     global_buffer
      - .address_space:  global
        .offset:         8
        .size:           8
        .value_kind:     global_buffer
    .group_segment_fixed_size: 8208
    .kernarg_segment_align: 8
    .kernarg_segment_size: 16
    .language:       OpenCL C
    .language_version:
      - 2
      - 0
    .max_flat_workgroup_size: 256
    .name:           _Z11rank_kernelIiLj4ELb0EL18RadixRankAlgorithm0ELj256ELj32ELj10EEvPKT_Pi
    .private_segment_fixed_size: 0
    .sgpr_count:     44
    .sgpr_spill_count: 0
    .symbol:         _Z11rank_kernelIiLj4ELb0EL18RadixRankAlgorithm0ELj256ELj32ELj10EEvPKT_Pi.kd
    .uniform_work_group_size: 1
    .uses_dynamic_stack: false
    .vgpr_count:     112
    .vgpr_spill_count: 0
    .wavefront_size: 64
  - .agpr_count:     0
    .args:
      - .address_space:  global
        .offset:         0
        .size:           8
        .value_kind:     global_buffer
      - .address_space:  global
        .offset:         8
        .size:           8
        .value_kind:     global_buffer
    .group_segment_fixed_size: 8208
    .kernarg_segment_align: 8
    .kernarg_segment_size: 16
    .language:       OpenCL C
    .language_version:
      - 2
      - 0
    .max_flat_workgroup_size: 256
    .name:           _Z11rank_kernelIiLj4ELb0EL18RadixRankAlgorithm1ELj256ELj32ELj10EEvPKT_Pi
    .private_segment_fixed_size: 0
    .sgpr_count:     44
    .sgpr_spill_count: 0
    .symbol:         _Z11rank_kernelIiLj4ELb0EL18RadixRankAlgorithm1ELj256ELj32ELj10EEvPKT_Pi.kd
    .uniform_work_group_size: 1
    .uses_dynamic_stack: false
    .vgpr_count:     113
    .vgpr_spill_count: 0
    .wavefront_size: 64
  - .agpr_count:     0
    .args:
      - .address_space:  global
        .offset:         0
        .size:           8
        .value_kind:     global_buffer
      - .address_space:  global
        .offset:         8
        .size:           8
        .value_kind:     global_buffer
      - .offset:         16
        .size:           4
        .value_kind:     hidden_block_count_x
      - .offset:         20
        .size:           4
        .value_kind:     hidden_block_count_y
      - .offset:         24
        .size:           4
        .value_kind:     hidden_block_count_z
      - .offset:         28
        .size:           2
        .value_kind:     hidden_group_size_x
      - .offset:         30
        .size:           2
        .value_kind:     hidden_group_size_y
      - .offset:         32
        .size:           2
        .value_kind:     hidden_group_size_z
      - .offset:         34
        .size:           2
        .value_kind:     hidden_remainder_x
      - .offset:         36
        .size:           2
        .value_kind:     hidden_remainder_y
      - .offset:         38
        .size:           2
        .value_kind:     hidden_remainder_z
      - .offset:         56
        .size:           8
        .value_kind:     hidden_global_offset_x
      - .offset:         64
        .size:           8
        .value_kind:     hidden_global_offset_y
      - .offset:         72
        .size:           8
        .value_kind:     hidden_global_offset_z
      - .offset:         80
        .size:           2
        .value_kind:     hidden_grid_dims
    .group_segment_fixed_size: 1040
    .kernarg_segment_align: 8
    .kernarg_segment_size: 272
    .language:       OpenCL C
    .language_version:
      - 2
      - 0
    .max_flat_workgroup_size: 256
    .name:           _Z11rank_kernelIiLj4ELb0EL18RadixRankAlgorithm2ELj256ELj32ELj10EEvPKT_Pi
    .private_segment_fixed_size: 0
    .sgpr_count:     38
    .sgpr_spill_count: 0
    .symbol:         _Z11rank_kernelIiLj4ELb0EL18RadixRankAlgorithm2ELj256ELj32ELj10EEvPKT_Pi.kd
    .uniform_work_group_size: 1
    .uses_dynamic_stack: false
    .vgpr_count:     139
    .vgpr_spill_count: 0
    .wavefront_size: 64
  - .agpr_count:     0
    .args:
      - .address_space:  global
        .offset:         0
        .size:           8
        .value_kind:     global_buffer
      - .address_space:  global
        .offset:         8
        .size:           8
        .value_kind:     global_buffer
    .group_segment_fixed_size: 16416
    .kernarg_segment_align: 8
    .kernarg_segment_size: 16
    .language:       OpenCL C
    .language_version:
      - 2
      - 0
    .max_flat_workgroup_size: 512
    .name:           _Z11rank_kernelIiLj4ELb0EL18RadixRankAlgorithm0ELj512ELj1ELj10EEvPKT_Pi
    .private_segment_fixed_size: 0
    .sgpr_count:     41
    .sgpr_spill_count: 0
    .symbol:         _Z11rank_kernelIiLj4ELb0EL18RadixRankAlgorithm0ELj512ELj1ELj10EEvPKT_Pi.kd
    .uniform_work_group_size: 1
    .uses_dynamic_stack: false
    .vgpr_count:     24
    .vgpr_spill_count: 0
    .wavefront_size: 64
  - .agpr_count:     0
    .args:
      - .address_space:  global
        .offset:         0
        .size:           8
        .value_kind:     global_buffer
      - .address_space:  global
        .offset:         8
        .size:           8
        .value_kind:     global_buffer
    .group_segment_fixed_size: 16416
    .kernarg_segment_align: 8
    .kernarg_segment_size: 16
    .language:       OpenCL C
    .language_version:
      - 2
      - 0
    .max_flat_workgroup_size: 512
    .name:           _Z11rank_kernelIiLj4ELb0EL18RadixRankAlgorithm1ELj512ELj1ELj10EEvPKT_Pi
    .private_segment_fixed_size: 0
    .sgpr_count:     41
    .sgpr_spill_count: 0
    .symbol:         _Z11rank_kernelIiLj4ELb0EL18RadixRankAlgorithm1ELj512ELj1ELj10EEvPKT_Pi.kd
    .uniform_work_group_size: 1
    .uses_dynamic_stack: false
    .vgpr_count:     26
    .vgpr_spill_count: 0
    .wavefront_size: 64
  - .agpr_count:     0
    .args:
      - .address_space:  global
        .offset:         0
        .size:           8
        .value_kind:     global_buffer
      - .address_space:  global
        .offset:         8
        .size:           8
        .value_kind:     global_buffer
      - .offset:         16
        .size:           4
        .value_kind:     hidden_block_count_x
      - .offset:         20
        .size:           4
        .value_kind:     hidden_block_count_y
      - .offset:         24
        .size:           4
        .value_kind:     hidden_block_count_z
      - .offset:         28
        .size:           2
        .value_kind:     hidden_group_size_x
      - .offset:         30
        .size:           2
        .value_kind:     hidden_group_size_y
      - .offset:         32
        .size:           2
        .value_kind:     hidden_group_size_z
      - .offset:         34
        .size:           2
        .value_kind:     hidden_remainder_x
      - .offset:         36
        .size:           2
        .value_kind:     hidden_remainder_y
      - .offset:         38
        .size:           2
        .value_kind:     hidden_remainder_z
      - .offset:         56
        .size:           8
        .value_kind:     hidden_global_offset_x
      - .offset:         64
        .size:           8
        .value_kind:     hidden_global_offset_y
      - .offset:         72
        .size:           8
        .value_kind:     hidden_global_offset_z
      - .offset:         80
        .size:           2
        .value_kind:     hidden_grid_dims
    .group_segment_fixed_size: 2080
    .kernarg_segment_align: 8
    .kernarg_segment_size: 272
    .language:       OpenCL C
    .language_version:
      - 2
      - 0
    .max_flat_workgroup_size: 512
    .name:           _Z11rank_kernelIiLj4ELb0EL18RadixRankAlgorithm2ELj512ELj1ELj10EEvPKT_Pi
    .private_segment_fixed_size: 0
    .sgpr_count:     42
    .sgpr_spill_count: 0
    .symbol:         _Z11rank_kernelIiLj4ELb0EL18RadixRankAlgorithm2ELj512ELj1ELj10EEvPKT_Pi.kd
    .uniform_work_group_size: 1
    .uses_dynamic_stack: false
    .vgpr_count:     15
    .vgpr_spill_count: 0
    .wavefront_size: 64
  - .agpr_count:     0
    .args:
      - .address_space:  global
        .offset:         0
        .size:           8
        .value_kind:     global_buffer
      - .address_space:  global
        .offset:         8
        .size:           8
        .value_kind:     global_buffer
    .group_segment_fixed_size: 16416
    .kernarg_segment_align: 8
    .kernarg_segment_size: 16
    .language:       OpenCL C
    .language_version:
      - 2
      - 0
    .max_flat_workgroup_size: 512
    .name:           _Z11rank_kernelIiLj4ELb0EL18RadixRankAlgorithm0ELj512ELj4ELj10EEvPKT_Pi
    .private_segment_fixed_size: 0
    .sgpr_count:     41
    .sgpr_spill_count: 0
    .symbol:         _Z11rank_kernelIiLj4ELb0EL18RadixRankAlgorithm0ELj512ELj4ELj10EEvPKT_Pi.kd
    .uniform_work_group_size: 1
    .uses_dynamic_stack: false
    .vgpr_count:     34
    .vgpr_spill_count: 0
    .wavefront_size: 64
  - .agpr_count:     0
    .args:
      - .address_space:  global
        .offset:         0
        .size:           8
        .value_kind:     global_buffer
      - .address_space:  global
        .offset:         8
        .size:           8
        .value_kind:     global_buffer
    .group_segment_fixed_size: 16416
    .kernarg_segment_align: 8
    .kernarg_segment_size: 16
    .language:       OpenCL C
    .language_version:
      - 2
      - 0
    .max_flat_workgroup_size: 512
    .name:           _Z11rank_kernelIiLj4ELb0EL18RadixRankAlgorithm1ELj512ELj4ELj10EEvPKT_Pi
    .private_segment_fixed_size: 0
    .sgpr_count:     41
    .sgpr_spill_count: 0
    .symbol:         _Z11rank_kernelIiLj4ELb0EL18RadixRankAlgorithm1ELj512ELj4ELj10EEvPKT_Pi.kd
    .uniform_work_group_size: 1
    .uses_dynamic_stack: false
    .vgpr_count:     35
    .vgpr_spill_count: 0
    .wavefront_size: 64
  - .agpr_count:     0
    .args:
      - .address_space:  global
        .offset:         0
        .size:           8
        .value_kind:     global_buffer
      - .address_space:  global
        .offset:         8
        .size:           8
        .value_kind:     global_buffer
      - .offset:         16
        .size:           4
        .value_kind:     hidden_block_count_x
      - .offset:         20
        .size:           4
        .value_kind:     hidden_block_count_y
      - .offset:         24
        .size:           4
        .value_kind:     hidden_block_count_z
      - .offset:         28
        .size:           2
        .value_kind:     hidden_group_size_x
      - .offset:         30
        .size:           2
        .value_kind:     hidden_group_size_y
      - .offset:         32
        .size:           2
        .value_kind:     hidden_group_size_z
      - .offset:         34
        .size:           2
        .value_kind:     hidden_remainder_x
      - .offset:         36
        .size:           2
        .value_kind:     hidden_remainder_y
      - .offset:         38
        .size:           2
        .value_kind:     hidden_remainder_z
      - .offset:         56
        .size:           8
        .value_kind:     hidden_global_offset_x
      - .offset:         64
        .size:           8
        .value_kind:     hidden_global_offset_y
      - .offset:         72
        .size:           8
        .value_kind:     hidden_global_offset_z
      - .offset:         80
        .size:           2
        .value_kind:     hidden_grid_dims
    .group_segment_fixed_size: 2080
    .kernarg_segment_align: 8
    .kernarg_segment_size: 272
    .language:       OpenCL C
    .language_version:
      - 2
      - 0
    .max_flat_workgroup_size: 512
    .name:           _Z11rank_kernelIiLj4ELb0EL18RadixRankAlgorithm2ELj512ELj4ELj10EEvPKT_Pi
    .private_segment_fixed_size: 0
    .sgpr_count:     42
    .sgpr_spill_count: 0
    .symbol:         _Z11rank_kernelIiLj4ELb0EL18RadixRankAlgorithm2ELj512ELj4ELj10EEvPKT_Pi.kd
    .uniform_work_group_size: 1
    .uses_dynamic_stack: false
    .vgpr_count:     26
    .vgpr_spill_count: 0
    .wavefront_size: 64
  - .agpr_count:     0
    .args:
      - .address_space:  global
        .offset:         0
        .size:           8
        .value_kind:     global_buffer
      - .address_space:  global
        .offset:         8
        .size:           8
        .value_kind:     global_buffer
    .group_segment_fixed_size: 16416
    .kernarg_segment_align: 8
    .kernarg_segment_size: 16
    .language:       OpenCL C
    .language_version:
      - 2
      - 0
    .max_flat_workgroup_size: 512
    .name:           _Z11rank_kernelIiLj4ELb0EL18RadixRankAlgorithm0ELj512ELj8ELj10EEvPKT_Pi
    .private_segment_fixed_size: 0
    .sgpr_count:     41
    .sgpr_spill_count: 0
    .symbol:         _Z11rank_kernelIiLj4ELb0EL18RadixRankAlgorithm0ELj512ELj8ELj10EEvPKT_Pi.kd
    .uniform_work_group_size: 1
    .uses_dynamic_stack: false
    .vgpr_count:     46
    .vgpr_spill_count: 0
    .wavefront_size: 64
  - .agpr_count:     0
    .args:
      - .address_space:  global
        .offset:         0
        .size:           8
        .value_kind:     global_buffer
      - .address_space:  global
        .offset:         8
        .size:           8
        .value_kind:     global_buffer
    .group_segment_fixed_size: 16416
    .kernarg_segment_align: 8
    .kernarg_segment_size: 16
    .language:       OpenCL C
    .language_version:
      - 2
      - 0
    .max_flat_workgroup_size: 512
    .name:           _Z11rank_kernelIiLj4ELb0EL18RadixRankAlgorithm1ELj512ELj8ELj10EEvPKT_Pi
    .private_segment_fixed_size: 0
    .sgpr_count:     41
    .sgpr_spill_count: 0
    .symbol:         _Z11rank_kernelIiLj4ELb0EL18RadixRankAlgorithm1ELj512ELj8ELj10EEvPKT_Pi.kd
    .uniform_work_group_size: 1
    .uses_dynamic_stack: false
    .vgpr_count:     48
    .vgpr_spill_count: 0
    .wavefront_size: 64
  - .agpr_count:     0
    .args:
      - .address_space:  global
        .offset:         0
        .size:           8
        .value_kind:     global_buffer
      - .address_space:  global
        .offset:         8
        .size:           8
        .value_kind:     global_buffer
      - .offset:         16
        .size:           4
        .value_kind:     hidden_block_count_x
      - .offset:         20
        .size:           4
        .value_kind:     hidden_block_count_y
      - .offset:         24
        .size:           4
        .value_kind:     hidden_block_count_z
      - .offset:         28
        .size:           2
        .value_kind:     hidden_group_size_x
      - .offset:         30
        .size:           2
        .value_kind:     hidden_group_size_y
      - .offset:         32
        .size:           2
        .value_kind:     hidden_group_size_z
      - .offset:         34
        .size:           2
        .value_kind:     hidden_remainder_x
      - .offset:         36
        .size:           2
        .value_kind:     hidden_remainder_y
      - .offset:         38
        .size:           2
        .value_kind:     hidden_remainder_z
      - .offset:         56
        .size:           8
        .value_kind:     hidden_global_offset_x
      - .offset:         64
        .size:           8
        .value_kind:     hidden_global_offset_y
      - .offset:         72
        .size:           8
        .value_kind:     hidden_global_offset_z
      - .offset:         80
        .size:           2
        .value_kind:     hidden_grid_dims
    .group_segment_fixed_size: 2080
    .kernarg_segment_align: 8
    .kernarg_segment_size: 272
    .language:       OpenCL C
    .language_version:
      - 2
      - 0
    .max_flat_workgroup_size: 512
    .name:           _Z11rank_kernelIiLj4ELb0EL18RadixRankAlgorithm2ELj512ELj8ELj10EEvPKT_Pi
    .private_segment_fixed_size: 0
    .sgpr_count:     42
    .sgpr_spill_count: 0
    .symbol:         _Z11rank_kernelIiLj4ELb0EL18RadixRankAlgorithm2ELj512ELj8ELj10EEvPKT_Pi.kd
    .uniform_work_group_size: 1
    .uses_dynamic_stack: false
    .vgpr_count:     43
    .vgpr_spill_count: 0
    .wavefront_size: 64
  - .agpr_count:     0
    .args:
      - .address_space:  global
        .offset:         0
        .size:           8
        .value_kind:     global_buffer
      - .address_space:  global
        .offset:         8
        .size:           8
        .value_kind:     global_buffer
    .group_segment_fixed_size: 16416
    .kernarg_segment_align: 8
    .kernarg_segment_size: 16
    .language:       OpenCL C
    .language_version:
      - 2
      - 0
    .max_flat_workgroup_size: 512
    .name:           _Z11rank_kernelIiLj4ELb0EL18RadixRankAlgorithm0ELj512ELj16ELj10EEvPKT_Pi
    .private_segment_fixed_size: 0
    .sgpr_count:     41
    .sgpr_spill_count: 0
    .symbol:         _Z11rank_kernelIiLj4ELb0EL18RadixRankAlgorithm0ELj512ELj16ELj10EEvPKT_Pi.kd
    .uniform_work_group_size: 1
    .uses_dynamic_stack: false
    .vgpr_count:     70
    .vgpr_spill_count: 0
    .wavefront_size: 64
  - .agpr_count:     0
    .args:
      - .address_space:  global
        .offset:         0
        .size:           8
        .value_kind:     global_buffer
      - .address_space:  global
        .offset:         8
        .size:           8
        .value_kind:     global_buffer
    .group_segment_fixed_size: 16416
    .kernarg_segment_align: 8
    .kernarg_segment_size: 16
    .language:       OpenCL C
    .language_version:
      - 2
      - 0
    .max_flat_workgroup_size: 512
    .name:           _Z11rank_kernelIiLj4ELb0EL18RadixRankAlgorithm1ELj512ELj16ELj10EEvPKT_Pi
    .private_segment_fixed_size: 0
    .sgpr_count:     41
    .sgpr_spill_count: 0
    .symbol:         _Z11rank_kernelIiLj4ELb0EL18RadixRankAlgorithm1ELj512ELj16ELj10EEvPKT_Pi.kd
    .uniform_work_group_size: 1
    .uses_dynamic_stack: false
    .vgpr_count:     72
    .vgpr_spill_count: 0
    .wavefront_size: 64
  - .agpr_count:     0
    .args:
      - .address_space:  global
        .offset:         0
        .size:           8
        .value_kind:     global_buffer
      - .address_space:  global
        .offset:         8
        .size:           8
        .value_kind:     global_buffer
      - .offset:         16
        .size:           4
        .value_kind:     hidden_block_count_x
      - .offset:         20
        .size:           4
        .value_kind:     hidden_block_count_y
      - .offset:         24
        .size:           4
        .value_kind:     hidden_block_count_z
      - .offset:         28
        .size:           2
        .value_kind:     hidden_group_size_x
      - .offset:         30
        .size:           2
        .value_kind:     hidden_group_size_y
      - .offset:         32
        .size:           2
        .value_kind:     hidden_group_size_z
      - .offset:         34
        .size:           2
        .value_kind:     hidden_remainder_x
      - .offset:         36
        .size:           2
        .value_kind:     hidden_remainder_y
      - .offset:         38
        .size:           2
        .value_kind:     hidden_remainder_z
      - .offset:         56
        .size:           8
        .value_kind:     hidden_global_offset_x
      - .offset:         64
        .size:           8
        .value_kind:     hidden_global_offset_y
      - .offset:         72
        .size:           8
        .value_kind:     hidden_global_offset_z
      - .offset:         80
        .size:           2
        .value_kind:     hidden_grid_dims
    .group_segment_fixed_size: 2080
    .kernarg_segment_align: 8
    .kernarg_segment_size: 272
    .language:       OpenCL C
    .language_version:
      - 2
      - 0
    .max_flat_workgroup_size: 512
    .name:           _Z11rank_kernelIiLj4ELb0EL18RadixRankAlgorithm2ELj512ELj16ELj10EEvPKT_Pi
    .private_segment_fixed_size: 0
    .sgpr_count:     42
    .sgpr_spill_count: 0
    .symbol:         _Z11rank_kernelIiLj4ELb0EL18RadixRankAlgorithm2ELj512ELj16ELj10EEvPKT_Pi.kd
    .uniform_work_group_size: 1
    .uses_dynamic_stack: false
    .vgpr_count:     75
    .vgpr_spill_count: 0
    .wavefront_size: 64
  - .agpr_count:     0
    .args:
      - .address_space:  global
        .offset:         0
        .size:           8
        .value_kind:     global_buffer
      - .address_space:  global
        .offset:         8
        .size:           8
        .value_kind:     global_buffer
    .group_segment_fixed_size: 16416
    .kernarg_segment_align: 8
    .kernarg_segment_size: 16
    .language:       OpenCL C
    .language_version:
      - 2
      - 0
    .max_flat_workgroup_size: 512
    .name:           _Z11rank_kernelIiLj4ELb0EL18RadixRankAlgorithm0ELj512ELj32ELj10EEvPKT_Pi
    .private_segment_fixed_size: 0
    .sgpr_count:     41
    .sgpr_spill_count: 0
    .symbol:         _Z11rank_kernelIiLj4ELb0EL18RadixRankAlgorithm0ELj512ELj32ELj10EEvPKT_Pi.kd
    .uniform_work_group_size: 1
    .uses_dynamic_stack: false
    .vgpr_count:     118
    .vgpr_spill_count: 0
    .wavefront_size: 64
  - .agpr_count:     0
    .args:
      - .address_space:  global
        .offset:         0
        .size:           8
        .value_kind:     global_buffer
      - .address_space:  global
        .offset:         8
        .size:           8
        .value_kind:     global_buffer
    .group_segment_fixed_size: 16416
    .kernarg_segment_align: 8
    .kernarg_segment_size: 16
    .language:       OpenCL C
    .language_version:
      - 2
      - 0
    .max_flat_workgroup_size: 512
    .name:           _Z11rank_kernelIiLj4ELb0EL18RadixRankAlgorithm1ELj512ELj32ELj10EEvPKT_Pi
    .private_segment_fixed_size: 0
    .sgpr_count:     41
    .sgpr_spill_count: 0
    .symbol:         _Z11rank_kernelIiLj4ELb0EL18RadixRankAlgorithm1ELj512ELj32ELj10EEvPKT_Pi.kd
    .uniform_work_group_size: 1
    .uses_dynamic_stack: false
    .vgpr_count:     119
    .vgpr_spill_count: 0
    .wavefront_size: 64
  - .agpr_count:     0
    .args:
      - .address_space:  global
        .offset:         0
        .size:           8
        .value_kind:     global_buffer
      - .address_space:  global
        .offset:         8
        .size:           8
        .value_kind:     global_buffer
      - .offset:         16
        .size:           4
        .value_kind:     hidden_block_count_x
      - .offset:         20
        .size:           4
        .value_kind:     hidden_block_count_y
      - .offset:         24
        .size:           4
        .value_kind:     hidden_block_count_z
      - .offset:         28
        .size:           2
        .value_kind:     hidden_group_size_x
      - .offset:         30
        .size:           2
        .value_kind:     hidden_group_size_y
      - .offset:         32
        .size:           2
        .value_kind:     hidden_group_size_z
      - .offset:         34
        .size:           2
        .value_kind:     hidden_remainder_x
      - .offset:         36
        .size:           2
        .value_kind:     hidden_remainder_y
      - .offset:         38
        .size:           2
        .value_kind:     hidden_remainder_z
      - .offset:         56
        .size:           8
        .value_kind:     hidden_global_offset_x
      - .offset:         64
        .size:           8
        .value_kind:     hidden_global_offset_y
      - .offset:         72
        .size:           8
        .value_kind:     hidden_global_offset_z
      - .offset:         80
        .size:           2
        .value_kind:     hidden_grid_dims
    .group_segment_fixed_size: 2080
    .kernarg_segment_align: 8
    .kernarg_segment_size: 272
    .language:       OpenCL C
    .language_version:
      - 2
      - 0
    .max_flat_workgroup_size: 512
    .name:           _Z11rank_kernelIiLj4ELb0EL18RadixRankAlgorithm2ELj512ELj32ELj10EEvPKT_Pi
    .private_segment_fixed_size: 0
    .sgpr_count:     42
    .sgpr_spill_count: 0
    .symbol:         _Z11rank_kernelIiLj4ELb0EL18RadixRankAlgorithm2ELj512ELj32ELj10EEvPKT_Pi.kd
    .uniform_work_group_size: 1
    .uses_dynamic_stack: false
    .vgpr_count:     139
    .vgpr_spill_count: 0
    .wavefront_size: 64
  - .agpr_count:     0
    .args:
      - .address_space:  global
        .offset:         0
        .size:           8
        .value_kind:     global_buffer
      - .address_space:  global
        .offset:         8
        .size:           8
        .value_kind:     global_buffer
    .group_segment_fixed_size: 4104
    .kernarg_segment_align: 8
    .kernarg_segment_size: 16
    .language:       OpenCL C
    .language_version:
      - 2
      - 0
    .max_flat_workgroup_size: 128
    .name:           _Z11rank_kernelIhLj4ELb0EL18RadixRankAlgorithm0ELj128ELj1ELj10EEvPKT_Pi
    .private_segment_fixed_size: 0
    .sgpr_count:     40
    .sgpr_spill_count: 0
    .symbol:         _Z11rank_kernelIhLj4ELb0EL18RadixRankAlgorithm0ELj128ELj1ELj10EEvPKT_Pi.kd
    .uniform_work_group_size: 1
    .uses_dynamic_stack: false
    .vgpr_count:     20
    .vgpr_spill_count: 0
    .wavefront_size: 64
  - .agpr_count:     0
    .args:
      - .address_space:  global
        .offset:         0
        .size:           8
        .value_kind:     global_buffer
      - .address_space:  global
        .offset:         8
        .size:           8
        .value_kind:     global_buffer
    .group_segment_fixed_size: 4104
    .kernarg_segment_align: 8
    .kernarg_segment_size: 16
    .language:       OpenCL C
    .language_version:
      - 2
      - 0
    .max_flat_workgroup_size: 128
    .name:           _Z11rank_kernelIhLj4ELb0EL18RadixRankAlgorithm1ELj128ELj1ELj10EEvPKT_Pi
    .private_segment_fixed_size: 0
    .sgpr_count:     40
    .sgpr_spill_count: 0
    .symbol:         _Z11rank_kernelIhLj4ELb0EL18RadixRankAlgorithm1ELj128ELj1ELj10EEvPKT_Pi.kd
    .uniform_work_group_size: 1
    .uses_dynamic_stack: false
    .vgpr_count:     20
    .vgpr_spill_count: 0
    .wavefront_size: 64
  - .agpr_count:     0
    .args:
      - .address_space:  global
        .offset:         0
        .size:           8
        .value_kind:     global_buffer
      - .address_space:  global
        .offset:         8
        .size:           8
        .value_kind:     global_buffer
      - .offset:         16
        .size:           4
        .value_kind:     hidden_block_count_x
      - .offset:         20
        .size:           4
        .value_kind:     hidden_block_count_y
      - .offset:         24
        .size:           4
        .value_kind:     hidden_block_count_z
      - .offset:         28
        .size:           2
        .value_kind:     hidden_group_size_x
      - .offset:         30
        .size:           2
        .value_kind:     hidden_group_size_y
      - .offset:         32
        .size:           2
        .value_kind:     hidden_group_size_z
      - .offset:         34
        .size:           2
        .value_kind:     hidden_remainder_x
      - .offset:         36
        .size:           2
        .value_kind:     hidden_remainder_y
      - .offset:         38
        .size:           2
        .value_kind:     hidden_remainder_z
      - .offset:         56
        .size:           8
        .value_kind:     hidden_global_offset_x
      - .offset:         64
        .size:           8
        .value_kind:     hidden_global_offset_y
      - .offset:         72
        .size:           8
        .value_kind:     hidden_global_offset_z
      - .offset:         80
        .size:           2
        .value_kind:     hidden_grid_dims
    .group_segment_fixed_size: 520
    .kernarg_segment_align: 8
    .kernarg_segment_size: 272
    .language:       OpenCL C
    .language_version:
      - 2
      - 0
    .max_flat_workgroup_size: 128
    .name:           _Z11rank_kernelIhLj4ELb0EL18RadixRankAlgorithm2ELj128ELj1ELj10EEvPKT_Pi
    .private_segment_fixed_size: 0
    .sgpr_count:     40
    .sgpr_spill_count: 0
    .symbol:         _Z11rank_kernelIhLj4ELb0EL18RadixRankAlgorithm2ELj128ELj1ELj10EEvPKT_Pi.kd
    .uniform_work_group_size: 1
    .uses_dynamic_stack: false
    .vgpr_count:     35
    .vgpr_spill_count: 0
    .wavefront_size: 64
  - .agpr_count:     0
    .args:
      - .address_space:  global
        .offset:         0
        .size:           8
        .value_kind:     global_buffer
      - .address_space:  global
        .offset:         8
        .size:           8
        .value_kind:     global_buffer
    .group_segment_fixed_size: 4104
    .kernarg_segment_align: 8
    .kernarg_segment_size: 16
    .language:       OpenCL C
    .language_version:
      - 2
      - 0
    .max_flat_workgroup_size: 128
    .name:           _Z11rank_kernelIhLj4ELb0EL18RadixRankAlgorithm0ELj128ELj4ELj10EEvPKT_Pi
    .private_segment_fixed_size: 0
    .sgpr_count:     40
    .sgpr_spill_count: 0
    .symbol:         _Z11rank_kernelIhLj4ELb0EL18RadixRankAlgorithm0ELj128ELj4ELj10EEvPKT_Pi.kd
    .uniform_work_group_size: 1
    .uses_dynamic_stack: false
    .vgpr_count:     28
    .vgpr_spill_count: 0
    .wavefront_size: 64
  - .agpr_count:     0
    .args:
      - .address_space:  global
        .offset:         0
        .size:           8
        .value_kind:     global_buffer
      - .address_space:  global
        .offset:         8
        .size:           8
        .value_kind:     global_buffer
    .group_segment_fixed_size: 4104
    .kernarg_segment_align: 8
    .kernarg_segment_size: 16
    .language:       OpenCL C
    .language_version:
      - 2
      - 0
    .max_flat_workgroup_size: 128
    .name:           _Z11rank_kernelIhLj4ELb0EL18RadixRankAlgorithm1ELj128ELj4ELj10EEvPKT_Pi
    .private_segment_fixed_size: 0
    .sgpr_count:     40
    .sgpr_spill_count: 0
    .symbol:         _Z11rank_kernelIhLj4ELb0EL18RadixRankAlgorithm1ELj128ELj4ELj10EEvPKT_Pi.kd
    .uniform_work_group_size: 1
    .uses_dynamic_stack: false
    .vgpr_count:     29
    .vgpr_spill_count: 0
    .wavefront_size: 64
  - .agpr_count:     0
    .args:
      - .address_space:  global
        .offset:         0
        .size:           8
        .value_kind:     global_buffer
      - .address_space:  global
        .offset:         8
        .size:           8
        .value_kind:     global_buffer
      - .offset:         16
        .size:           4
        .value_kind:     hidden_block_count_x
      - .offset:         20
        .size:           4
        .value_kind:     hidden_block_count_y
      - .offset:         24
        .size:           4
        .value_kind:     hidden_block_count_z
      - .offset:         28
        .size:           2
        .value_kind:     hidden_group_size_x
      - .offset:         30
        .size:           2
        .value_kind:     hidden_group_size_y
      - .offset:         32
        .size:           2
        .value_kind:     hidden_group_size_z
      - .offset:         34
        .size:           2
        .value_kind:     hidden_remainder_x
      - .offset:         36
        .size:           2
        .value_kind:     hidden_remainder_y
      - .offset:         38
        .size:           2
        .value_kind:     hidden_remainder_z
      - .offset:         56
        .size:           8
        .value_kind:     hidden_global_offset_x
      - .offset:         64
        .size:           8
        .value_kind:     hidden_global_offset_y
      - .offset:         72
        .size:           8
        .value_kind:     hidden_global_offset_z
      - .offset:         80
        .size:           2
        .value_kind:     hidden_grid_dims
    .group_segment_fixed_size: 520
    .kernarg_segment_align: 8
    .kernarg_segment_size: 272
    .language:       OpenCL C
    .language_version:
      - 2
      - 0
    .max_flat_workgroup_size: 128
    .name:           _Z11rank_kernelIhLj4ELb0EL18RadixRankAlgorithm2ELj128ELj4ELj10EEvPKT_Pi
    .private_segment_fixed_size: 0
    .sgpr_count:     98
    .sgpr_spill_count: 0
    .symbol:         _Z11rank_kernelIhLj4ELb0EL18RadixRankAlgorithm2ELj128ELj4ELj10EEvPKT_Pi.kd
    .uniform_work_group_size: 1
    .uses_dynamic_stack: false
    .vgpr_count:     87
    .vgpr_spill_count: 0
    .wavefront_size: 64
  - .agpr_count:     0
    .args:
      - .address_space:  global
        .offset:         0
        .size:           8
        .value_kind:     global_buffer
      - .address_space:  global
        .offset:         8
        .size:           8
        .value_kind:     global_buffer
    .group_segment_fixed_size: 4104
    .kernarg_segment_align: 8
    .kernarg_segment_size: 16
    .language:       OpenCL C
    .language_version:
      - 2
      - 0
    .max_flat_workgroup_size: 128
    .name:           _Z11rank_kernelIhLj4ELb0EL18RadixRankAlgorithm0ELj128ELj8ELj10EEvPKT_Pi
    .private_segment_fixed_size: 0
    .sgpr_count:     40
    .sgpr_spill_count: 0
    .symbol:         _Z11rank_kernelIhLj4ELb0EL18RadixRankAlgorithm0ELj128ELj8ELj10EEvPKT_Pi.kd
    .uniform_work_group_size: 1
    .uses_dynamic_stack: false
    .vgpr_count:     40
    .vgpr_spill_count: 0
    .wavefront_size: 64
  - .agpr_count:     0
    .args:
      - .address_space:  global
        .offset:         0
        .size:           8
        .value_kind:     global_buffer
      - .address_space:  global
        .offset:         8
        .size:           8
        .value_kind:     global_buffer
    .group_segment_fixed_size: 4104
    .kernarg_segment_align: 8
    .kernarg_segment_size: 16
    .language:       OpenCL C
    .language_version:
      - 2
      - 0
    .max_flat_workgroup_size: 128
    .name:           _Z11rank_kernelIhLj4ELb0EL18RadixRankAlgorithm1ELj128ELj8ELj10EEvPKT_Pi
    .private_segment_fixed_size: 0
    .sgpr_count:     40
    .sgpr_spill_count: 0
    .symbol:         _Z11rank_kernelIhLj4ELb0EL18RadixRankAlgorithm1ELj128ELj8ELj10EEvPKT_Pi.kd
    .uniform_work_group_size: 1
    .uses_dynamic_stack: false
    .vgpr_count:     42
    .vgpr_spill_count: 0
    .wavefront_size: 64
  - .agpr_count:     0
    .args:
      - .address_space:  global
        .offset:         0
        .size:           8
        .value_kind:     global_buffer
      - .address_space:  global
        .offset:         8
        .size:           8
        .value_kind:     global_buffer
      - .offset:         16
        .size:           4
        .value_kind:     hidden_block_count_x
      - .offset:         20
        .size:           4
        .value_kind:     hidden_block_count_y
      - .offset:         24
        .size:           4
        .value_kind:     hidden_block_count_z
      - .offset:         28
        .size:           2
        .value_kind:     hidden_group_size_x
      - .offset:         30
        .size:           2
        .value_kind:     hidden_group_size_y
      - .offset:         32
        .size:           2
        .value_kind:     hidden_group_size_z
      - .offset:         34
        .size:           2
        .value_kind:     hidden_remainder_x
      - .offset:         36
        .size:           2
        .value_kind:     hidden_remainder_y
      - .offset:         38
        .size:           2
        .value_kind:     hidden_remainder_z
      - .offset:         56
        .size:           8
        .value_kind:     hidden_global_offset_x
      - .offset:         64
        .size:           8
        .value_kind:     hidden_global_offset_y
      - .offset:         72
        .size:           8
        .value_kind:     hidden_global_offset_z
      - .offset:         80
        .size:           2
        .value_kind:     hidden_grid_dims
    .group_segment_fixed_size: 520
    .kernarg_segment_align: 8
    .kernarg_segment_size: 272
    .language:       OpenCL C
    .language_version:
      - 2
      - 0
    .max_flat_workgroup_size: 128
    .name:           _Z11rank_kernelIhLj4ELb0EL18RadixRankAlgorithm2ELj128ELj8ELj10EEvPKT_Pi
    .private_segment_fixed_size: 0
    .sgpr_count:     100
    .sgpr_spill_count: 64
    .symbol:         _Z11rank_kernelIhLj4ELb0EL18RadixRankAlgorithm2ELj128ELj8ELj10EEvPKT_Pi.kd
    .uniform_work_group_size: 1
    .uses_dynamic_stack: false
    .vgpr_count:     173
    .vgpr_spill_count: 0
    .wavefront_size: 64
  - .agpr_count:     0
    .args:
      - .address_space:  global
        .offset:         0
        .size:           8
        .value_kind:     global_buffer
      - .address_space:  global
        .offset:         8
        .size:           8
        .value_kind:     global_buffer
    .group_segment_fixed_size: 4104
    .kernarg_segment_align: 8
    .kernarg_segment_size: 16
    .language:       OpenCL C
    .language_version:
      - 2
      - 0
    .max_flat_workgroup_size: 128
    .name:           _Z11rank_kernelIhLj4ELb0EL18RadixRankAlgorithm0ELj128ELj16ELj10EEvPKT_Pi
    .private_segment_fixed_size: 0
    .sgpr_count:     46
    .sgpr_spill_count: 0
    .symbol:         _Z11rank_kernelIhLj4ELb0EL18RadixRankAlgorithm0ELj128ELj16ELj10EEvPKT_Pi.kd
    .uniform_work_group_size: 1
    .uses_dynamic_stack: false
    .vgpr_count:     52
    .vgpr_spill_count: 0
    .wavefront_size: 64
  - .agpr_count:     0
    .args:
      - .address_space:  global
        .offset:         0
        .size:           8
        .value_kind:     global_buffer
      - .address_space:  global
        .offset:         8
        .size:           8
        .value_kind:     global_buffer
    .group_segment_fixed_size: 4104
    .kernarg_segment_align: 8
    .kernarg_segment_size: 16
    .language:       OpenCL C
    .language_version:
      - 2
      - 0
    .max_flat_workgroup_size: 128
    .name:           _Z11rank_kernelIhLj4ELb0EL18RadixRankAlgorithm1ELj128ELj16ELj10EEvPKT_Pi
    .private_segment_fixed_size: 0
    .sgpr_count:     46
    .sgpr_spill_count: 0
    .symbol:         _Z11rank_kernelIhLj4ELb0EL18RadixRankAlgorithm1ELj128ELj16ELj10EEvPKT_Pi.kd
    .uniform_work_group_size: 1
    .uses_dynamic_stack: false
    .vgpr_count:     54
    .vgpr_spill_count: 0
    .wavefront_size: 64
  - .agpr_count:     117
    .args:
      - .address_space:  global
        .offset:         0
        .size:           8
        .value_kind:     global_buffer
      - .address_space:  global
        .offset:         8
        .size:           8
        .value_kind:     global_buffer
      - .offset:         16
        .size:           4
        .value_kind:     hidden_block_count_x
      - .offset:         20
        .size:           4
        .value_kind:     hidden_block_count_y
      - .offset:         24
        .size:           4
        .value_kind:     hidden_block_count_z
      - .offset:         28
        .size:           2
        .value_kind:     hidden_group_size_x
      - .offset:         30
        .size:           2
        .value_kind:     hidden_group_size_y
      - .offset:         32
        .size:           2
        .value_kind:     hidden_group_size_z
      - .offset:         34
        .size:           2
        .value_kind:     hidden_remainder_x
      - .offset:         36
        .size:           2
        .value_kind:     hidden_remainder_y
      - .offset:         38
        .size:           2
        .value_kind:     hidden_remainder_z
      - .offset:         56
        .size:           8
        .value_kind:     hidden_global_offset_x
      - .offset:         64
        .size:           8
        .value_kind:     hidden_global_offset_y
      - .offset:         72
        .size:           8
        .value_kind:     hidden_global_offset_z
      - .offset:         80
        .size:           2
        .value_kind:     hidden_grid_dims
    .group_segment_fixed_size: 520
    .kernarg_segment_align: 8
    .kernarg_segment_size: 272
    .language:       OpenCL C
    .language_version:
      - 2
      - 0
    .max_flat_workgroup_size: 128
    .name:           _Z11rank_kernelIhLj4ELb0EL18RadixRankAlgorithm2ELj128ELj16ELj10EEvPKT_Pi
    .private_segment_fixed_size: 0
    .sgpr_count:     100
    .sgpr_spill_count: 192
    .symbol:         _Z11rank_kernelIhLj4ELb0EL18RadixRankAlgorithm2ELj128ELj16ELj10EEvPKT_Pi.kd
    .uniform_work_group_size: 1
    .uses_dynamic_stack: false
    .vgpr_count:     373
    .vgpr_spill_count: 0
    .wavefront_size: 64
  - .agpr_count:     0
    .args:
      - .address_space:  global
        .offset:         0
        .size:           8
        .value_kind:     global_buffer
      - .address_space:  global
        .offset:         8
        .size:           8
        .value_kind:     global_buffer
    .group_segment_fixed_size: 4104
    .kernarg_segment_align: 8
    .kernarg_segment_size: 16
    .language:       OpenCL C
    .language_version:
      - 2
      - 0
    .max_flat_workgroup_size: 128
    .name:           _Z11rank_kernelIhLj4ELb0EL18RadixRankAlgorithm0ELj128ELj32ELj10EEvPKT_Pi
    .private_segment_fixed_size: 0
    .sgpr_count:     46
    .sgpr_spill_count: 0
    .symbol:         _Z11rank_kernelIhLj4ELb0EL18RadixRankAlgorithm0ELj128ELj32ELj10EEvPKT_Pi.kd
    .uniform_work_group_size: 1
    .uses_dynamic_stack: false
    .vgpr_count:     88
    .vgpr_spill_count: 0
    .wavefront_size: 64
  - .agpr_count:     0
    .args:
      - .address_space:  global
        .offset:         0
        .size:           8
        .value_kind:     global_buffer
      - .address_space:  global
        .offset:         8
        .size:           8
        .value_kind:     global_buffer
    .group_segment_fixed_size: 4104
    .kernarg_segment_align: 8
    .kernarg_segment_size: 16
    .language:       OpenCL C
    .language_version:
      - 2
      - 0
    .max_flat_workgroup_size: 128
    .name:           _Z11rank_kernelIhLj4ELb0EL18RadixRankAlgorithm1ELj128ELj32ELj10EEvPKT_Pi
    .private_segment_fixed_size: 0
    .sgpr_count:     46
    .sgpr_spill_count: 0
    .symbol:         _Z11rank_kernelIhLj4ELb0EL18RadixRankAlgorithm1ELj128ELj32ELj10EEvPKT_Pi.kd
    .uniform_work_group_size: 1
    .uses_dynamic_stack: false
    .vgpr_count:     89
    .vgpr_spill_count: 0
    .wavefront_size: 64
  - .agpr_count:     0
    .args:
      - .address_space:  global
        .offset:         0
        .size:           8
        .value_kind:     global_buffer
      - .address_space:  global
        .offset:         8
        .size:           8
        .value_kind:     global_buffer
      - .offset:         16
        .size:           4
        .value_kind:     hidden_block_count_x
      - .offset:         20
        .size:           4
        .value_kind:     hidden_block_count_y
      - .offset:         24
        .size:           4
        .value_kind:     hidden_block_count_z
      - .offset:         28
        .size:           2
        .value_kind:     hidden_group_size_x
      - .offset:         30
        .size:           2
        .value_kind:     hidden_group_size_y
      - .offset:         32
        .size:           2
        .value_kind:     hidden_group_size_z
      - .offset:         34
        .size:           2
        .value_kind:     hidden_remainder_x
      - .offset:         36
        .size:           2
        .value_kind:     hidden_remainder_y
      - .offset:         38
        .size:           2
        .value_kind:     hidden_remainder_z
      - .offset:         56
        .size:           8
        .value_kind:     hidden_global_offset_x
      - .offset:         64
        .size:           8
        .value_kind:     hidden_global_offset_y
      - .offset:         72
        .size:           8
        .value_kind:     hidden_global_offset_z
      - .offset:         80
        .size:           2
        .value_kind:     hidden_grid_dims
    .group_segment_fixed_size: 520
    .kernarg_segment_align: 8
    .kernarg_segment_size: 272
    .language:       OpenCL C
    .language_version:
      - 2
      - 0
    .max_flat_workgroup_size: 128
    .name:           _Z11rank_kernelIhLj4ELb0EL18RadixRankAlgorithm2ELj128ELj32ELj10EEvPKT_Pi
    .private_segment_fixed_size: 0
    .sgpr_count:     40
    .sgpr_spill_count: 0
    .symbol:         _Z11rank_kernelIhLj4ELb0EL18RadixRankAlgorithm2ELj128ELj32ELj10EEvPKT_Pi.kd
    .uniform_work_group_size: 1
    .uses_dynamic_stack: false
    .vgpr_count:     115
    .vgpr_spill_count: 0
    .wavefront_size: 64
  - .agpr_count:     0
    .args:
      - .address_space:  global
        .offset:         0
        .size:           8
        .value_kind:     global_buffer
      - .address_space:  global
        .offset:         8
        .size:           8
        .value_kind:     global_buffer
    .group_segment_fixed_size: 8208
    .kernarg_segment_align: 8
    .kernarg_segment_size: 16
    .language:       OpenCL C
    .language_version:
      - 2
      - 0
    .max_flat_workgroup_size: 256
    .name:           _Z11rank_kernelIhLj4ELb0EL18RadixRankAlgorithm0ELj256ELj1ELj10EEvPKT_Pi
    .private_segment_fixed_size: 0
    .sgpr_count:     42
    .sgpr_spill_count: 0
    .symbol:         _Z11rank_kernelIhLj4ELb0EL18RadixRankAlgorithm0ELj256ELj1ELj10EEvPKT_Pi.kd
    .uniform_work_group_size: 1
    .uses_dynamic_stack: false
    .vgpr_count:     20
    .vgpr_spill_count: 0
    .wavefront_size: 64
  - .agpr_count:     0
    .args:
      - .address_space:  global
        .offset:         0
        .size:           8
        .value_kind:     global_buffer
      - .address_space:  global
        .offset:         8
        .size:           8
        .value_kind:     global_buffer
    .group_segment_fixed_size: 8208
    .kernarg_segment_align: 8
    .kernarg_segment_size: 16
    .language:       OpenCL C
    .language_version:
      - 2
      - 0
    .max_flat_workgroup_size: 256
    .name:           _Z11rank_kernelIhLj4ELb0EL18RadixRankAlgorithm1ELj256ELj1ELj10EEvPKT_Pi
    .private_segment_fixed_size: 0
    .sgpr_count:     42
    .sgpr_spill_count: 0
    .symbol:         _Z11rank_kernelIhLj4ELb0EL18RadixRankAlgorithm1ELj256ELj1ELj10EEvPKT_Pi.kd
    .uniform_work_group_size: 1
    .uses_dynamic_stack: false
    .vgpr_count:     20
    .vgpr_spill_count: 0
    .wavefront_size: 64
  - .agpr_count:     0
    .args:
      - .address_space:  global
        .offset:         0
        .size:           8
        .value_kind:     global_buffer
      - .address_space:  global
        .offset:         8
        .size:           8
        .value_kind:     global_buffer
      - .offset:         16
        .size:           4
        .value_kind:     hidden_block_count_x
      - .offset:         20
        .size:           4
        .value_kind:     hidden_block_count_y
      - .offset:         24
        .size:           4
        .value_kind:     hidden_block_count_z
      - .offset:         28
        .size:           2
        .value_kind:     hidden_group_size_x
      - .offset:         30
        .size:           2
        .value_kind:     hidden_group_size_y
      - .offset:         32
        .size:           2
        .value_kind:     hidden_group_size_z
      - .offset:         34
        .size:           2
        .value_kind:     hidden_remainder_x
      - .offset:         36
        .size:           2
        .value_kind:     hidden_remainder_y
      - .offset:         38
        .size:           2
        .value_kind:     hidden_remainder_z
      - .offset:         56
        .size:           8
        .value_kind:     hidden_global_offset_x
      - .offset:         64
        .size:           8
        .value_kind:     hidden_global_offset_y
      - .offset:         72
        .size:           8
        .value_kind:     hidden_global_offset_z
      - .offset:         80
        .size:           2
        .value_kind:     hidden_grid_dims
    .group_segment_fixed_size: 1040
    .kernarg_segment_align: 8
    .kernarg_segment_size: 272
    .language:       OpenCL C
    .language_version:
      - 2
      - 0
    .max_flat_workgroup_size: 256
    .name:           _Z11rank_kernelIhLj4ELb0EL18RadixRankAlgorithm2ELj256ELj1ELj10EEvPKT_Pi
    .private_segment_fixed_size: 0
    .sgpr_count:     46
    .sgpr_spill_count: 0
    .symbol:         _Z11rank_kernelIhLj4ELb0EL18RadixRankAlgorithm2ELj256ELj1ELj10EEvPKT_Pi.kd
    .uniform_work_group_size: 1
    .uses_dynamic_stack: false
    .vgpr_count:     33
    .vgpr_spill_count: 0
    .wavefront_size: 64
  - .agpr_count:     0
    .args:
      - .address_space:  global
        .offset:         0
        .size:           8
        .value_kind:     global_buffer
      - .address_space:  global
        .offset:         8
        .size:           8
        .value_kind:     global_buffer
    .group_segment_fixed_size: 8208
    .kernarg_segment_align: 8
    .kernarg_segment_size: 16
    .language:       OpenCL C
    .language_version:
      - 2
      - 0
    .max_flat_workgroup_size: 256
    .name:           _Z11rank_kernelIhLj4ELb0EL18RadixRankAlgorithm0ELj256ELj4ELj10EEvPKT_Pi
    .private_segment_fixed_size: 0
    .sgpr_count:     42
    .sgpr_spill_count: 0
    .symbol:         _Z11rank_kernelIhLj4ELb0EL18RadixRankAlgorithm0ELj256ELj4ELj10EEvPKT_Pi.kd
    .uniform_work_group_size: 1
    .uses_dynamic_stack: false
    .vgpr_count:     28
    .vgpr_spill_count: 0
    .wavefront_size: 64
  - .agpr_count:     0
    .args:
      - .address_space:  global
        .offset:         0
        .size:           8
        .value_kind:     global_buffer
      - .address_space:  global
        .offset:         8
        .size:           8
        .value_kind:     global_buffer
    .group_segment_fixed_size: 8208
    .kernarg_segment_align: 8
    .kernarg_segment_size: 16
    .language:       OpenCL C
    .language_version:
      - 2
      - 0
    .max_flat_workgroup_size: 256
    .name:           _Z11rank_kernelIhLj4ELb0EL18RadixRankAlgorithm1ELj256ELj4ELj10EEvPKT_Pi
    .private_segment_fixed_size: 0
    .sgpr_count:     42
    .sgpr_spill_count: 0
    .symbol:         _Z11rank_kernelIhLj4ELb0EL18RadixRankAlgorithm1ELj256ELj4ELj10EEvPKT_Pi.kd
    .uniform_work_group_size: 1
    .uses_dynamic_stack: false
    .vgpr_count:     29
    .vgpr_spill_count: 0
    .wavefront_size: 64
  - .agpr_count:     0
    .args:
      - .address_space:  global
        .offset:         0
        .size:           8
        .value_kind:     global_buffer
      - .address_space:  global
        .offset:         8
        .size:           8
        .value_kind:     global_buffer
      - .offset:         16
        .size:           4
        .value_kind:     hidden_block_count_x
      - .offset:         20
        .size:           4
        .value_kind:     hidden_block_count_y
      - .offset:         24
        .size:           4
        .value_kind:     hidden_block_count_z
      - .offset:         28
        .size:           2
        .value_kind:     hidden_group_size_x
      - .offset:         30
        .size:           2
        .value_kind:     hidden_group_size_y
      - .offset:         32
        .size:           2
        .value_kind:     hidden_group_size_z
      - .offset:         34
        .size:           2
        .value_kind:     hidden_remainder_x
      - .offset:         36
        .size:           2
        .value_kind:     hidden_remainder_y
      - .offset:         38
        .size:           2
        .value_kind:     hidden_remainder_z
      - .offset:         56
        .size:           8
        .value_kind:     hidden_global_offset_x
      - .offset:         64
        .size:           8
        .value_kind:     hidden_global_offset_y
      - .offset:         72
        .size:           8
        .value_kind:     hidden_global_offset_z
      - .offset:         80
        .size:           2
        .value_kind:     hidden_grid_dims
    .group_segment_fixed_size: 1040
    .kernarg_segment_align: 8
    .kernarg_segment_size: 272
    .language:       OpenCL C
    .language_version:
      - 2
      - 0
    .max_flat_workgroup_size: 256
    .name:           _Z11rank_kernelIhLj4ELb0EL18RadixRankAlgorithm2ELj256ELj4ELj10EEvPKT_Pi
    .private_segment_fixed_size: 0
    .sgpr_count:     100
    .sgpr_spill_count: 0
    .symbol:         _Z11rank_kernelIhLj4ELb0EL18RadixRankAlgorithm2ELj256ELj4ELj10EEvPKT_Pi.kd
    .uniform_work_group_size: 1
    .uses_dynamic_stack: false
    .vgpr_count:     87
    .vgpr_spill_count: 0
    .wavefront_size: 64
  - .agpr_count:     0
    .args:
      - .address_space:  global
        .offset:         0
        .size:           8
        .value_kind:     global_buffer
      - .address_space:  global
        .offset:         8
        .size:           8
        .value_kind:     global_buffer
    .group_segment_fixed_size: 8208
    .kernarg_segment_align: 8
    .kernarg_segment_size: 16
    .language:       OpenCL C
    .language_version:
      - 2
      - 0
    .max_flat_workgroup_size: 256
    .name:           _Z11rank_kernelIhLj4ELb0EL18RadixRankAlgorithm0ELj256ELj8ELj10EEvPKT_Pi
    .private_segment_fixed_size: 0
    .sgpr_count:     42
    .sgpr_spill_count: 0
    .symbol:         _Z11rank_kernelIhLj4ELb0EL18RadixRankAlgorithm0ELj256ELj8ELj10EEvPKT_Pi.kd
    .uniform_work_group_size: 1
    .uses_dynamic_stack: false
    .vgpr_count:     40
    .vgpr_spill_count: 0
    .wavefront_size: 64
  - .agpr_count:     0
    .args:
      - .address_space:  global
        .offset:         0
        .size:           8
        .value_kind:     global_buffer
      - .address_space:  global
        .offset:         8
        .size:           8
        .value_kind:     global_buffer
    .group_segment_fixed_size: 8208
    .kernarg_segment_align: 8
    .kernarg_segment_size: 16
    .language:       OpenCL C
    .language_version:
      - 2
      - 0
    .max_flat_workgroup_size: 256
    .name:           _Z11rank_kernelIhLj4ELb0EL18RadixRankAlgorithm1ELj256ELj8ELj10EEvPKT_Pi
    .private_segment_fixed_size: 0
    .sgpr_count:     42
    .sgpr_spill_count: 0
    .symbol:         _Z11rank_kernelIhLj4ELb0EL18RadixRankAlgorithm1ELj256ELj8ELj10EEvPKT_Pi.kd
    .uniform_work_group_size: 1
    .uses_dynamic_stack: false
    .vgpr_count:     42
    .vgpr_spill_count: 0
    .wavefront_size: 64
  - .agpr_count:     0
    .args:
      - .address_space:  global
        .offset:         0
        .size:           8
        .value_kind:     global_buffer
      - .address_space:  global
        .offset:         8
        .size:           8
        .value_kind:     global_buffer
      - .offset:         16
        .size:           4
        .value_kind:     hidden_block_count_x
      - .offset:         20
        .size:           4
        .value_kind:     hidden_block_count_y
      - .offset:         24
        .size:           4
        .value_kind:     hidden_block_count_z
      - .offset:         28
        .size:           2
        .value_kind:     hidden_group_size_x
      - .offset:         30
        .size:           2
        .value_kind:     hidden_group_size_y
      - .offset:         32
        .size:           2
        .value_kind:     hidden_group_size_z
      - .offset:         34
        .size:           2
        .value_kind:     hidden_remainder_x
      - .offset:         36
        .size:           2
        .value_kind:     hidden_remainder_y
      - .offset:         38
        .size:           2
        .value_kind:     hidden_remainder_z
      - .offset:         56
        .size:           8
        .value_kind:     hidden_global_offset_x
      - .offset:         64
        .size:           8
        .value_kind:     hidden_global_offset_y
      - .offset:         72
        .size:           8
        .value_kind:     hidden_global_offset_z
      - .offset:         80
        .size:           2
        .value_kind:     hidden_grid_dims
    .group_segment_fixed_size: 1040
    .kernarg_segment_align: 8
    .kernarg_segment_size: 272
    .language:       OpenCL C
    .language_version:
      - 2
      - 0
    .max_flat_workgroup_size: 256
    .name:           _Z11rank_kernelIhLj4ELb0EL18RadixRankAlgorithm2ELj256ELj8ELj10EEvPKT_Pi
    .private_segment_fixed_size: 0
    .sgpr_count:     100
    .sgpr_spill_count: 66
    .symbol:         _Z11rank_kernelIhLj4ELb0EL18RadixRankAlgorithm2ELj256ELj8ELj10EEvPKT_Pi.kd
    .uniform_work_group_size: 1
    .uses_dynamic_stack: false
    .vgpr_count:     174
    .vgpr_spill_count: 0
    .wavefront_size: 64
  - .agpr_count:     0
    .args:
      - .address_space:  global
        .offset:         0
        .size:           8
        .value_kind:     global_buffer
      - .address_space:  global
        .offset:         8
        .size:           8
        .value_kind:     global_buffer
    .group_segment_fixed_size: 8208
    .kernarg_segment_align: 8
    .kernarg_segment_size: 16
    .language:       OpenCL C
    .language_version:
      - 2
      - 0
    .max_flat_workgroup_size: 256
    .name:           _Z11rank_kernelIhLj4ELb0EL18RadixRankAlgorithm0ELj256ELj16ELj10EEvPKT_Pi
    .private_segment_fixed_size: 0
    .sgpr_count:     48
    .sgpr_spill_count: 0
    .symbol:         _Z11rank_kernelIhLj4ELb0EL18RadixRankAlgorithm0ELj256ELj16ELj10EEvPKT_Pi.kd
    .uniform_work_group_size: 1
    .uses_dynamic_stack: false
    .vgpr_count:     52
    .vgpr_spill_count: 0
    .wavefront_size: 64
  - .agpr_count:     0
    .args:
      - .address_space:  global
        .offset:         0
        .size:           8
        .value_kind:     global_buffer
      - .address_space:  global
        .offset:         8
        .size:           8
        .value_kind:     global_buffer
    .group_segment_fixed_size: 8208
    .kernarg_segment_align: 8
    .kernarg_segment_size: 16
    .language:       OpenCL C
    .language_version:
      - 2
      - 0
    .max_flat_workgroup_size: 256
    .name:           _Z11rank_kernelIhLj4ELb0EL18RadixRankAlgorithm1ELj256ELj16ELj10EEvPKT_Pi
    .private_segment_fixed_size: 0
    .sgpr_count:     48
    .sgpr_spill_count: 0
    .symbol:         _Z11rank_kernelIhLj4ELb0EL18RadixRankAlgorithm1ELj256ELj16ELj10EEvPKT_Pi.kd
    .uniform_work_group_size: 1
    .uses_dynamic_stack: false
    .vgpr_count:     54
    .vgpr_spill_count: 0
    .wavefront_size: 64
  - .agpr_count:     117
    .args:
      - .address_space:  global
        .offset:         0
        .size:           8
        .value_kind:     global_buffer
      - .address_space:  global
        .offset:         8
        .size:           8
        .value_kind:     global_buffer
      - .offset:         16
        .size:           4
        .value_kind:     hidden_block_count_x
      - .offset:         20
        .size:           4
        .value_kind:     hidden_block_count_y
      - .offset:         24
        .size:           4
        .value_kind:     hidden_block_count_z
      - .offset:         28
        .size:           2
        .value_kind:     hidden_group_size_x
      - .offset:         30
        .size:           2
        .value_kind:     hidden_group_size_y
      - .offset:         32
        .size:           2
        .value_kind:     hidden_group_size_z
      - .offset:         34
        .size:           2
        .value_kind:     hidden_remainder_x
      - .offset:         36
        .size:           2
        .value_kind:     hidden_remainder_y
      - .offset:         38
        .size:           2
        .value_kind:     hidden_remainder_z
      - .offset:         56
        .size:           8
        .value_kind:     hidden_global_offset_x
      - .offset:         64
        .size:           8
        .value_kind:     hidden_global_offset_y
      - .offset:         72
        .size:           8
        .value_kind:     hidden_global_offset_z
      - .offset:         80
        .size:           2
        .value_kind:     hidden_grid_dims
    .group_segment_fixed_size: 1040
    .kernarg_segment_align: 8
    .kernarg_segment_size: 272
    .language:       OpenCL C
    .language_version:
      - 2
      - 0
    .max_flat_workgroup_size: 256
    .name:           _Z11rank_kernelIhLj4ELb0EL18RadixRankAlgorithm2ELj256ELj16ELj10EEvPKT_Pi
    .private_segment_fixed_size: 0
    .sgpr_count:     100
    .sgpr_spill_count: 194
    .symbol:         _Z11rank_kernelIhLj4ELb0EL18RadixRankAlgorithm2ELj256ELj16ELj10EEvPKT_Pi.kd
    .uniform_work_group_size: 1
    .uses_dynamic_stack: false
    .vgpr_count:     373
    .vgpr_spill_count: 0
    .wavefront_size: 64
  - .agpr_count:     0
    .args:
      - .address_space:  global
        .offset:         0
        .size:           8
        .value_kind:     global_buffer
      - .address_space:  global
        .offset:         8
        .size:           8
        .value_kind:     global_buffer
    .group_segment_fixed_size: 8208
    .kernarg_segment_align: 8
    .kernarg_segment_size: 16
    .language:       OpenCL C
    .language_version:
      - 2
      - 0
    .max_flat_workgroup_size: 256
    .name:           _Z11rank_kernelIhLj4ELb0EL18RadixRankAlgorithm0ELj256ELj32ELj10EEvPKT_Pi
    .private_segment_fixed_size: 0
    .sgpr_count:     48
    .sgpr_spill_count: 0
    .symbol:         _Z11rank_kernelIhLj4ELb0EL18RadixRankAlgorithm0ELj256ELj32ELj10EEvPKT_Pi.kd
    .uniform_work_group_size: 1
    .uses_dynamic_stack: false
    .vgpr_count:     88
    .vgpr_spill_count: 0
    .wavefront_size: 64
  - .agpr_count:     0
    .args:
      - .address_space:  global
        .offset:         0
        .size:           8
        .value_kind:     global_buffer
      - .address_space:  global
        .offset:         8
        .size:           8
        .value_kind:     global_buffer
    .group_segment_fixed_size: 8208
    .kernarg_segment_align: 8
    .kernarg_segment_size: 16
    .language:       OpenCL C
    .language_version:
      - 2
      - 0
    .max_flat_workgroup_size: 256
    .name:           _Z11rank_kernelIhLj4ELb0EL18RadixRankAlgorithm1ELj256ELj32ELj10EEvPKT_Pi
    .private_segment_fixed_size: 0
    .sgpr_count:     48
    .sgpr_spill_count: 0
    .symbol:         _Z11rank_kernelIhLj4ELb0EL18RadixRankAlgorithm1ELj256ELj32ELj10EEvPKT_Pi.kd
    .uniform_work_group_size: 1
    .uses_dynamic_stack: false
    .vgpr_count:     89
    .vgpr_spill_count: 0
    .wavefront_size: 64
  - .agpr_count:     0
    .args:
      - .address_space:  global
        .offset:         0
        .size:           8
        .value_kind:     global_buffer
      - .address_space:  global
        .offset:         8
        .size:           8
        .value_kind:     global_buffer
      - .offset:         16
        .size:           4
        .value_kind:     hidden_block_count_x
      - .offset:         20
        .size:           4
        .value_kind:     hidden_block_count_y
      - .offset:         24
        .size:           4
        .value_kind:     hidden_block_count_z
      - .offset:         28
        .size:           2
        .value_kind:     hidden_group_size_x
      - .offset:         30
        .size:           2
        .value_kind:     hidden_group_size_y
      - .offset:         32
        .size:           2
        .value_kind:     hidden_group_size_z
      - .offset:         34
        .size:           2
        .value_kind:     hidden_remainder_x
      - .offset:         36
        .size:           2
        .value_kind:     hidden_remainder_y
      - .offset:         38
        .size:           2
        .value_kind:     hidden_remainder_z
      - .offset:         56
        .size:           8
        .value_kind:     hidden_global_offset_x
      - .offset:         64
        .size:           8
        .value_kind:     hidden_global_offset_y
      - .offset:         72
        .size:           8
        .value_kind:     hidden_global_offset_z
      - .offset:         80
        .size:           2
        .value_kind:     hidden_grid_dims
    .group_segment_fixed_size: 1040
    .kernarg_segment_align: 8
    .kernarg_segment_size: 272
    .language:       OpenCL C
    .language_version:
      - 2
      - 0
    .max_flat_workgroup_size: 256
    .name:           _Z11rank_kernelIhLj4ELb0EL18RadixRankAlgorithm2ELj256ELj32ELj10EEvPKT_Pi
    .private_segment_fixed_size: 0
    .sgpr_count:     42
    .sgpr_spill_count: 0
    .symbol:         _Z11rank_kernelIhLj4ELb0EL18RadixRankAlgorithm2ELj256ELj32ELj10EEvPKT_Pi.kd
    .uniform_work_group_size: 1
    .uses_dynamic_stack: false
    .vgpr_count:     115
    .vgpr_spill_count: 0
    .wavefront_size: 64
  - .agpr_count:     0
    .args:
      - .address_space:  global
        .offset:         0
        .size:           8
        .value_kind:     global_buffer
      - .address_space:  global
        .offset:         8
        .size:           8
        .value_kind:     global_buffer
    .group_segment_fixed_size: 16416
    .kernarg_segment_align: 8
    .kernarg_segment_size: 16
    .language:       OpenCL C
    .language_version:
      - 2
      - 0
    .max_flat_workgroup_size: 512
    .name:           _Z11rank_kernelIhLj4ELb0EL18RadixRankAlgorithm0ELj512ELj1ELj10EEvPKT_Pi
    .private_segment_fixed_size: 0
    .sgpr_count:     38
    .sgpr_spill_count: 0
    .symbol:         _Z11rank_kernelIhLj4ELb0EL18RadixRankAlgorithm0ELj512ELj1ELj10EEvPKT_Pi.kd
    .uniform_work_group_size: 1
    .uses_dynamic_stack: false
    .vgpr_count:     24
    .vgpr_spill_count: 0
    .wavefront_size: 64
  - .agpr_count:     0
    .args:
      - .address_space:  global
        .offset:         0
        .size:           8
        .value_kind:     global_buffer
      - .address_space:  global
        .offset:         8
        .size:           8
        .value_kind:     global_buffer
    .group_segment_fixed_size: 16416
    .kernarg_segment_align: 8
    .kernarg_segment_size: 16
    .language:       OpenCL C
    .language_version:
      - 2
      - 0
    .max_flat_workgroup_size: 512
    .name:           _Z11rank_kernelIhLj4ELb0EL18RadixRankAlgorithm1ELj512ELj1ELj10EEvPKT_Pi
    .private_segment_fixed_size: 0
    .sgpr_count:     38
    .sgpr_spill_count: 0
    .symbol:         _Z11rank_kernelIhLj4ELb0EL18RadixRankAlgorithm1ELj512ELj1ELj10EEvPKT_Pi.kd
    .uniform_work_group_size: 1
    .uses_dynamic_stack: false
    .vgpr_count:     26
    .vgpr_spill_count: 0
    .wavefront_size: 64
  - .agpr_count:     0
    .args:
      - .address_space:  global
        .offset:         0
        .size:           8
        .value_kind:     global_buffer
      - .address_space:  global
        .offset:         8
        .size:           8
        .value_kind:     global_buffer
      - .offset:         16
        .size:           4
        .value_kind:     hidden_block_count_x
      - .offset:         20
        .size:           4
        .value_kind:     hidden_block_count_y
      - .offset:         24
        .size:           4
        .value_kind:     hidden_block_count_z
      - .offset:         28
        .size:           2
        .value_kind:     hidden_group_size_x
      - .offset:         30
        .size:           2
        .value_kind:     hidden_group_size_y
      - .offset:         32
        .size:           2
        .value_kind:     hidden_group_size_z
      - .offset:         34
        .size:           2
        .value_kind:     hidden_remainder_x
      - .offset:         36
        .size:           2
        .value_kind:     hidden_remainder_y
      - .offset:         38
        .size:           2
        .value_kind:     hidden_remainder_z
      - .offset:         56
        .size:           8
        .value_kind:     hidden_global_offset_x
      - .offset:         64
        .size:           8
        .value_kind:     hidden_global_offset_y
      - .offset:         72
        .size:           8
        .value_kind:     hidden_global_offset_z
      - .offset:         80
        .size:           2
        .value_kind:     hidden_grid_dims
    .group_segment_fixed_size: 2080
    .kernarg_segment_align: 8
    .kernarg_segment_size: 272
    .language:       OpenCL C
    .language_version:
      - 2
      - 0
    .max_flat_workgroup_size: 512
    .name:           _Z11rank_kernelIhLj4ELb0EL18RadixRankAlgorithm2ELj512ELj1ELj10EEvPKT_Pi
    .private_segment_fixed_size: 0
    .sgpr_count:     50
    .sgpr_spill_count: 0
    .symbol:         _Z11rank_kernelIhLj4ELb0EL18RadixRankAlgorithm2ELj512ELj1ELj10EEvPKT_Pi.kd
    .uniform_work_group_size: 1
    .uses_dynamic_stack: false
    .vgpr_count:     32
    .vgpr_spill_count: 0
    .wavefront_size: 64
  - .agpr_count:     0
    .args:
      - .address_space:  global
        .offset:         0
        .size:           8
        .value_kind:     global_buffer
      - .address_space:  global
        .offset:         8
        .size:           8
        .value_kind:     global_buffer
    .group_segment_fixed_size: 16416
    .kernarg_segment_align: 8
    .kernarg_segment_size: 16
    .language:       OpenCL C
    .language_version:
      - 2
      - 0
    .max_flat_workgroup_size: 512
    .name:           _Z11rank_kernelIhLj4ELb0EL18RadixRankAlgorithm0ELj512ELj4ELj10EEvPKT_Pi
    .private_segment_fixed_size: 0
    .sgpr_count:     38
    .sgpr_spill_count: 0
    .symbol:         _Z11rank_kernelIhLj4ELb0EL18RadixRankAlgorithm0ELj512ELj4ELj10EEvPKT_Pi.kd
    .uniform_work_group_size: 1
    .uses_dynamic_stack: false
    .vgpr_count:     32
    .vgpr_spill_count: 0
    .wavefront_size: 64
  - .agpr_count:     0
    .args:
      - .address_space:  global
        .offset:         0
        .size:           8
        .value_kind:     global_buffer
      - .address_space:  global
        .offset:         8
        .size:           8
        .value_kind:     global_buffer
    .group_segment_fixed_size: 16416
    .kernarg_segment_align: 8
    .kernarg_segment_size: 16
    .language:       OpenCL C
    .language_version:
      - 2
      - 0
    .max_flat_workgroup_size: 512
    .name:           _Z11rank_kernelIhLj4ELb0EL18RadixRankAlgorithm1ELj512ELj4ELj10EEvPKT_Pi
    .private_segment_fixed_size: 0
    .sgpr_count:     38
    .sgpr_spill_count: 0
    .symbol:         _Z11rank_kernelIhLj4ELb0EL18RadixRankAlgorithm1ELj512ELj4ELj10EEvPKT_Pi.kd
    .uniform_work_group_size: 1
    .uses_dynamic_stack: false
    .vgpr_count:     34
    .vgpr_spill_count: 0
    .wavefront_size: 64
  - .agpr_count:     0
    .args:
      - .address_space:  global
        .offset:         0
        .size:           8
        .value_kind:     global_buffer
      - .address_space:  global
        .offset:         8
        .size:           8
        .value_kind:     global_buffer
      - .offset:         16
        .size:           4
        .value_kind:     hidden_block_count_x
      - .offset:         20
        .size:           4
        .value_kind:     hidden_block_count_y
      - .offset:         24
        .size:           4
        .value_kind:     hidden_block_count_z
      - .offset:         28
        .size:           2
        .value_kind:     hidden_group_size_x
      - .offset:         30
        .size:           2
        .value_kind:     hidden_group_size_y
      - .offset:         32
        .size:           2
        .value_kind:     hidden_group_size_z
      - .offset:         34
        .size:           2
        .value_kind:     hidden_remainder_x
      - .offset:         36
        .size:           2
        .value_kind:     hidden_remainder_y
      - .offset:         38
        .size:           2
        .value_kind:     hidden_remainder_z
      - .offset:         56
        .size:           8
        .value_kind:     hidden_global_offset_x
      - .offset:         64
        .size:           8
        .value_kind:     hidden_global_offset_y
      - .offset:         72
        .size:           8
        .value_kind:     hidden_global_offset_z
      - .offset:         80
        .size:           2
        .value_kind:     hidden_grid_dims
    .group_segment_fixed_size: 2080
    .kernarg_segment_align: 8
    .kernarg_segment_size: 272
    .language:       OpenCL C
    .language_version:
      - 2
      - 0
    .max_flat_workgroup_size: 512
    .name:           _Z11rank_kernelIhLj4ELb0EL18RadixRankAlgorithm2ELj512ELj4ELj10EEvPKT_Pi
    .private_segment_fixed_size: 0
    .sgpr_count:     100
    .sgpr_spill_count: 4
    .symbol:         _Z11rank_kernelIhLj4ELb0EL18RadixRankAlgorithm2ELj512ELj4ELj10EEvPKT_Pi.kd
    .uniform_work_group_size: 1
    .uses_dynamic_stack: false
    .vgpr_count:     88
    .vgpr_spill_count: 0
    .wavefront_size: 64
  - .agpr_count:     0
    .args:
      - .address_space:  global
        .offset:         0
        .size:           8
        .value_kind:     global_buffer
      - .address_space:  global
        .offset:         8
        .size:           8
        .value_kind:     global_buffer
    .group_segment_fixed_size: 16416
    .kernarg_segment_align: 8
    .kernarg_segment_size: 16
    .language:       OpenCL C
    .language_version:
      - 2
      - 0
    .max_flat_workgroup_size: 512
    .name:           _Z11rank_kernelIhLj4ELb0EL18RadixRankAlgorithm0ELj512ELj8ELj10EEvPKT_Pi
    .private_segment_fixed_size: 0
    .sgpr_count:     38
    .sgpr_spill_count: 0
    .symbol:         _Z11rank_kernelIhLj4ELb0EL18RadixRankAlgorithm0ELj512ELj8ELj10EEvPKT_Pi.kd
    .uniform_work_group_size: 1
    .uses_dynamic_stack: false
    .vgpr_count:     46
    .vgpr_spill_count: 0
    .wavefront_size: 64
  - .agpr_count:     0
    .args:
      - .address_space:  global
        .offset:         0
        .size:           8
        .value_kind:     global_buffer
      - .address_space:  global
        .offset:         8
        .size:           8
        .value_kind:     global_buffer
    .group_segment_fixed_size: 16416
    .kernarg_segment_align: 8
    .kernarg_segment_size: 16
    .language:       OpenCL C
    .language_version:
      - 2
      - 0
    .max_flat_workgroup_size: 512
    .name:           _Z11rank_kernelIhLj4ELb0EL18RadixRankAlgorithm1ELj512ELj8ELj10EEvPKT_Pi
    .private_segment_fixed_size: 0
    .sgpr_count:     38
    .sgpr_spill_count: 0
    .symbol:         _Z11rank_kernelIhLj4ELb0EL18RadixRankAlgorithm1ELj512ELj8ELj10EEvPKT_Pi.kd
    .uniform_work_group_size: 1
    .uses_dynamic_stack: false
    .vgpr_count:     47
    .vgpr_spill_count: 0
    .wavefront_size: 64
  - .agpr_count:     0
    .args:
      - .address_space:  global
        .offset:         0
        .size:           8
        .value_kind:     global_buffer
      - .address_space:  global
        .offset:         8
        .size:           8
        .value_kind:     global_buffer
      - .offset:         16
        .size:           4
        .value_kind:     hidden_block_count_x
      - .offset:         20
        .size:           4
        .value_kind:     hidden_block_count_y
      - .offset:         24
        .size:           4
        .value_kind:     hidden_block_count_z
      - .offset:         28
        .size:           2
        .value_kind:     hidden_group_size_x
      - .offset:         30
        .size:           2
        .value_kind:     hidden_group_size_y
      - .offset:         32
        .size:           2
        .value_kind:     hidden_group_size_z
      - .offset:         34
        .size:           2
        .value_kind:     hidden_remainder_x
      - .offset:         36
        .size:           2
        .value_kind:     hidden_remainder_y
      - .offset:         38
        .size:           2
        .value_kind:     hidden_remainder_z
      - .offset:         56
        .size:           8
        .value_kind:     hidden_global_offset_x
      - .offset:         64
        .size:           8
        .value_kind:     hidden_global_offset_y
      - .offset:         72
        .size:           8
        .value_kind:     hidden_global_offset_z
      - .offset:         80
        .size:           2
        .value_kind:     hidden_grid_dims
    .group_segment_fixed_size: 2080
    .kernarg_segment_align: 8
    .kernarg_segment_size: 272
    .language:       OpenCL C
    .language_version:
      - 2
      - 0
    .max_flat_workgroup_size: 512
    .name:           _Z11rank_kernelIhLj4ELb0EL18RadixRankAlgorithm2ELj512ELj8ELj10EEvPKT_Pi
    .private_segment_fixed_size: 0
    .sgpr_count:     100
    .sgpr_spill_count: 68
    .symbol:         _Z11rank_kernelIhLj4ELb0EL18RadixRankAlgorithm2ELj512ELj8ELj10EEvPKT_Pi.kd
    .uniform_work_group_size: 1
    .uses_dynamic_stack: false
    .vgpr_count:     173
    .vgpr_spill_count: 0
    .wavefront_size: 64
  - .agpr_count:     0
    .args:
      - .address_space:  global
        .offset:         0
        .size:           8
        .value_kind:     global_buffer
      - .address_space:  global
        .offset:         8
        .size:           8
        .value_kind:     global_buffer
    .group_segment_fixed_size: 16416
    .kernarg_segment_align: 8
    .kernarg_segment_size: 16
    .language:       OpenCL C
    .language_version:
      - 2
      - 0
    .max_flat_workgroup_size: 512
    .name:           _Z11rank_kernelIhLj4ELb0EL18RadixRankAlgorithm0ELj512ELj16ELj10EEvPKT_Pi
    .private_segment_fixed_size: 0
    .sgpr_count:     44
    .sgpr_spill_count: 0
    .symbol:         _Z11rank_kernelIhLj4ELb0EL18RadixRankAlgorithm0ELj512ELj16ELj10EEvPKT_Pi.kd
    .uniform_work_group_size: 1
    .uses_dynamic_stack: false
    .vgpr_count:     58
    .vgpr_spill_count: 0
    .wavefront_size: 64
  - .agpr_count:     0
    .args:
      - .address_space:  global
        .offset:         0
        .size:           8
        .value_kind:     global_buffer
      - .address_space:  global
        .offset:         8
        .size:           8
        .value_kind:     global_buffer
    .group_segment_fixed_size: 16416
    .kernarg_segment_align: 8
    .kernarg_segment_size: 16
    .language:       OpenCL C
    .language_version:
      - 2
      - 0
    .max_flat_workgroup_size: 512
    .name:           _Z11rank_kernelIhLj4ELb0EL18RadixRankAlgorithm1ELj512ELj16ELj10EEvPKT_Pi
    .private_segment_fixed_size: 0
    .sgpr_count:     44
    .sgpr_spill_count: 0
    .symbol:         _Z11rank_kernelIhLj4ELb0EL18RadixRankAlgorithm1ELj512ELj16ELj10EEvPKT_Pi.kd
    .uniform_work_group_size: 1
    .uses_dynamic_stack: false
    .vgpr_count:     60
    .vgpr_spill_count: 0
    .wavefront_size: 64
  - .agpr_count:     0
    .args:
      - .address_space:  global
        .offset:         0
        .size:           8
        .value_kind:     global_buffer
      - .address_space:  global
        .offset:         8
        .size:           8
        .value_kind:     global_buffer
      - .offset:         16
        .size:           4
        .value_kind:     hidden_block_count_x
      - .offset:         20
        .size:           4
        .value_kind:     hidden_block_count_y
      - .offset:         24
        .size:           4
        .value_kind:     hidden_block_count_z
      - .offset:         28
        .size:           2
        .value_kind:     hidden_group_size_x
      - .offset:         30
        .size:           2
        .value_kind:     hidden_group_size_y
      - .offset:         32
        .size:           2
        .value_kind:     hidden_group_size_z
      - .offset:         34
        .size:           2
        .value_kind:     hidden_remainder_x
      - .offset:         36
        .size:           2
        .value_kind:     hidden_remainder_y
      - .offset:         38
        .size:           2
        .value_kind:     hidden_remainder_z
      - .offset:         56
        .size:           8
        .value_kind:     hidden_global_offset_x
      - .offset:         64
        .size:           8
        .value_kind:     hidden_global_offset_y
      - .offset:         72
        .size:           8
        .value_kind:     hidden_global_offset_z
      - .offset:         80
        .size:           2
        .value_kind:     hidden_grid_dims
    .group_segment_fixed_size: 2080
    .kernarg_segment_align: 8
    .kernarg_segment_size: 272
    .language:       OpenCL C
    .language_version:
      - 2
      - 0
    .max_flat_workgroup_size: 512
    .name:           _Z11rank_kernelIhLj4ELb0EL18RadixRankAlgorithm2ELj512ELj16ELj10EEvPKT_Pi
    .private_segment_fixed_size: 468
    .sgpr_count:     104
    .sgpr_spill_count: 196
    .symbol:         _Z11rank_kernelIhLj4ELb0EL18RadixRankAlgorithm2ELj512ELj16ELj10EEvPKT_Pi.kd
    .uniform_work_group_size: 1
    .uses_dynamic_stack: false
    .vgpr_count:     256
    .vgpr_spill_count: 116
    .wavefront_size: 64
  - .agpr_count:     0
    .args:
      - .address_space:  global
        .offset:         0
        .size:           8
        .value_kind:     global_buffer
      - .address_space:  global
        .offset:         8
        .size:           8
        .value_kind:     global_buffer
    .group_segment_fixed_size: 16416
    .kernarg_segment_align: 8
    .kernarg_segment_size: 16
    .language:       OpenCL C
    .language_version:
      - 2
      - 0
    .max_flat_workgroup_size: 512
    .name:           _Z11rank_kernelIhLj4ELb0EL18RadixRankAlgorithm0ELj512ELj32ELj10EEvPKT_Pi
    .private_segment_fixed_size: 0
    .sgpr_count:     44
    .sgpr_spill_count: 0
    .symbol:         _Z11rank_kernelIhLj4ELb0EL18RadixRankAlgorithm0ELj512ELj32ELj10EEvPKT_Pi.kd
    .uniform_work_group_size: 1
    .uses_dynamic_stack: false
    .vgpr_count:     94
    .vgpr_spill_count: 0
    .wavefront_size: 64
  - .agpr_count:     0
    .args:
      - .address_space:  global
        .offset:         0
        .size:           8
        .value_kind:     global_buffer
      - .address_space:  global
        .offset:         8
        .size:           8
        .value_kind:     global_buffer
    .group_segment_fixed_size: 16416
    .kernarg_segment_align: 8
    .kernarg_segment_size: 16
    .language:       OpenCL C
    .language_version:
      - 2
      - 0
    .max_flat_workgroup_size: 512
    .name:           _Z11rank_kernelIhLj4ELb0EL18RadixRankAlgorithm1ELj512ELj32ELj10EEvPKT_Pi
    .private_segment_fixed_size: 0
    .sgpr_count:     44
    .sgpr_spill_count: 0
    .symbol:         _Z11rank_kernelIhLj4ELb0EL18RadixRankAlgorithm1ELj512ELj32ELj10EEvPKT_Pi.kd
    .uniform_work_group_size: 1
    .uses_dynamic_stack: false
    .vgpr_count:     95
    .vgpr_spill_count: 0
    .wavefront_size: 64
  - .agpr_count:     0
    .args:
      - .address_space:  global
        .offset:         0
        .size:           8
        .value_kind:     global_buffer
      - .address_space:  global
        .offset:         8
        .size:           8
        .value_kind:     global_buffer
      - .offset:         16
        .size:           4
        .value_kind:     hidden_block_count_x
      - .offset:         20
        .size:           4
        .value_kind:     hidden_block_count_y
      - .offset:         24
        .size:           4
        .value_kind:     hidden_block_count_z
      - .offset:         28
        .size:           2
        .value_kind:     hidden_group_size_x
      - .offset:         30
        .size:           2
        .value_kind:     hidden_group_size_y
      - .offset:         32
        .size:           2
        .value_kind:     hidden_group_size_z
      - .offset:         34
        .size:           2
        .value_kind:     hidden_remainder_x
      - .offset:         36
        .size:           2
        .value_kind:     hidden_remainder_y
      - .offset:         38
        .size:           2
        .value_kind:     hidden_remainder_z
      - .offset:         56
        .size:           8
        .value_kind:     hidden_global_offset_x
      - .offset:         64
        .size:           8
        .value_kind:     hidden_global_offset_y
      - .offset:         72
        .size:           8
        .value_kind:     hidden_global_offset_z
      - .offset:         80
        .size:           2
        .value_kind:     hidden_grid_dims
    .group_segment_fixed_size: 2080
    .kernarg_segment_align: 8
    .kernarg_segment_size: 272
    .language:       OpenCL C
    .language_version:
      - 2
      - 0
    .max_flat_workgroup_size: 512
    .name:           _Z11rank_kernelIhLj4ELb0EL18RadixRankAlgorithm2ELj512ELj32ELj10EEvPKT_Pi
    .private_segment_fixed_size: 0
    .sgpr_count:     44
    .sgpr_spill_count: 0
    .symbol:         _Z11rank_kernelIhLj4ELb0EL18RadixRankAlgorithm2ELj512ELj32ELj10EEvPKT_Pi.kd
    .uniform_work_group_size: 1
    .uses_dynamic_stack: false
    .vgpr_count:     115
    .vgpr_spill_count: 0
    .wavefront_size: 64
  - .agpr_count:     0
    .args:
      - .address_space:  global
        .offset:         0
        .size:           8
        .value_kind:     global_buffer
      - .address_space:  global
        .offset:         8
        .size:           8
        .value_kind:     global_buffer
    .group_segment_fixed_size: 4104
    .kernarg_segment_align: 8
    .kernarg_segment_size: 16
    .language:       OpenCL C
    .language_version:
      - 2
      - 0
    .max_flat_workgroup_size: 128
    .name:           _Z11rank_kernelIxLj4ELb0EL18RadixRankAlgorithm0ELj128ELj1ELj10EEvPKT_Pi
    .private_segment_fixed_size: 0
    .sgpr_count:     42
    .sgpr_spill_count: 0
    .symbol:         _Z11rank_kernelIxLj4ELb0EL18RadixRankAlgorithm0ELj128ELj1ELj10EEvPKT_Pi.kd
    .uniform_work_group_size: 1
    .uses_dynamic_stack: false
    .vgpr_count:     20
    .vgpr_spill_count: 0
    .wavefront_size: 64
  - .agpr_count:     0
    .args:
      - .address_space:  global
        .offset:         0
        .size:           8
        .value_kind:     global_buffer
      - .address_space:  global
        .offset:         8
        .size:           8
        .value_kind:     global_buffer
    .group_segment_fixed_size: 4104
    .kernarg_segment_align: 8
    .kernarg_segment_size: 16
    .language:       OpenCL C
    .language_version:
      - 2
      - 0
    .max_flat_workgroup_size: 128
    .name:           _Z11rank_kernelIxLj4ELb0EL18RadixRankAlgorithm1ELj128ELj1ELj10EEvPKT_Pi
    .private_segment_fixed_size: 0
    .sgpr_count:     42
    .sgpr_spill_count: 0
    .symbol:         _Z11rank_kernelIxLj4ELb0EL18RadixRankAlgorithm1ELj128ELj1ELj10EEvPKT_Pi.kd
    .uniform_work_group_size: 1
    .uses_dynamic_stack: false
    .vgpr_count:     21
    .vgpr_spill_count: 0
    .wavefront_size: 64
  - .agpr_count:     0
    .args:
      - .address_space:  global
        .offset:         0
        .size:           8
        .value_kind:     global_buffer
      - .address_space:  global
        .offset:         8
        .size:           8
        .value_kind:     global_buffer
      - .offset:         16
        .size:           4
        .value_kind:     hidden_block_count_x
      - .offset:         20
        .size:           4
        .value_kind:     hidden_block_count_y
      - .offset:         24
        .size:           4
        .value_kind:     hidden_block_count_z
      - .offset:         28
        .size:           2
        .value_kind:     hidden_group_size_x
      - .offset:         30
        .size:           2
        .value_kind:     hidden_group_size_y
      - .offset:         32
        .size:           2
        .value_kind:     hidden_group_size_z
      - .offset:         34
        .size:           2
        .value_kind:     hidden_remainder_x
      - .offset:         36
        .size:           2
        .value_kind:     hidden_remainder_y
      - .offset:         38
        .size:           2
        .value_kind:     hidden_remainder_z
      - .offset:         56
        .size:           8
        .value_kind:     hidden_global_offset_x
      - .offset:         64
        .size:           8
        .value_kind:     hidden_global_offset_y
      - .offset:         72
        .size:           8
        .value_kind:     hidden_global_offset_z
      - .offset:         80
        .size:           2
        .value_kind:     hidden_grid_dims
    .group_segment_fixed_size: 520
    .kernarg_segment_align: 8
    .kernarg_segment_size: 272
    .language:       OpenCL C
    .language_version:
      - 2
      - 0
    .max_flat_workgroup_size: 128
    .name:           _Z11rank_kernelIxLj4ELb0EL18RadixRankAlgorithm2ELj128ELj1ELj10EEvPKT_Pi
    .private_segment_fixed_size: 0
    .sgpr_count:     36
    .sgpr_spill_count: 0
    .symbol:         _Z11rank_kernelIxLj4ELb0EL18RadixRankAlgorithm2ELj128ELj1ELj10EEvPKT_Pi.kd
    .uniform_work_group_size: 1
    .uses_dynamic_stack: false
    .vgpr_count:     17
    .vgpr_spill_count: 0
    .wavefront_size: 64
  - .agpr_count:     0
    .args:
      - .address_space:  global
        .offset:         0
        .size:           8
        .value_kind:     global_buffer
      - .address_space:  global
        .offset:         8
        .size:           8
        .value_kind:     global_buffer
    .group_segment_fixed_size: 4104
    .kernarg_segment_align: 8
    .kernarg_segment_size: 16
    .language:       OpenCL C
    .language_version:
      - 2
      - 0
    .max_flat_workgroup_size: 128
    .name:           _Z11rank_kernelIxLj4ELb0EL18RadixRankAlgorithm0ELj128ELj4ELj10EEvPKT_Pi
    .private_segment_fixed_size: 0
    .sgpr_count:     42
    .sgpr_spill_count: 0
    .symbol:         _Z11rank_kernelIxLj4ELb0EL18RadixRankAlgorithm0ELj128ELj4ELj10EEvPKT_Pi.kd
    .uniform_work_group_size: 1
    .uses_dynamic_stack: false
    .vgpr_count:     32
    .vgpr_spill_count: 0
    .wavefront_size: 64
  - .agpr_count:     0
    .args:
      - .address_space:  global
        .offset:         0
        .size:           8
        .value_kind:     global_buffer
      - .address_space:  global
        .offset:         8
        .size:           8
        .value_kind:     global_buffer
    .group_segment_fixed_size: 4104
    .kernarg_segment_align: 8
    .kernarg_segment_size: 16
    .language:       OpenCL C
    .language_version:
      - 2
      - 0
    .max_flat_workgroup_size: 128
    .name:           _Z11rank_kernelIxLj4ELb0EL18RadixRankAlgorithm1ELj128ELj4ELj10EEvPKT_Pi
    .private_segment_fixed_size: 0
    .sgpr_count:     42
    .sgpr_spill_count: 0
    .symbol:         _Z11rank_kernelIxLj4ELb0EL18RadixRankAlgorithm1ELj128ELj4ELj10EEvPKT_Pi.kd
    .uniform_work_group_size: 1
    .uses_dynamic_stack: false
    .vgpr_count:     33
    .vgpr_spill_count: 0
    .wavefront_size: 64
  - .agpr_count:     0
    .args:
      - .address_space:  global
        .offset:         0
        .size:           8
        .value_kind:     global_buffer
      - .address_space:  global
        .offset:         8
        .size:           8
        .value_kind:     global_buffer
      - .offset:         16
        .size:           4
        .value_kind:     hidden_block_count_x
      - .offset:         20
        .size:           4
        .value_kind:     hidden_block_count_y
      - .offset:         24
        .size:           4
        .value_kind:     hidden_block_count_z
      - .offset:         28
        .size:           2
        .value_kind:     hidden_group_size_x
      - .offset:         30
        .size:           2
        .value_kind:     hidden_group_size_y
      - .offset:         32
        .size:           2
        .value_kind:     hidden_group_size_z
      - .offset:         34
        .size:           2
        .value_kind:     hidden_remainder_x
      - .offset:         36
        .size:           2
        .value_kind:     hidden_remainder_y
      - .offset:         38
        .size:           2
        .value_kind:     hidden_remainder_z
      - .offset:         56
        .size:           8
        .value_kind:     hidden_global_offset_x
      - .offset:         64
        .size:           8
        .value_kind:     hidden_global_offset_y
      - .offset:         72
        .size:           8
        .value_kind:     hidden_global_offset_z
      - .offset:         80
        .size:           2
        .value_kind:     hidden_grid_dims
    .group_segment_fixed_size: 520
    .kernarg_segment_align: 8
    .kernarg_segment_size: 272
    .language:       OpenCL C
    .language_version:
      - 2
      - 0
    .max_flat_workgroup_size: 128
    .name:           _Z11rank_kernelIxLj4ELb0EL18RadixRankAlgorithm2ELj128ELj4ELj10EEvPKT_Pi
    .private_segment_fixed_size: 0
    .sgpr_count:     36
    .sgpr_spill_count: 0
    .symbol:         _Z11rank_kernelIxLj4ELb0EL18RadixRankAlgorithm2ELj128ELj4ELj10EEvPKT_Pi.kd
    .uniform_work_group_size: 1
    .uses_dynamic_stack: false
    .vgpr_count:     31
    .vgpr_spill_count: 0
    .wavefront_size: 64
  - .agpr_count:     0
    .args:
      - .address_space:  global
        .offset:         0
        .size:           8
        .value_kind:     global_buffer
      - .address_space:  global
        .offset:         8
        .size:           8
        .value_kind:     global_buffer
    .group_segment_fixed_size: 4104
    .kernarg_segment_align: 8
    .kernarg_segment_size: 16
    .language:       OpenCL C
    .language_version:
      - 2
      - 0
    .max_flat_workgroup_size: 128
    .name:           _Z11rank_kernelIxLj4ELb0EL18RadixRankAlgorithm0ELj128ELj8ELj10EEvPKT_Pi
    .private_segment_fixed_size: 0
    .sgpr_count:     42
    .sgpr_spill_count: 0
    .symbol:         _Z11rank_kernelIxLj4ELb0EL18RadixRankAlgorithm0ELj128ELj8ELj10EEvPKT_Pi.kd
    .uniform_work_group_size: 1
    .uses_dynamic_stack: false
    .vgpr_count:     48
    .vgpr_spill_count: 0
    .wavefront_size: 64
  - .agpr_count:     0
    .args:
      - .address_space:  global
        .offset:         0
        .size:           8
        .value_kind:     global_buffer
      - .address_space:  global
        .offset:         8
        .size:           8
        .value_kind:     global_buffer
    .group_segment_fixed_size: 4104
    .kernarg_segment_align: 8
    .kernarg_segment_size: 16
    .language:       OpenCL C
    .language_version:
      - 2
      - 0
    .max_flat_workgroup_size: 128
    .name:           _Z11rank_kernelIxLj4ELb0EL18RadixRankAlgorithm1ELj128ELj8ELj10EEvPKT_Pi
    .private_segment_fixed_size: 0
    .sgpr_count:     42
    .sgpr_spill_count: 0
    .symbol:         _Z11rank_kernelIxLj4ELb0EL18RadixRankAlgorithm1ELj128ELj8ELj10EEvPKT_Pi.kd
    .uniform_work_group_size: 1
    .uses_dynamic_stack: false
    .vgpr_count:     50
    .vgpr_spill_count: 0
    .wavefront_size: 64
  - .agpr_count:     0
    .args:
      - .address_space:  global
        .offset:         0
        .size:           8
        .value_kind:     global_buffer
      - .address_space:  global
        .offset:         8
        .size:           8
        .value_kind:     global_buffer
      - .offset:         16
        .size:           4
        .value_kind:     hidden_block_count_x
      - .offset:         20
        .size:           4
        .value_kind:     hidden_block_count_y
      - .offset:         24
        .size:           4
        .value_kind:     hidden_block_count_z
      - .offset:         28
        .size:           2
        .value_kind:     hidden_group_size_x
      - .offset:         30
        .size:           2
        .value_kind:     hidden_group_size_y
      - .offset:         32
        .size:           2
        .value_kind:     hidden_group_size_z
      - .offset:         34
        .size:           2
        .value_kind:     hidden_remainder_x
      - .offset:         36
        .size:           2
        .value_kind:     hidden_remainder_y
      - .offset:         38
        .size:           2
        .value_kind:     hidden_remainder_z
      - .offset:         56
        .size:           8
        .value_kind:     hidden_global_offset_x
      - .offset:         64
        .size:           8
        .value_kind:     hidden_global_offset_y
      - .offset:         72
        .size:           8
        .value_kind:     hidden_global_offset_z
      - .offset:         80
        .size:           2
        .value_kind:     hidden_grid_dims
    .group_segment_fixed_size: 520
    .kernarg_segment_align: 8
    .kernarg_segment_size: 272
    .language:       OpenCL C
    .language_version:
      - 2
      - 0
    .max_flat_workgroup_size: 128
    .name:           _Z11rank_kernelIxLj4ELb0EL18RadixRankAlgorithm2ELj128ELj8ELj10EEvPKT_Pi
    .private_segment_fixed_size: 0
    .sgpr_count:     36
    .sgpr_spill_count: 0
    .symbol:         _Z11rank_kernelIxLj4ELb0EL18RadixRankAlgorithm2ELj128ELj8ELj10EEvPKT_Pi.kd
    .uniform_work_group_size: 1
    .uses_dynamic_stack: false
    .vgpr_count:     52
    .vgpr_spill_count: 0
    .wavefront_size: 64
  - .agpr_count:     0
    .args:
      - .address_space:  global
        .offset:         0
        .size:           8
        .value_kind:     global_buffer
      - .address_space:  global
        .offset:         8
        .size:           8
        .value_kind:     global_buffer
    .group_segment_fixed_size: 4104
    .kernarg_segment_align: 8
    .kernarg_segment_size: 16
    .language:       OpenCL C
    .language_version:
      - 2
      - 0
    .max_flat_workgroup_size: 128
    .name:           _Z11rank_kernelIxLj4ELb0EL18RadixRankAlgorithm0ELj128ELj16ELj10EEvPKT_Pi
    .private_segment_fixed_size: 0
    .sgpr_count:     42
    .sgpr_spill_count: 0
    .symbol:         _Z11rank_kernelIxLj4ELb0EL18RadixRankAlgorithm0ELj128ELj16ELj10EEvPKT_Pi.kd
    .uniform_work_group_size: 1
    .uses_dynamic_stack: false
    .vgpr_count:     75
    .vgpr_spill_count: 0
    .wavefront_size: 64
  - .agpr_count:     0
    .args:
      - .address_space:  global
        .offset:         0
        .size:           8
        .value_kind:     global_buffer
      - .address_space:  global
        .offset:         8
        .size:           8
        .value_kind:     global_buffer
    .group_segment_fixed_size: 4104
    .kernarg_segment_align: 8
    .kernarg_segment_size: 16
    .language:       OpenCL C
    .language_version:
      - 2
      - 0
    .max_flat_workgroup_size: 128
    .name:           _Z11rank_kernelIxLj4ELb0EL18RadixRankAlgorithm1ELj128ELj16ELj10EEvPKT_Pi
    .private_segment_fixed_size: 0
    .sgpr_count:     42
    .sgpr_spill_count: 0
    .symbol:         _Z11rank_kernelIxLj4ELb0EL18RadixRankAlgorithm1ELj128ELj16ELj10EEvPKT_Pi.kd
    .uniform_work_group_size: 1
    .uses_dynamic_stack: false
    .vgpr_count:     82
    .vgpr_spill_count: 0
    .wavefront_size: 64
  - .agpr_count:     0
    .args:
      - .address_space:  global
        .offset:         0
        .size:           8
        .value_kind:     global_buffer
      - .address_space:  global
        .offset:         8
        .size:           8
        .value_kind:     global_buffer
      - .offset:         16
        .size:           4
        .value_kind:     hidden_block_count_x
      - .offset:         20
        .size:           4
        .value_kind:     hidden_block_count_y
      - .offset:         24
        .size:           4
        .value_kind:     hidden_block_count_z
      - .offset:         28
        .size:           2
        .value_kind:     hidden_group_size_x
      - .offset:         30
        .size:           2
        .value_kind:     hidden_group_size_y
      - .offset:         32
        .size:           2
        .value_kind:     hidden_group_size_z
      - .offset:         34
        .size:           2
        .value_kind:     hidden_remainder_x
      - .offset:         36
        .size:           2
        .value_kind:     hidden_remainder_y
      - .offset:         38
        .size:           2
        .value_kind:     hidden_remainder_z
      - .offset:         56
        .size:           8
        .value_kind:     hidden_global_offset_x
      - .offset:         64
        .size:           8
        .value_kind:     hidden_global_offset_y
      - .offset:         72
        .size:           8
        .value_kind:     hidden_global_offset_z
      - .offset:         80
        .size:           2
        .value_kind:     hidden_grid_dims
    .group_segment_fixed_size: 520
    .kernarg_segment_align: 8
    .kernarg_segment_size: 272
    .language:       OpenCL C
    .language_version:
      - 2
      - 0
    .max_flat_workgroup_size: 128
    .name:           _Z11rank_kernelIxLj4ELb0EL18RadixRankAlgorithm2ELj128ELj16ELj10EEvPKT_Pi
    .private_segment_fixed_size: 0
    .sgpr_count:     36
    .sgpr_spill_count: 0
    .symbol:         _Z11rank_kernelIxLj4ELb0EL18RadixRankAlgorithm2ELj128ELj16ELj10EEvPKT_Pi.kd
    .uniform_work_group_size: 1
    .uses_dynamic_stack: false
    .vgpr_count:     92
    .vgpr_spill_count: 0
    .wavefront_size: 64
  - .agpr_count:     0
    .args:
      - .address_space:  global
        .offset:         0
        .size:           8
        .value_kind:     global_buffer
      - .address_space:  global
        .offset:         8
        .size:           8
        .value_kind:     global_buffer
    .group_segment_fixed_size: 4104
    .kernarg_segment_align: 8
    .kernarg_segment_size: 16
    .language:       OpenCL C
    .language_version:
      - 2
      - 0
    .max_flat_workgroup_size: 128
    .name:           _Z11rank_kernelIxLj4ELb0EL18RadixRankAlgorithm0ELj128ELj32ELj10EEvPKT_Pi
    .private_segment_fixed_size: 0
    .sgpr_count:     42
    .sgpr_spill_count: 0
    .symbol:         _Z11rank_kernelIxLj4ELb0EL18RadixRankAlgorithm0ELj128ELj32ELj10EEvPKT_Pi.kd
    .uniform_work_group_size: 1
    .uses_dynamic_stack: false
    .vgpr_count:     144
    .vgpr_spill_count: 0
    .wavefront_size: 64
  - .agpr_count:     0
    .args:
      - .address_space:  global
        .offset:         0
        .size:           8
        .value_kind:     global_buffer
      - .address_space:  global
        .offset:         8
        .size:           8
        .value_kind:     global_buffer
    .group_segment_fixed_size: 4104
    .kernarg_segment_align: 8
    .kernarg_segment_size: 16
    .language:       OpenCL C
    .language_version:
      - 2
      - 0
    .max_flat_workgroup_size: 128
    .name:           _Z11rank_kernelIxLj4ELb0EL18RadixRankAlgorithm1ELj128ELj32ELj10EEvPKT_Pi
    .private_segment_fixed_size: 0
    .sgpr_count:     42
    .sgpr_spill_count: 0
    .symbol:         _Z11rank_kernelIxLj4ELb0EL18RadixRankAlgorithm1ELj128ELj32ELj10EEvPKT_Pi.kd
    .uniform_work_group_size: 1
    .uses_dynamic_stack: false
    .vgpr_count:     145
    .vgpr_spill_count: 0
    .wavefront_size: 64
  - .agpr_count:     0
    .args:
      - .address_space:  global
        .offset:         0
        .size:           8
        .value_kind:     global_buffer
      - .address_space:  global
        .offset:         8
        .size:           8
        .value_kind:     global_buffer
      - .offset:         16
        .size:           4
        .value_kind:     hidden_block_count_x
      - .offset:         20
        .size:           4
        .value_kind:     hidden_block_count_y
      - .offset:         24
        .size:           4
        .value_kind:     hidden_block_count_z
      - .offset:         28
        .size:           2
        .value_kind:     hidden_group_size_x
      - .offset:         30
        .size:           2
        .value_kind:     hidden_group_size_y
      - .offset:         32
        .size:           2
        .value_kind:     hidden_group_size_z
      - .offset:         34
        .size:           2
        .value_kind:     hidden_remainder_x
      - .offset:         36
        .size:           2
        .value_kind:     hidden_remainder_y
      - .offset:         38
        .size:           2
        .value_kind:     hidden_remainder_z
      - .offset:         56
        .size:           8
        .value_kind:     hidden_global_offset_x
      - .offset:         64
        .size:           8
        .value_kind:     hidden_global_offset_y
      - .offset:         72
        .size:           8
        .value_kind:     hidden_global_offset_z
      - .offset:         80
        .size:           2
        .value_kind:     hidden_grid_dims
    .group_segment_fixed_size: 520
    .kernarg_segment_align: 8
    .kernarg_segment_size: 272
    .language:       OpenCL C
    .language_version:
      - 2
      - 0
    .max_flat_workgroup_size: 128
    .name:           _Z11rank_kernelIxLj4ELb0EL18RadixRankAlgorithm2ELj128ELj32ELj10EEvPKT_Pi
    .private_segment_fixed_size: 0
    .sgpr_count:     36
    .sgpr_spill_count: 0
    .symbol:         _Z11rank_kernelIxLj4ELb0EL18RadixRankAlgorithm2ELj128ELj32ELj10EEvPKT_Pi.kd
    .uniform_work_group_size: 1
    .uses_dynamic_stack: false
    .vgpr_count:     172
    .vgpr_spill_count: 0
    .wavefront_size: 64
  - .agpr_count:     0
    .args:
      - .address_space:  global
        .offset:         0
        .size:           8
        .value_kind:     global_buffer
      - .address_space:  global
        .offset:         8
        .size:           8
        .value_kind:     global_buffer
    .group_segment_fixed_size: 8208
    .kernarg_segment_align: 8
    .kernarg_segment_size: 16
    .language:       OpenCL C
    .language_version:
      - 2
      - 0
    .max_flat_workgroup_size: 256
    .name:           _Z11rank_kernelIxLj4ELb0EL18RadixRankAlgorithm0ELj256ELj1ELj10EEvPKT_Pi
    .private_segment_fixed_size: 0
    .sgpr_count:     44
    .sgpr_spill_count: 0
    .symbol:         _Z11rank_kernelIxLj4ELb0EL18RadixRankAlgorithm0ELj256ELj1ELj10EEvPKT_Pi.kd
    .uniform_work_group_size: 1
    .uses_dynamic_stack: false
    .vgpr_count:     20
    .vgpr_spill_count: 0
    .wavefront_size: 64
  - .agpr_count:     0
    .args:
      - .address_space:  global
        .offset:         0
        .size:           8
        .value_kind:     global_buffer
      - .address_space:  global
        .offset:         8
        .size:           8
        .value_kind:     global_buffer
    .group_segment_fixed_size: 8208
    .kernarg_segment_align: 8
    .kernarg_segment_size: 16
    .language:       OpenCL C
    .language_version:
      - 2
      - 0
    .max_flat_workgroup_size: 256
    .name:           _Z11rank_kernelIxLj4ELb0EL18RadixRankAlgorithm1ELj256ELj1ELj10EEvPKT_Pi
    .private_segment_fixed_size: 0
    .sgpr_count:     44
    .sgpr_spill_count: 0
    .symbol:         _Z11rank_kernelIxLj4ELb0EL18RadixRankAlgorithm1ELj256ELj1ELj10EEvPKT_Pi.kd
    .uniform_work_group_size: 1
    .uses_dynamic_stack: false
    .vgpr_count:     21
    .vgpr_spill_count: 0
    .wavefront_size: 64
  - .agpr_count:     0
    .args:
      - .address_space:  global
        .offset:         0
        .size:           8
        .value_kind:     global_buffer
      - .address_space:  global
        .offset:         8
        .size:           8
        .value_kind:     global_buffer
      - .offset:         16
        .size:           4
        .value_kind:     hidden_block_count_x
      - .offset:         20
        .size:           4
        .value_kind:     hidden_block_count_y
      - .offset:         24
        .size:           4
        .value_kind:     hidden_block_count_z
      - .offset:         28
        .size:           2
        .value_kind:     hidden_group_size_x
      - .offset:         30
        .size:           2
        .value_kind:     hidden_group_size_y
      - .offset:         32
        .size:           2
        .value_kind:     hidden_group_size_z
      - .offset:         34
        .size:           2
        .value_kind:     hidden_remainder_x
      - .offset:         36
        .size:           2
        .value_kind:     hidden_remainder_y
      - .offset:         38
        .size:           2
        .value_kind:     hidden_remainder_z
      - .offset:         56
        .size:           8
        .value_kind:     hidden_global_offset_x
      - .offset:         64
        .size:           8
        .value_kind:     hidden_global_offset_y
      - .offset:         72
        .size:           8
        .value_kind:     hidden_global_offset_z
      - .offset:         80
        .size:           2
        .value_kind:     hidden_grid_dims
    .group_segment_fixed_size: 1040
    .kernarg_segment_align: 8
    .kernarg_segment_size: 272
    .language:       OpenCL C
    .language_version:
      - 2
      - 0
    .max_flat_workgroup_size: 256
    .name:           _Z11rank_kernelIxLj4ELb0EL18RadixRankAlgorithm2ELj256ELj1ELj10EEvPKT_Pi
    .private_segment_fixed_size: 0
    .sgpr_count:     39
    .sgpr_spill_count: 0
    .symbol:         _Z11rank_kernelIxLj4ELb0EL18RadixRankAlgorithm2ELj256ELj1ELj10EEvPKT_Pi.kd
    .uniform_work_group_size: 1
    .uses_dynamic_stack: false
    .vgpr_count:     17
    .vgpr_spill_count: 0
    .wavefront_size: 64
  - .agpr_count:     0
    .args:
      - .address_space:  global
        .offset:         0
        .size:           8
        .value_kind:     global_buffer
      - .address_space:  global
        .offset:         8
        .size:           8
        .value_kind:     global_buffer
    .group_segment_fixed_size: 8208
    .kernarg_segment_align: 8
    .kernarg_segment_size: 16
    .language:       OpenCL C
    .language_version:
      - 2
      - 0
    .max_flat_workgroup_size: 256
    .name:           _Z11rank_kernelIxLj4ELb0EL18RadixRankAlgorithm0ELj256ELj4ELj10EEvPKT_Pi
    .private_segment_fixed_size: 0
    .sgpr_count:     44
    .sgpr_spill_count: 0
    .symbol:         _Z11rank_kernelIxLj4ELb0EL18RadixRankAlgorithm0ELj256ELj4ELj10EEvPKT_Pi.kd
    .uniform_work_group_size: 1
    .uses_dynamic_stack: false
    .vgpr_count:     32
    .vgpr_spill_count: 0
    .wavefront_size: 64
  - .agpr_count:     0
    .args:
      - .address_space:  global
        .offset:         0
        .size:           8
        .value_kind:     global_buffer
      - .address_space:  global
        .offset:         8
        .size:           8
        .value_kind:     global_buffer
    .group_segment_fixed_size: 8208
    .kernarg_segment_align: 8
    .kernarg_segment_size: 16
    .language:       OpenCL C
    .language_version:
      - 2
      - 0
    .max_flat_workgroup_size: 256
    .name:           _Z11rank_kernelIxLj4ELb0EL18RadixRankAlgorithm1ELj256ELj4ELj10EEvPKT_Pi
    .private_segment_fixed_size: 0
    .sgpr_count:     44
    .sgpr_spill_count: 0
    .symbol:         _Z11rank_kernelIxLj4ELb0EL18RadixRankAlgorithm1ELj256ELj4ELj10EEvPKT_Pi.kd
    .uniform_work_group_size: 1
    .uses_dynamic_stack: false
    .vgpr_count:     33
    .vgpr_spill_count: 0
    .wavefront_size: 64
  - .agpr_count:     0
    .args:
      - .address_space:  global
        .offset:         0
        .size:           8
        .value_kind:     global_buffer
      - .address_space:  global
        .offset:         8
        .size:           8
        .value_kind:     global_buffer
      - .offset:         16
        .size:           4
        .value_kind:     hidden_block_count_x
      - .offset:         20
        .size:           4
        .value_kind:     hidden_block_count_y
      - .offset:         24
        .size:           4
        .value_kind:     hidden_block_count_z
      - .offset:         28
        .size:           2
        .value_kind:     hidden_group_size_x
      - .offset:         30
        .size:           2
        .value_kind:     hidden_group_size_y
      - .offset:         32
        .size:           2
        .value_kind:     hidden_group_size_z
      - .offset:         34
        .size:           2
        .value_kind:     hidden_remainder_x
      - .offset:         36
        .size:           2
        .value_kind:     hidden_remainder_y
      - .offset:         38
        .size:           2
        .value_kind:     hidden_remainder_z
      - .offset:         56
        .size:           8
        .value_kind:     hidden_global_offset_x
      - .offset:         64
        .size:           8
        .value_kind:     hidden_global_offset_y
      - .offset:         72
        .size:           8
        .value_kind:     hidden_global_offset_z
      - .offset:         80
        .size:           2
        .value_kind:     hidden_grid_dims
    .group_segment_fixed_size: 1040
    .kernarg_segment_align: 8
    .kernarg_segment_size: 272
    .language:       OpenCL C
    .language_version:
      - 2
      - 0
    .max_flat_workgroup_size: 256
    .name:           _Z11rank_kernelIxLj4ELb0EL18RadixRankAlgorithm2ELj256ELj4ELj10EEvPKT_Pi
    .private_segment_fixed_size: 0
    .sgpr_count:     39
    .sgpr_spill_count: 0
    .symbol:         _Z11rank_kernelIxLj4ELb0EL18RadixRankAlgorithm2ELj256ELj4ELj10EEvPKT_Pi.kd
    .uniform_work_group_size: 1
    .uses_dynamic_stack: false
    .vgpr_count:     31
    .vgpr_spill_count: 0
    .wavefront_size: 64
  - .agpr_count:     0
    .args:
      - .address_space:  global
        .offset:         0
        .size:           8
        .value_kind:     global_buffer
      - .address_space:  global
        .offset:         8
        .size:           8
        .value_kind:     global_buffer
    .group_segment_fixed_size: 8208
    .kernarg_segment_align: 8
    .kernarg_segment_size: 16
    .language:       OpenCL C
    .language_version:
      - 2
      - 0
    .max_flat_workgroup_size: 256
    .name:           _Z11rank_kernelIxLj4ELb0EL18RadixRankAlgorithm0ELj256ELj8ELj10EEvPKT_Pi
    .private_segment_fixed_size: 0
    .sgpr_count:     44
    .sgpr_spill_count: 0
    .symbol:         _Z11rank_kernelIxLj4ELb0EL18RadixRankAlgorithm0ELj256ELj8ELj10EEvPKT_Pi.kd
    .uniform_work_group_size: 1
    .uses_dynamic_stack: false
    .vgpr_count:     48
    .vgpr_spill_count: 0
    .wavefront_size: 64
  - .agpr_count:     0
    .args:
      - .address_space:  global
        .offset:         0
        .size:           8
        .value_kind:     global_buffer
      - .address_space:  global
        .offset:         8
        .size:           8
        .value_kind:     global_buffer
    .group_segment_fixed_size: 8208
    .kernarg_segment_align: 8
    .kernarg_segment_size: 16
    .language:       OpenCL C
    .language_version:
      - 2
      - 0
    .max_flat_workgroup_size: 256
    .name:           _Z11rank_kernelIxLj4ELb0EL18RadixRankAlgorithm1ELj256ELj8ELj10EEvPKT_Pi
    .private_segment_fixed_size: 0
    .sgpr_count:     44
    .sgpr_spill_count: 0
    .symbol:         _Z11rank_kernelIxLj4ELb0EL18RadixRankAlgorithm1ELj256ELj8ELj10EEvPKT_Pi.kd
    .uniform_work_group_size: 1
    .uses_dynamic_stack: false
    .vgpr_count:     50
    .vgpr_spill_count: 0
    .wavefront_size: 64
  - .agpr_count:     0
    .args:
      - .address_space:  global
        .offset:         0
        .size:           8
        .value_kind:     global_buffer
      - .address_space:  global
        .offset:         8
        .size:           8
        .value_kind:     global_buffer
      - .offset:         16
        .size:           4
        .value_kind:     hidden_block_count_x
      - .offset:         20
        .size:           4
        .value_kind:     hidden_block_count_y
      - .offset:         24
        .size:           4
        .value_kind:     hidden_block_count_z
      - .offset:         28
        .size:           2
        .value_kind:     hidden_group_size_x
      - .offset:         30
        .size:           2
        .value_kind:     hidden_group_size_y
      - .offset:         32
        .size:           2
        .value_kind:     hidden_group_size_z
      - .offset:         34
        .size:           2
        .value_kind:     hidden_remainder_x
      - .offset:         36
        .size:           2
        .value_kind:     hidden_remainder_y
      - .offset:         38
        .size:           2
        .value_kind:     hidden_remainder_z
      - .offset:         56
        .size:           8
        .value_kind:     hidden_global_offset_x
      - .offset:         64
        .size:           8
        .value_kind:     hidden_global_offset_y
      - .offset:         72
        .size:           8
        .value_kind:     hidden_global_offset_z
      - .offset:         80
        .size:           2
        .value_kind:     hidden_grid_dims
    .group_segment_fixed_size: 1040
    .kernarg_segment_align: 8
    .kernarg_segment_size: 272
    .language:       OpenCL C
    .language_version:
      - 2
      - 0
    .max_flat_workgroup_size: 256
    .name:           _Z11rank_kernelIxLj4ELb0EL18RadixRankAlgorithm2ELj256ELj8ELj10EEvPKT_Pi
    .private_segment_fixed_size: 0
    .sgpr_count:     39
    .sgpr_spill_count: 0
    .symbol:         _Z11rank_kernelIxLj4ELb0EL18RadixRankAlgorithm2ELj256ELj8ELj10EEvPKT_Pi.kd
    .uniform_work_group_size: 1
    .uses_dynamic_stack: false
    .vgpr_count:     52
    .vgpr_spill_count: 0
    .wavefront_size: 64
  - .agpr_count:     0
    .args:
      - .address_space:  global
        .offset:         0
        .size:           8
        .value_kind:     global_buffer
      - .address_space:  global
        .offset:         8
        .size:           8
        .value_kind:     global_buffer
    .group_segment_fixed_size: 8208
    .kernarg_segment_align: 8
    .kernarg_segment_size: 16
    .language:       OpenCL C
    .language_version:
      - 2
      - 0
    .max_flat_workgroup_size: 256
    .name:           _Z11rank_kernelIxLj4ELb0EL18RadixRankAlgorithm0ELj256ELj16ELj10EEvPKT_Pi
    .private_segment_fixed_size: 0
    .sgpr_count:     44
    .sgpr_spill_count: 0
    .symbol:         _Z11rank_kernelIxLj4ELb0EL18RadixRankAlgorithm0ELj256ELj16ELj10EEvPKT_Pi.kd
    .uniform_work_group_size: 1
    .uses_dynamic_stack: false
    .vgpr_count:     75
    .vgpr_spill_count: 0
    .wavefront_size: 64
  - .agpr_count:     0
    .args:
      - .address_space:  global
        .offset:         0
        .size:           8
        .value_kind:     global_buffer
      - .address_space:  global
        .offset:         8
        .size:           8
        .value_kind:     global_buffer
    .group_segment_fixed_size: 8208
    .kernarg_segment_align: 8
    .kernarg_segment_size: 16
    .language:       OpenCL C
    .language_version:
      - 2
      - 0
    .max_flat_workgroup_size: 256
    .name:           _Z11rank_kernelIxLj4ELb0EL18RadixRankAlgorithm1ELj256ELj16ELj10EEvPKT_Pi
    .private_segment_fixed_size: 0
    .sgpr_count:     44
    .sgpr_spill_count: 0
    .symbol:         _Z11rank_kernelIxLj4ELb0EL18RadixRankAlgorithm1ELj256ELj16ELj10EEvPKT_Pi.kd
    .uniform_work_group_size: 1
    .uses_dynamic_stack: false
    .vgpr_count:     82
    .vgpr_spill_count: 0
    .wavefront_size: 64
  - .agpr_count:     0
    .args:
      - .address_space:  global
        .offset:         0
        .size:           8
        .value_kind:     global_buffer
      - .address_space:  global
        .offset:         8
        .size:           8
        .value_kind:     global_buffer
      - .offset:         16
        .size:           4
        .value_kind:     hidden_block_count_x
      - .offset:         20
        .size:           4
        .value_kind:     hidden_block_count_y
      - .offset:         24
        .size:           4
        .value_kind:     hidden_block_count_z
      - .offset:         28
        .size:           2
        .value_kind:     hidden_group_size_x
      - .offset:         30
        .size:           2
        .value_kind:     hidden_group_size_y
      - .offset:         32
        .size:           2
        .value_kind:     hidden_group_size_z
      - .offset:         34
        .size:           2
        .value_kind:     hidden_remainder_x
      - .offset:         36
        .size:           2
        .value_kind:     hidden_remainder_y
      - .offset:         38
        .size:           2
        .value_kind:     hidden_remainder_z
      - .offset:         56
        .size:           8
        .value_kind:     hidden_global_offset_x
      - .offset:         64
        .size:           8
        .value_kind:     hidden_global_offset_y
      - .offset:         72
        .size:           8
        .value_kind:     hidden_global_offset_z
      - .offset:         80
        .size:           2
        .value_kind:     hidden_grid_dims
    .group_segment_fixed_size: 1040
    .kernarg_segment_align: 8
    .kernarg_segment_size: 272
    .language:       OpenCL C
    .language_version:
      - 2
      - 0
    .max_flat_workgroup_size: 256
    .name:           _Z11rank_kernelIxLj4ELb0EL18RadixRankAlgorithm2ELj256ELj16ELj10EEvPKT_Pi
    .private_segment_fixed_size: 0
    .sgpr_count:     39
    .sgpr_spill_count: 0
    .symbol:         _Z11rank_kernelIxLj4ELb0EL18RadixRankAlgorithm2ELj256ELj16ELj10EEvPKT_Pi.kd
    .uniform_work_group_size: 1
    .uses_dynamic_stack: false
    .vgpr_count:     92
    .vgpr_spill_count: 0
    .wavefront_size: 64
  - .agpr_count:     0
    .args:
      - .address_space:  global
        .offset:         0
        .size:           8
        .value_kind:     global_buffer
      - .address_space:  global
        .offset:         8
        .size:           8
        .value_kind:     global_buffer
    .group_segment_fixed_size: 8208
    .kernarg_segment_align: 8
    .kernarg_segment_size: 16
    .language:       OpenCL C
    .language_version:
      - 2
      - 0
    .max_flat_workgroup_size: 256
    .name:           _Z11rank_kernelIxLj4ELb0EL18RadixRankAlgorithm0ELj256ELj32ELj10EEvPKT_Pi
    .private_segment_fixed_size: 0
    .sgpr_count:     44
    .sgpr_spill_count: 0
    .symbol:         _Z11rank_kernelIxLj4ELb0EL18RadixRankAlgorithm0ELj256ELj32ELj10EEvPKT_Pi.kd
    .uniform_work_group_size: 1
    .uses_dynamic_stack: false
    .vgpr_count:     144
    .vgpr_spill_count: 0
    .wavefront_size: 64
  - .agpr_count:     0
    .args:
      - .address_space:  global
        .offset:         0
        .size:           8
        .value_kind:     global_buffer
      - .address_space:  global
        .offset:         8
        .size:           8
        .value_kind:     global_buffer
    .group_segment_fixed_size: 8208
    .kernarg_segment_align: 8
    .kernarg_segment_size: 16
    .language:       OpenCL C
    .language_version:
      - 2
      - 0
    .max_flat_workgroup_size: 256
    .name:           _Z11rank_kernelIxLj4ELb0EL18RadixRankAlgorithm1ELj256ELj32ELj10EEvPKT_Pi
    .private_segment_fixed_size: 0
    .sgpr_count:     44
    .sgpr_spill_count: 0
    .symbol:         _Z11rank_kernelIxLj4ELb0EL18RadixRankAlgorithm1ELj256ELj32ELj10EEvPKT_Pi.kd
    .uniform_work_group_size: 1
    .uses_dynamic_stack: false
    .vgpr_count:     145
    .vgpr_spill_count: 0
    .wavefront_size: 64
  - .agpr_count:     0
    .args:
      - .address_space:  global
        .offset:         0
        .size:           8
        .value_kind:     global_buffer
      - .address_space:  global
        .offset:         8
        .size:           8
        .value_kind:     global_buffer
      - .offset:         16
        .size:           4
        .value_kind:     hidden_block_count_x
      - .offset:         20
        .size:           4
        .value_kind:     hidden_block_count_y
      - .offset:         24
        .size:           4
        .value_kind:     hidden_block_count_z
      - .offset:         28
        .size:           2
        .value_kind:     hidden_group_size_x
      - .offset:         30
        .size:           2
        .value_kind:     hidden_group_size_y
      - .offset:         32
        .size:           2
        .value_kind:     hidden_group_size_z
      - .offset:         34
        .size:           2
        .value_kind:     hidden_remainder_x
      - .offset:         36
        .size:           2
        .value_kind:     hidden_remainder_y
      - .offset:         38
        .size:           2
        .value_kind:     hidden_remainder_z
      - .offset:         56
        .size:           8
        .value_kind:     hidden_global_offset_x
      - .offset:         64
        .size:           8
        .value_kind:     hidden_global_offset_y
      - .offset:         72
        .size:           8
        .value_kind:     hidden_global_offset_z
      - .offset:         80
        .size:           2
        .value_kind:     hidden_grid_dims
    .group_segment_fixed_size: 1040
    .kernarg_segment_align: 8
    .kernarg_segment_size: 272
    .language:       OpenCL C
    .language_version:
      - 2
      - 0
    .max_flat_workgroup_size: 256
    .name:           _Z11rank_kernelIxLj4ELb0EL18RadixRankAlgorithm2ELj256ELj32ELj10EEvPKT_Pi
    .private_segment_fixed_size: 0
    .sgpr_count:     39
    .sgpr_spill_count: 0
    .symbol:         _Z11rank_kernelIxLj4ELb0EL18RadixRankAlgorithm2ELj256ELj32ELj10EEvPKT_Pi.kd
    .uniform_work_group_size: 1
    .uses_dynamic_stack: false
    .vgpr_count:     172
    .vgpr_spill_count: 0
    .wavefront_size: 64
  - .agpr_count:     0
    .args:
      - .address_space:  global
        .offset:         0
        .size:           8
        .value_kind:     global_buffer
      - .address_space:  global
        .offset:         8
        .size:           8
        .value_kind:     global_buffer
    .group_segment_fixed_size: 16416
    .kernarg_segment_align: 8
    .kernarg_segment_size: 16
    .language:       OpenCL C
    .language_version:
      - 2
      - 0
    .max_flat_workgroup_size: 512
    .name:           _Z11rank_kernelIxLj4ELb0EL18RadixRankAlgorithm0ELj512ELj1ELj10EEvPKT_Pi
    .private_segment_fixed_size: 0
    .sgpr_count:     42
    .sgpr_spill_count: 0
    .symbol:         _Z11rank_kernelIxLj4ELb0EL18RadixRankAlgorithm0ELj512ELj1ELj10EEvPKT_Pi.kd
    .uniform_work_group_size: 1
    .uses_dynamic_stack: false
    .vgpr_count:     26
    .vgpr_spill_count: 0
    .wavefront_size: 64
  - .agpr_count:     0
    .args:
      - .address_space:  global
        .offset:         0
        .size:           8
        .value_kind:     global_buffer
      - .address_space:  global
        .offset:         8
        .size:           8
        .value_kind:     global_buffer
    .group_segment_fixed_size: 16416
    .kernarg_segment_align: 8
    .kernarg_segment_size: 16
    .language:       OpenCL C
    .language_version:
      - 2
      - 0
    .max_flat_workgroup_size: 512
    .name:           _Z11rank_kernelIxLj4ELb0EL18RadixRankAlgorithm1ELj512ELj1ELj10EEvPKT_Pi
    .private_segment_fixed_size: 0
    .sgpr_count:     42
    .sgpr_spill_count: 0
    .symbol:         _Z11rank_kernelIxLj4ELb0EL18RadixRankAlgorithm1ELj512ELj1ELj10EEvPKT_Pi.kd
    .uniform_work_group_size: 1
    .uses_dynamic_stack: false
    .vgpr_count:     27
    .vgpr_spill_count: 0
    .wavefront_size: 64
  - .agpr_count:     0
    .args:
      - .address_space:  global
        .offset:         0
        .size:           8
        .value_kind:     global_buffer
      - .address_space:  global
        .offset:         8
        .size:           8
        .value_kind:     global_buffer
      - .offset:         16
        .size:           4
        .value_kind:     hidden_block_count_x
      - .offset:         20
        .size:           4
        .value_kind:     hidden_block_count_y
      - .offset:         24
        .size:           4
        .value_kind:     hidden_block_count_z
      - .offset:         28
        .size:           2
        .value_kind:     hidden_group_size_x
      - .offset:         30
        .size:           2
        .value_kind:     hidden_group_size_y
      - .offset:         32
        .size:           2
        .value_kind:     hidden_group_size_z
      - .offset:         34
        .size:           2
        .value_kind:     hidden_remainder_x
      - .offset:         36
        .size:           2
        .value_kind:     hidden_remainder_y
      - .offset:         38
        .size:           2
        .value_kind:     hidden_remainder_z
      - .offset:         56
        .size:           8
        .value_kind:     hidden_global_offset_x
      - .offset:         64
        .size:           8
        .value_kind:     hidden_global_offset_y
      - .offset:         72
        .size:           8
        .value_kind:     hidden_global_offset_z
      - .offset:         80
        .size:           2
        .value_kind:     hidden_grid_dims
    .group_segment_fixed_size: 2080
    .kernarg_segment_align: 8
    .kernarg_segment_size: 272
    .language:       OpenCL C
    .language_version:
      - 2
      - 0
    .max_flat_workgroup_size: 512
    .name:           _Z11rank_kernelIxLj4ELb0EL18RadixRankAlgorithm2ELj512ELj1ELj10EEvPKT_Pi
    .private_segment_fixed_size: 0
    .sgpr_count:     41
    .sgpr_spill_count: 0
    .symbol:         _Z11rank_kernelIxLj4ELb0EL18RadixRankAlgorithm2ELj512ELj1ELj10EEvPKT_Pi.kd
    .uniform_work_group_size: 1
    .uses_dynamic_stack: false
    .vgpr_count:     17
    .vgpr_spill_count: 0
    .wavefront_size: 64
  - .agpr_count:     0
    .args:
      - .address_space:  global
        .offset:         0
        .size:           8
        .value_kind:     global_buffer
      - .address_space:  global
        .offset:         8
        .size:           8
        .value_kind:     global_buffer
    .group_segment_fixed_size: 16416
    .kernarg_segment_align: 8
    .kernarg_segment_size: 16
    .language:       OpenCL C
    .language_version:
      - 2
      - 0
    .max_flat_workgroup_size: 512
    .name:           _Z11rank_kernelIxLj4ELb0EL18RadixRankAlgorithm0ELj512ELj4ELj10EEvPKT_Pi
    .private_segment_fixed_size: 0
    .sgpr_count:     42
    .sgpr_spill_count: 0
    .symbol:         _Z11rank_kernelIxLj4ELb0EL18RadixRankAlgorithm0ELj512ELj4ELj10EEvPKT_Pi.kd
    .uniform_work_group_size: 1
    .uses_dynamic_stack: false
    .vgpr_count:     38
    .vgpr_spill_count: 0
    .wavefront_size: 64
  - .agpr_count:     0
    .args:
      - .address_space:  global
        .offset:         0
        .size:           8
        .value_kind:     global_buffer
      - .address_space:  global
        .offset:         8
        .size:           8
        .value_kind:     global_buffer
    .group_segment_fixed_size: 16416
    .kernarg_segment_align: 8
    .kernarg_segment_size: 16
    .language:       OpenCL C
    .language_version:
      - 2
      - 0
    .max_flat_workgroup_size: 512
    .name:           _Z11rank_kernelIxLj4ELb0EL18RadixRankAlgorithm1ELj512ELj4ELj10EEvPKT_Pi
    .private_segment_fixed_size: 0
    .sgpr_count:     42
    .sgpr_spill_count: 0
    .symbol:         _Z11rank_kernelIxLj4ELb0EL18RadixRankAlgorithm1ELj512ELj4ELj10EEvPKT_Pi.kd
    .uniform_work_group_size: 1
    .uses_dynamic_stack: false
    .vgpr_count:     39
    .vgpr_spill_count: 0
    .wavefront_size: 64
  - .agpr_count:     0
    .args:
      - .address_space:  global
        .offset:         0
        .size:           8
        .value_kind:     global_buffer
      - .address_space:  global
        .offset:         8
        .size:           8
        .value_kind:     global_buffer
      - .offset:         16
        .size:           4
        .value_kind:     hidden_block_count_x
      - .offset:         20
        .size:           4
        .value_kind:     hidden_block_count_y
      - .offset:         24
        .size:           4
        .value_kind:     hidden_block_count_z
      - .offset:         28
        .size:           2
        .value_kind:     hidden_group_size_x
      - .offset:         30
        .size:           2
        .value_kind:     hidden_group_size_y
      - .offset:         32
        .size:           2
        .value_kind:     hidden_group_size_z
      - .offset:         34
        .size:           2
        .value_kind:     hidden_remainder_x
      - .offset:         36
        .size:           2
        .value_kind:     hidden_remainder_y
      - .offset:         38
        .size:           2
        .value_kind:     hidden_remainder_z
      - .offset:         56
        .size:           8
        .value_kind:     hidden_global_offset_x
      - .offset:         64
        .size:           8
        .value_kind:     hidden_global_offset_y
      - .offset:         72
        .size:           8
        .value_kind:     hidden_global_offset_z
      - .offset:         80
        .size:           2
        .value_kind:     hidden_grid_dims
    .group_segment_fixed_size: 2080
    .kernarg_segment_align: 8
    .kernarg_segment_size: 272
    .language:       OpenCL C
    .language_version:
      - 2
      - 0
    .max_flat_workgroup_size: 512
    .name:           _Z11rank_kernelIxLj4ELb0EL18RadixRankAlgorithm2ELj512ELj4ELj10EEvPKT_Pi
    .private_segment_fixed_size: 0
    .sgpr_count:     41
    .sgpr_spill_count: 0
    .symbol:         _Z11rank_kernelIxLj4ELb0EL18RadixRankAlgorithm2ELj512ELj4ELj10EEvPKT_Pi.kd
    .uniform_work_group_size: 1
    .uses_dynamic_stack: false
    .vgpr_count:     31
    .vgpr_spill_count: 0
    .wavefront_size: 64
  - .agpr_count:     0
    .args:
      - .address_space:  global
        .offset:         0
        .size:           8
        .value_kind:     global_buffer
      - .address_space:  global
        .offset:         8
        .size:           8
        .value_kind:     global_buffer
    .group_segment_fixed_size: 16416
    .kernarg_segment_align: 8
    .kernarg_segment_size: 16
    .language:       OpenCL C
    .language_version:
      - 2
      - 0
    .max_flat_workgroup_size: 512
    .name:           _Z11rank_kernelIxLj4ELb0EL18RadixRankAlgorithm0ELj512ELj8ELj10EEvPKT_Pi
    .private_segment_fixed_size: 0
    .sgpr_count:     42
    .sgpr_spill_count: 0
    .symbol:         _Z11rank_kernelIxLj4ELb0EL18RadixRankAlgorithm0ELj512ELj8ELj10EEvPKT_Pi.kd
    .uniform_work_group_size: 1
    .uses_dynamic_stack: false
    .vgpr_count:     54
    .vgpr_spill_count: 0
    .wavefront_size: 64
  - .agpr_count:     0
    .args:
      - .address_space:  global
        .offset:         0
        .size:           8
        .value_kind:     global_buffer
      - .address_space:  global
        .offset:         8
        .size:           8
        .value_kind:     global_buffer
    .group_segment_fixed_size: 16416
    .kernarg_segment_align: 8
    .kernarg_segment_size: 16
    .language:       OpenCL C
    .language_version:
      - 2
      - 0
    .max_flat_workgroup_size: 512
    .name:           _Z11rank_kernelIxLj4ELb0EL18RadixRankAlgorithm1ELj512ELj8ELj10EEvPKT_Pi
    .private_segment_fixed_size: 0
    .sgpr_count:     42
    .sgpr_spill_count: 0
    .symbol:         _Z11rank_kernelIxLj4ELb0EL18RadixRankAlgorithm1ELj512ELj8ELj10EEvPKT_Pi.kd
    .uniform_work_group_size: 1
    .uses_dynamic_stack: false
    .vgpr_count:     56
    .vgpr_spill_count: 0
    .wavefront_size: 64
  - .agpr_count:     0
    .args:
      - .address_space:  global
        .offset:         0
        .size:           8
        .value_kind:     global_buffer
      - .address_space:  global
        .offset:         8
        .size:           8
        .value_kind:     global_buffer
      - .offset:         16
        .size:           4
        .value_kind:     hidden_block_count_x
      - .offset:         20
        .size:           4
        .value_kind:     hidden_block_count_y
      - .offset:         24
        .size:           4
        .value_kind:     hidden_block_count_z
      - .offset:         28
        .size:           2
        .value_kind:     hidden_group_size_x
      - .offset:         30
        .size:           2
        .value_kind:     hidden_group_size_y
      - .offset:         32
        .size:           2
        .value_kind:     hidden_group_size_z
      - .offset:         34
        .size:           2
        .value_kind:     hidden_remainder_x
      - .offset:         36
        .size:           2
        .value_kind:     hidden_remainder_y
      - .offset:         38
        .size:           2
        .value_kind:     hidden_remainder_z
      - .offset:         56
        .size:           8
        .value_kind:     hidden_global_offset_x
      - .offset:         64
        .size:           8
        .value_kind:     hidden_global_offset_y
      - .offset:         72
        .size:           8
        .value_kind:     hidden_global_offset_z
      - .offset:         80
        .size:           2
        .value_kind:     hidden_grid_dims
    .group_segment_fixed_size: 2080
    .kernarg_segment_align: 8
    .kernarg_segment_size: 272
    .language:       OpenCL C
    .language_version:
      - 2
      - 0
    .max_flat_workgroup_size: 512
    .name:           _Z11rank_kernelIxLj4ELb0EL18RadixRankAlgorithm2ELj512ELj8ELj10EEvPKT_Pi
    .private_segment_fixed_size: 0
    .sgpr_count:     41
    .sgpr_spill_count: 0
    .symbol:         _Z11rank_kernelIxLj4ELb0EL18RadixRankAlgorithm2ELj512ELj8ELj10EEvPKT_Pi.kd
    .uniform_work_group_size: 1
    .uses_dynamic_stack: false
    .vgpr_count:     52
    .vgpr_spill_count: 0
    .wavefront_size: 64
  - .agpr_count:     0
    .args:
      - .address_space:  global
        .offset:         0
        .size:           8
        .value_kind:     global_buffer
      - .address_space:  global
        .offset:         8
        .size:           8
        .value_kind:     global_buffer
    .group_segment_fixed_size: 16416
    .kernarg_segment_align: 8
    .kernarg_segment_size: 16
    .language:       OpenCL C
    .language_version:
      - 2
      - 0
    .max_flat_workgroup_size: 512
    .name:           _Z11rank_kernelIxLj4ELb0EL18RadixRankAlgorithm0ELj512ELj16ELj10EEvPKT_Pi
    .private_segment_fixed_size: 0
    .sgpr_count:     42
    .sgpr_spill_count: 0
    .symbol:         _Z11rank_kernelIxLj4ELb0EL18RadixRankAlgorithm0ELj512ELj16ELj10EEvPKT_Pi.kd
    .uniform_work_group_size: 1
    .uses_dynamic_stack: false
    .vgpr_count:     86
    .vgpr_spill_count: 0
    .wavefront_size: 64
  - .agpr_count:     0
    .args:
      - .address_space:  global
        .offset:         0
        .size:           8
        .value_kind:     global_buffer
      - .address_space:  global
        .offset:         8
        .size:           8
        .value_kind:     global_buffer
    .group_segment_fixed_size: 16416
    .kernarg_segment_align: 8
    .kernarg_segment_size: 16
    .language:       OpenCL C
    .language_version:
      - 2
      - 0
    .max_flat_workgroup_size: 512
    .name:           _Z11rank_kernelIxLj4ELb0EL18RadixRankAlgorithm1ELj512ELj16ELj10EEvPKT_Pi
    .private_segment_fixed_size: 0
    .sgpr_count:     42
    .sgpr_spill_count: 0
    .symbol:         _Z11rank_kernelIxLj4ELb0EL18RadixRankAlgorithm1ELj512ELj16ELj10EEvPKT_Pi.kd
    .uniform_work_group_size: 1
    .uses_dynamic_stack: false
    .vgpr_count:     88
    .vgpr_spill_count: 0
    .wavefront_size: 64
  - .agpr_count:     0
    .args:
      - .address_space:  global
        .offset:         0
        .size:           8
        .value_kind:     global_buffer
      - .address_space:  global
        .offset:         8
        .size:           8
        .value_kind:     global_buffer
      - .offset:         16
        .size:           4
        .value_kind:     hidden_block_count_x
      - .offset:         20
        .size:           4
        .value_kind:     hidden_block_count_y
      - .offset:         24
        .size:           4
        .value_kind:     hidden_block_count_z
      - .offset:         28
        .size:           2
        .value_kind:     hidden_group_size_x
      - .offset:         30
        .size:           2
        .value_kind:     hidden_group_size_y
      - .offset:         32
        .size:           2
        .value_kind:     hidden_group_size_z
      - .offset:         34
        .size:           2
        .value_kind:     hidden_remainder_x
      - .offset:         36
        .size:           2
        .value_kind:     hidden_remainder_y
      - .offset:         38
        .size:           2
        .value_kind:     hidden_remainder_z
      - .offset:         56
        .size:           8
        .value_kind:     hidden_global_offset_x
      - .offset:         64
        .size:           8
        .value_kind:     hidden_global_offset_y
      - .offset:         72
        .size:           8
        .value_kind:     hidden_global_offset_z
      - .offset:         80
        .size:           2
        .value_kind:     hidden_grid_dims
    .group_segment_fixed_size: 2080
    .kernarg_segment_align: 8
    .kernarg_segment_size: 272
    .language:       OpenCL C
    .language_version:
      - 2
      - 0
    .max_flat_workgroup_size: 512
    .name:           _Z11rank_kernelIxLj4ELb0EL18RadixRankAlgorithm2ELj512ELj16ELj10EEvPKT_Pi
    .private_segment_fixed_size: 0
    .sgpr_count:     41
    .sgpr_spill_count: 0
    .symbol:         _Z11rank_kernelIxLj4ELb0EL18RadixRankAlgorithm2ELj512ELj16ELj10EEvPKT_Pi.kd
    .uniform_work_group_size: 1
    .uses_dynamic_stack: false
    .vgpr_count:     92
    .vgpr_spill_count: 0
    .wavefront_size: 64
  - .agpr_count:     0
    .args:
      - .address_space:  global
        .offset:         0
        .size:           8
        .value_kind:     global_buffer
      - .address_space:  global
        .offset:         8
        .size:           8
        .value_kind:     global_buffer
    .group_segment_fixed_size: 16416
    .kernarg_segment_align: 8
    .kernarg_segment_size: 16
    .language:       OpenCL C
    .language_version:
      - 2
      - 0
    .max_flat_workgroup_size: 512
    .name:           _Z11rank_kernelIxLj4ELb0EL18RadixRankAlgorithm0ELj512ELj32ELj10EEvPKT_Pi
    .private_segment_fixed_size: 0
    .sgpr_count:     42
    .sgpr_spill_count: 0
    .symbol:         _Z11rank_kernelIxLj4ELb0EL18RadixRankAlgorithm0ELj512ELj32ELj10EEvPKT_Pi.kd
    .uniform_work_group_size: 1
    .uses_dynamic_stack: false
    .vgpr_count:     150
    .vgpr_spill_count: 0
    .wavefront_size: 64
  - .agpr_count:     0
    .args:
      - .address_space:  global
        .offset:         0
        .size:           8
        .value_kind:     global_buffer
      - .address_space:  global
        .offset:         8
        .size:           8
        .value_kind:     global_buffer
    .group_segment_fixed_size: 16416
    .kernarg_segment_align: 8
    .kernarg_segment_size: 16
    .language:       OpenCL C
    .language_version:
      - 2
      - 0
    .max_flat_workgroup_size: 512
    .name:           _Z11rank_kernelIxLj4ELb0EL18RadixRankAlgorithm1ELj512ELj32ELj10EEvPKT_Pi
    .private_segment_fixed_size: 0
    .sgpr_count:     42
    .sgpr_spill_count: 0
    .symbol:         _Z11rank_kernelIxLj4ELb0EL18RadixRankAlgorithm1ELj512ELj32ELj10EEvPKT_Pi.kd
    .uniform_work_group_size: 1
    .uses_dynamic_stack: false
    .vgpr_count:     151
    .vgpr_spill_count: 0
    .wavefront_size: 64
  - .agpr_count:     0
    .args:
      - .address_space:  global
        .offset:         0
        .size:           8
        .value_kind:     global_buffer
      - .address_space:  global
        .offset:         8
        .size:           8
        .value_kind:     global_buffer
      - .offset:         16
        .size:           4
        .value_kind:     hidden_block_count_x
      - .offset:         20
        .size:           4
        .value_kind:     hidden_block_count_y
      - .offset:         24
        .size:           4
        .value_kind:     hidden_block_count_z
      - .offset:         28
        .size:           2
        .value_kind:     hidden_group_size_x
      - .offset:         30
        .size:           2
        .value_kind:     hidden_group_size_y
      - .offset:         32
        .size:           2
        .value_kind:     hidden_group_size_z
      - .offset:         34
        .size:           2
        .value_kind:     hidden_remainder_x
      - .offset:         36
        .size:           2
        .value_kind:     hidden_remainder_y
      - .offset:         38
        .size:           2
        .value_kind:     hidden_remainder_z
      - .offset:         56
        .size:           8
        .value_kind:     hidden_global_offset_x
      - .offset:         64
        .size:           8
        .value_kind:     hidden_global_offset_y
      - .offset:         72
        .size:           8
        .value_kind:     hidden_global_offset_z
      - .offset:         80
        .size:           2
        .value_kind:     hidden_grid_dims
    .group_segment_fixed_size: 2080
    .kernarg_segment_align: 8
    .kernarg_segment_size: 272
    .language:       OpenCL C
    .language_version:
      - 2
      - 0
    .max_flat_workgroup_size: 512
    .name:           _Z11rank_kernelIxLj4ELb0EL18RadixRankAlgorithm2ELj512ELj32ELj10EEvPKT_Pi
    .private_segment_fixed_size: 0
    .sgpr_count:     41
    .sgpr_spill_count: 0
    .symbol:         _Z11rank_kernelIxLj4ELb0EL18RadixRankAlgorithm2ELj512ELj32ELj10EEvPKT_Pi.kd
    .uniform_work_group_size: 1
    .uses_dynamic_stack: false
    .vgpr_count:     172
    .vgpr_spill_count: 0
    .wavefront_size: 64
amdhsa.target:   amdgcn-amd-amdhsa--gfx90a
amdhsa.version:
  - 1
  - 2
...

	.end_amdgpu_metadata
